;; amdgpu-corpus repo=ggml-org/llama.cpp kind=compiled arch=gfx1201 opt=O3
	.amdgcn_target "amdgcn-amd-amdhsa--gfx1201"
	.amdhsa_code_object_version 6
	.section	.text._ZL15flash_attn_tileILi64ELi64ELi8ELi8ELb0EEvPKcS1_S1_S1_S1_PKiPfP15HIP_vector_typeIfLj2EEffffjfiS5_IjLj3EEiiiiiiiiiiiliiliiiiil,"axG",@progbits,_ZL15flash_attn_tileILi64ELi64ELi8ELi8ELb0EEvPKcS1_S1_S1_S1_PKiPfP15HIP_vector_typeIfLj2EEffffjfiS5_IjLj3EEiiiiiiiiiiiliiliiiiil,comdat
	.globl	_ZL15flash_attn_tileILi64ELi64ELi8ELi8ELb0EEvPKcS1_S1_S1_S1_PKiPfP15HIP_vector_typeIfLj2EEffffjfiS5_IjLj3EEiiiiiiiiiiiliiliiiiil ; -- Begin function _ZL15flash_attn_tileILi64ELi64ELi8ELi8ELb0EEvPKcS1_S1_S1_S1_PKiPfP15HIP_vector_typeIfLj2EEffffjfiS5_IjLj3EEiiiiiiiiiiiliiliiiiil
	.p2align	8
	.type	_ZL15flash_attn_tileILi64ELi64ELi8ELi8ELb0EEvPKcS1_S1_S1_S1_PKiPfP15HIP_vector_typeIfLj2EEffffjfiS5_IjLj3EEiiiiiiiiiiiliiliiiiil,@function
_ZL15flash_attn_tileILi64ELi64ELi8ELi8ELb0EEvPKcS1_S1_S1_S1_PKiPfP15HIP_vector_typeIfLj2EEffffjfiS5_IjLj3EEiiiiiiiiiiiliiliiiiil: ; @_ZL15flash_attn_tileILi64ELi64ELi8ELi8ELb0EEvPKcS1_S1_S1_S1_PKiPfP15HIP_vector_typeIfLj2EEffffjfiS5_IjLj3EEiiiiiiiiiiiliiliiiiil
; %bb.0:
	s_clause 0x1
	s_load_b128 s[20:23], s[0:1], 0x5c
	s_load_b64 s[30:31], s[0:1], 0x80
	s_lshr_b32 s5, ttmp7, 16
	s_load_b64 s[38:39], s[0:1], 0xb8
	s_mov_b32 s37, 0
	s_mov_b64 s[34:35], 0
	s_wait_kmcnt 0x0
	s_ashr_i32 s2, s23, 31
	s_delay_alu instid0(SALU_CYCLE_1) | instskip(NEXT) | instid1(SALU_CYCLE_1)
	s_lshr_b32 s2, s2, 29
	s_add_co_i32 s2, s23, s2
	s_delay_alu instid0(SALU_CYCLE_1) | instskip(NEXT) | instid1(SALU_CYCLE_1)
	s_ashr_i32 s2, s2, 3
	s_cvt_f32_u32 s3, s2
	s_sub_co_i32 s4, 0, s2
	s_delay_alu instid0(SALU_CYCLE_2) | instskip(NEXT) | instid1(TRANS32_DEP_1)
	v_rcp_iflag_f32_e32 v1, s3
	v_readfirstlane_b32 s3, v1
	s_mul_f32 s3, s3, 0x4f7ffffe
	s_wait_alu 0xfffe
	s_delay_alu instid0(SALU_CYCLE_2) | instskip(SKIP_1) | instid1(SALU_CYCLE_2)
	s_cvt_u32_f32 s3, s3
	s_wait_alu 0xfffe
	s_mul_i32 s4, s4, s3
	s_delay_alu instid0(SALU_CYCLE_1) | instskip(NEXT) | instid1(SALU_CYCLE_1)
	s_mul_hi_u32 s4, s3, s4
	s_add_co_i32 s3, s3, s4
	s_wait_alu 0xfffe
	s_mul_hi_u32 s3, s5, s3
	s_wait_alu 0xfffe
	s_mul_i32 s4, s3, s2
	s_add_co_i32 s6, s3, 1
	s_sub_co_i32 s4, s5, s4
	s_delay_alu instid0(SALU_CYCLE_1)
	s_sub_co_i32 s7, s4, s2
	s_cmp_ge_u32 s4, s2
	s_cselect_b32 s3, s6, s3
	s_cselect_b32 s4, s7, s4
	s_wait_alu 0xfffe
	s_add_co_i32 s6, s3, 1
	s_cmp_ge_u32 s4, s2
	s_cselect_b32 s28, s6, s3
	s_abs_i32 s3, s31
	s_abs_i32 s7, s23
	s_wait_alu 0xfffe
	s_cvt_f32_u32 s2, s3
	s_sub_co_i32 s4, 0, s3
	s_lshl_b32 s5, s5, 3
	s_mul_i32 s6, s28, s23
	s_wait_alu 0xfffe
	v_rcp_iflag_f32_e32 v1, s2
	s_delay_alu instid0(TRANS32_DEP_1) | instskip(SKIP_2) | instid1(SALU_CYCLE_2)
	v_readfirstlane_b32 s2, v1
	s_mul_f32 s2, s2, 0x4f7ffffe
	s_wait_alu 0xfffe
	s_cvt_u32_f32 s2, s2
	s_wait_alu 0xfffe
	s_delay_alu instid0(SALU_CYCLE_2) | instskip(NEXT) | instid1(SALU_CYCLE_1)
	s_mul_i32 s4, s4, s2
	s_mul_hi_u32 s4, s2, s4
	s_delay_alu instid0(SALU_CYCLE_1)
	s_add_co_i32 s4, s2, s4
	s_sub_co_i32 s2, s5, s6
	s_mul_hi_u32 s4, s7, s4
	s_xor_b32 s5, s23, s31
	s_mul_i32 s6, s4, s3
	s_ashr_i32 s24, s5, 31
	s_sub_co_i32 s5, s7, s6
	s_add_co_i32 s6, s4, 1
	s_sub_co_i32 s7, s5, s3
	s_cmp_ge_u32 s5, s3
	s_cselect_b32 s4, s6, s4
	s_cselect_b32 s5, s7, s5
	s_add_co_i32 s6, s4, 1
	s_cmp_ge_u32 s5, s3
	s_cselect_b32 s3, s6, s4
	s_load_b512 s[4:19], s[0:1], 0x0
	s_xor_b32 s3, s3, s24
	s_wait_alu 0xfffe
	s_sub_co_i32 s33, s3, s24
	s_delay_alu instid0(SALU_CYCLE_1) | instskip(SKIP_2) | instid1(SALU_CYCLE_3)
	s_abs_i32 s3, s33
	s_wait_alu 0xfffe
	s_cvt_f32_u32 s24, s3
	v_rcp_iflag_f32_e32 v1, s24
	s_wait_kmcnt 0x0
	s_cmp_eq_u64 s[10:11], 0
	s_delay_alu instid0(TRANS32_DEP_1)
	v_readfirstlane_b32 s36, v1
	s_cbranch_scc1 .LBB0_2
; %bb.1:
	s_abs_i32 s26, s38
	s_delay_alu instid0(SALU_CYCLE_1) | instskip(SKIP_1) | instid1(SALU_CYCLE_2)
	s_cvt_f32_u32 s24, s26
	s_wait_alu 0xfffe
	v_rcp_iflag_f32_e32 v1, s24
	s_delay_alu instid0(TRANS32_DEP_1) | instskip(SKIP_2) | instid1(SALU_CYCLE_2)
	v_readfirstlane_b32 s24, v1
	s_mul_f32 s24, s24, 0x4f7ffffe
	s_wait_alu 0xfffe
	s_cvt_u32_f32 s27, s24
	s_sub_co_i32 s24, 0, s26
	s_wait_alu 0xfffe
	s_delay_alu instid0(SALU_CYCLE_1) | instskip(SKIP_4) | instid1(SALU_CYCLE_1)
	s_mul_i32 s24, s24, s27
	s_wait_alu 0xfffe
	s_mul_hi_u32 s29, s27, s24
	s_load_b64 s[24:25], s[0:1], 0xc8
	s_add_co_i32 s27, s27, s29
	s_mul_hi_u32 s27, s28, s27
	s_delay_alu instid0(SALU_CYCLE_1) | instskip(NEXT) | instid1(SALU_CYCLE_1)
	s_mul_i32 s27, s27, s26
	s_sub_co_i32 s27, s28, s27
	s_delay_alu instid0(SALU_CYCLE_1) | instskip(SKIP_2) | instid1(SALU_CYCLE_1)
	s_sub_co_i32 s29, s27, s26
	s_cmp_ge_u32 s27, s26
	s_cselect_b32 s27, s29, s27
	s_sub_co_i32 s29, s27, s26
	s_cmp_ge_u32 s27, s26
	s_cselect_b32 s26, s29, s27
	s_delay_alu instid0(SALU_CYCLE_1)
	s_ashr_i32 s27, s26, 31
	s_wait_kmcnt 0x0
	s_mul_u64 s[24:25], s[24:25], s[26:27]
	s_wait_alu 0xfffe
	s_add_nc_u64 s[34:35], s[10:11], s[24:25]
.LBB0_2:
	v_bfe_u32 v1, v0, 10, 10
	s_lshl_b32 s31, ttmp9, 3
	s_load_b96 s[24:26], s[0:1], 0x70
	v_and_b32_e32 v96, 0x3ff, v0
	s_delay_alu instid0(VALU_DEP_2) | instskip(SKIP_1) | instid1(VALU_DEP_3)
	v_lshlrev_b32_e32 v97, 1, v1
	v_lshlrev_b32_e32 v28, 4, v1
	;; [unrolled: 1-line block ×3, first 2 shown]
	s_delay_alu instid0(VALU_DEP_3) | instskip(NEXT) | instid1(VALU_DEP_3)
	v_add_nc_u32_e32 v98, s31, v97
	v_or_b32_e32 v38, 8, v28
	v_or_b32_e32 v40, 9, v28
	;; [unrolled: 1-line block ×4, first 2 shown]
	v_mul_hi_u32 v2, v98, s20
	v_lshrrev_b32_e32 v93, 3, v38
	v_lshrrev_b32_e32 v92, 3, v40
	;; [unrolled: 1-line block ×4, first 2 shown]
	s_delay_alu instid0(VALU_DEP_4)
	v_add_nc_u32_e32 v95, s31, v93
	s_wait_kmcnt 0x0
	s_ashr_i32 s41, s24, 31
	v_add_nc_u32_e32 v2, v98, v2
	s_mov_b32 s40, s24
	s_mul_i32 s26, s28, s26
	s_lshr_b64 s[10:11], s[40:41], 2
	s_lshr_b32 s11, s41, 2
	v_lshrrev_b32_e32 v2, s21, v2
	s_mul_i32 s40, s2, s25
	s_ashr_i32 s27, s26, 31
	s_ashr_i32 s43, s25, 31
	s_mov_b32 s42, s25
	v_mul_lo_u32 v2, v2, s22
	s_ashr_i32 s41, s40, 31
	s_add_nc_u64 s[4:5], s[4:5], s[26:27]
	s_lshr_b64 s[50:51], s[42:43], 2
	s_and_b32 s42, s25, -4
	s_add_nc_u64 s[48:49], s[4:5], s[40:41]
	s_lshl_b64 s[24:25], s[50:51], 3
	s_add_nc_u64 s[46:47], s[48:49], s[42:43]
	v_sub_nc_u32_e32 v0, v98, v2
	s_mul_u64 s[26:27], s[50:51], 12
	s_wait_alu 0xfffe
	s_add_nc_u64 s[44:45], s[48:49], s[24:25]
	s_add_nc_u64 s[40:41], s[48:49], s[26:27]
	s_and_not1_b32 s43, s43, -2.0
	v_mad_co_u64_u32 v[2:3], null, s10, v0, 0
	v_mul_hi_u32 v14, v95, s20
	s_lshl_b64 s[4:5], s[42:43], 2
	s_mul_u64 s[52:53], s[50:51], 20
	s_add_nc_u64 s[4:5], s[48:49], s[4:5]
	s_add_nc_u64 s[24:25], s[48:49], s[52:53]
	v_add_nc_u32_e32 v94, s31, v92
	s_delay_alu instid0(VALU_DEP_3) | instskip(NEXT) | instid1(VALU_DEP_3)
	v_mad_co_u64_u32 v[3:4], null, s11, v0, v[3:4]
	v_add_nc_u32_e32 v14, v95, v14
	s_mul_u64 s[26:27], s[50:51], 24
	v_add_nc_u32_e32 v91, s31, v90
	s_add_nc_u64 s[26:27], s[48:49], s[26:27]
	s_mul_u64 s[42:43], s[50:51], 28
	v_lshrrev_b32_e32 v17, s21, v14
	s_delay_alu instid0(VALU_DEP_4) | instskip(SKIP_4) | instid1(VALU_DEP_3)
	v_lshlrev_b64_e32 v[2:3], 2, v[2:3]
	s_add_nc_u64 s[42:43], s[48:49], s[42:43]
	v_mul_hi_u32 v22, v91, s20
	v_add_nc_u32_e32 v89, s31, v87
	s_cmp_eq_u64 s[14:15], 0
	v_add_co_u32 v4, vcc_lo, s48, v2
	s_delay_alu instid0(VALU_DEP_1)
	v_add_co_ci_u32_e64 v5, null, s49, v3, vcc_lo
	v_add_co_u32 v6, vcc_lo, s46, v2
	s_wait_alu 0xfffd
	v_add_co_ci_u32_e64 v7, null, s47, v3, vcc_lo
	v_add_co_u32 v8, vcc_lo, s44, v2
	s_wait_alu 0xfffd
	;; [unrolled: 3-line block ×7, first 2 shown]
	v_add_co_ci_u32_e64 v11, null, 0, v11, vcc_lo
	s_clause 0x3
	global_load_b64 v[4:5], v[4:5], off
	global_load_b64 v[6:7], v[6:7], off
	;; [unrolled: 1-line block ×4, first 2 shown]
	v_add_co_u32 v12, vcc_lo, s4, v2
	s_wait_alu 0xfffd
	v_add_co_ci_u32_e64 v13, null, s5, v3, vcc_lo
	v_mul_hi_u32 v25, v89, s20
	s_delay_alu instid0(VALU_DEP_3) | instskip(SKIP_1) | instid1(VALU_DEP_3)
	v_add_co_u32 v12, vcc_lo, v12, v39
	s_wait_alu 0xfffd
	v_add_co_ci_u32_e64 v13, null, 0, v13, vcc_lo
	s_wait_alu 0xfffe
	v_add_co_u32 v15, vcc_lo, s24, v2
	s_wait_alu 0xfffd
	v_add_co_ci_u32_e64 v16, null, s25, v3, vcc_lo
	s_delay_alu instid0(VALU_DEP_2) | instskip(SKIP_1) | instid1(VALU_DEP_2)
	v_add_co_u32 v14, vcc_lo, v15, v39
	s_wait_alu 0xfffd
	v_add_co_ci_u32_e64 v15, null, 0, v16, vcc_lo
	v_mul_lo_u32 v16, v17, s22
	v_mul_hi_u32 v17, v94, s20
	v_add_co_u32 v18, vcc_lo, s26, v2
	s_wait_alu 0xfffd
	v_add_co_ci_u32_e64 v19, null, s27, v3, vcc_lo
	s_delay_alu instid0(VALU_DEP_2) | instskip(NEXT) | instid1(VALU_DEP_4)
	v_add_co_u32 v18, vcc_lo, v18, v39
	v_add_nc_u32_e32 v21, v94, v17
	v_sub_nc_u32_e32 v20, v95, v16
	s_wait_alu 0xfffd
	v_add_co_ci_u32_e64 v19, null, 0, v19, vcc_lo
	v_add_co_u32 v23, vcc_lo, s42, v2
	v_lshrrev_b32_e32 v21, s21, v21
	v_mad_co_u64_u32 v[16:17], null, s10, v20, 0
	s_wait_alu 0xfffd
	v_add_co_ci_u32_e64 v24, null, s43, v3, vcc_lo
	s_delay_alu instid0(VALU_DEP_3) | instskip(NEXT) | instid1(VALU_DEP_3)
	v_mul_lo_u32 v21, v21, s22
	v_mad_co_u64_u32 v[2:3], null, s11, v20, v[17:18]
	v_add_nc_u32_e32 v17, v91, v22
	v_add_co_u32 v20, vcc_lo, v23, v39
	s_delay_alu instid0(VALU_DEP_4)
	v_sub_nc_u32_e32 v3, v94, v21
	s_wait_alu 0xfffd
	v_add_co_ci_u32_e64 v21, null, 0, v24, vcc_lo
	v_lshrrev_b32_e32 v24, s21, v17
	v_mov_b32_e32 v17, v2
	v_mad_co_u64_u32 v[22:23], null, s10, v3, 0
	s_clause 0x3
	global_load_b64 v[12:13], v[12:13], off
	global_load_b64 v[14:15], v[14:15], off
	;; [unrolled: 1-line block ×4, first 2 shown]
	v_mul_lo_u32 v24, v24, s22
	v_lshlrev_b64_e32 v[16:17], 2, v[16:17]
	v_dual_mov_b32 v2, v23 :: v_dual_add_nc_u32 v23, v89, v25
	s_delay_alu instid0(VALU_DEP_2) | instskip(NEXT) | instid1(VALU_DEP_4)
	v_add_co_u32 v16, vcc_lo, s48, v16
	v_sub_nc_u32_e32 v26, v91, v24
	s_delay_alu instid0(VALU_DEP_3) | instskip(NEXT) | instid1(VALU_DEP_4)
	v_mad_co_u64_u32 v[2:3], null, s11, v3, v[2:3]
	v_lshrrev_b32_e32 v3, s21, v23
	s_wait_alu 0xfffd
	v_add_co_ci_u32_e64 v17, null, s49, v17, vcc_lo
	v_mad_co_u64_u32 v[24:25], null, s10, v26, 0
	s_delay_alu instid0(VALU_DEP_4)
	v_mov_b32_e32 v23, v2
	v_or_b32_e32 v43, 12, v28
	v_or_b32_e32 v44, 13, v28
	v_or_b32_e32 v45, 14, v28
	v_or_b32_e32 v46, 15, v28
	v_mov_b32_e32 v2, v25
	v_lshrrev_b32_e32 v86, 3, v43
	v_mul_lo_u32 v25, v3, s22
	v_lshrrev_b32_e32 v84, 3, v44
	v_lshlrev_b64_e32 v[22:23], 2, v[22:23]
	v_mad_co_u64_u32 v[2:3], null, s11, v26, v[2:3]
	v_add_nc_u32_e32 v88, s31, v86
	s_delay_alu instid0(VALU_DEP_4)
	v_add_nc_u32_e32 v85, s31, v84
	v_lshrrev_b32_e32 v82, 3, v45
	v_sub_nc_u32_e32 v26, v89, v25
	v_add_co_u32 v16, vcc_lo, v16, v39
	v_mul_hi_u32 v27, v88, s20
	v_mov_b32_e32 v25, v2
	s_delay_alu instid0(VALU_DEP_4)
	v_mad_co_u64_u32 v[2:3], null, s10, v26, 0
	s_wait_alu 0xfffd
	v_add_co_ci_u32_e64 v17, null, 0, v17, vcc_lo
	v_add_co_u32 v22, vcc_lo, s46, v22
	v_add_nc_u32_e32 v27, v88, v27
	v_add_nc_u32_e32 v83, s31, v82
	v_lshlrev_b64_e32 v[24:25], 2, v[24:25]
	s_wait_alu 0xfffd
	v_add_co_ci_u32_e64 v23, null, s47, v23, vcc_lo
	v_lshrrev_b32_e32 v27, s21, v27
	v_add_co_u32 v22, vcc_lo, v22, v39
	v_mul_hi_u32 v32, v83, s20
	v_lshrrev_b32_e32 v80, 3, v46
	s_delay_alu instid0(VALU_DEP_4)
	v_mul_lo_u32 v29, v27, s22
	s_wait_alu 0xfffd
	v_add_co_ci_u32_e64 v23, null, 0, v23, vcc_lo
	v_add_co_u32 v30, vcc_lo, s44, v24
	s_wait_alu 0xfffd
	v_add_co_ci_u32_e64 v31, null, s45, v25, vcc_lo
	v_add_nc_u32_e32 v81, s31, v80
	v_sub_nc_u32_e32 v29, v88, v29
	s_delay_alu instid0(VALU_DEP_1) | instskip(SKIP_3) | instid1(VALU_DEP_2)
	v_mad_co_u64_u32 v[24:25], null, s10, v29, 0
	s_wait_loadcnt 0x7
	v_mad_co_u64_u32 v[26:27], null, s11, v26, v[3:4]
	v_mul_hi_u32 v27, v85, s20
	v_mov_b32_e32 v3, v26
	v_add_co_u32 v26, vcc_lo, v30, v39
	s_delay_alu instid0(VALU_DEP_3)
	v_add_nc_u32_e32 v28, v85, v27
	v_add_nc_u32_e32 v30, v83, v32
	s_wait_alu 0xfffd
	v_add_co_ci_u32_e64 v27, null, 0, v31, vcc_lo
	v_mul_hi_u32 v32, v81, s20
	v_lshrrev_b32_e32 v28, s21, v28
	v_lshlrev_b64_e32 v[2:3], 2, v[2:3]
	s_delay_alu instid0(VALU_DEP_2) | instskip(SKIP_2) | instid1(VALU_DEP_4)
	v_mul_lo_u32 v31, v28, s22
	v_mad_co_u64_u32 v[28:29], null, s11, v29, v[25:26]
	v_lshrrev_b32_e32 v29, s21, v30
	v_add_co_u32 v30, vcc_lo, s40, v2
	s_wait_alu 0xfffd
	v_add_co_ci_u32_e64 v33, null, s41, v3, vcc_lo
	v_sub_nc_u32_e32 v34, v85, v31
	v_add_nc_u32_e32 v31, v81, v32
	v_mul_lo_u32 v32, v29, s22
	v_mov_b32_e32 v25, v28
	v_add_co_u32 v28, vcc_lo, v30, v39
	s_delay_alu instid0(VALU_DEP_4) | instskip(SKIP_1) | instid1(VALU_DEP_4)
	v_lshrrev_b32_e32 v31, s21, v31
	v_mad_co_u64_u32 v[2:3], null, s10, v34, 0
	v_lshlrev_b64_e32 v[24:25], 2, v[24:25]
	v_sub_nc_u32_e32 v36, v83, v32
	s_delay_alu instid0(VALU_DEP_4) | instskip(SKIP_2) | instid1(VALU_DEP_3)
	v_mul_lo_u32 v32, v31, s22
	s_wait_alu 0xfffd
	v_add_co_ci_u32_e64 v29, null, 0, v33, vcc_lo
	v_mad_co_u64_u32 v[30:31], null, s10, v36, 0
	v_add_co_u32 v35, vcc_lo, s4, v24
	s_wait_alu 0xfffd
	v_add_co_ci_u32_e64 v37, null, s5, v25, vcc_lo
	v_mad_co_u64_u32 v[24:25], null, s11, v34, v[3:4]
	s_delay_alu instid0(VALU_DEP_4)
	v_mov_b32_e32 v25, v31
	v_sub_nc_u32_e32 v47, v81, v32
	v_add_co_u32 v34, vcc_lo, v35, v39
	s_wait_alu 0xfffd
	v_add_co_ci_u32_e64 v35, null, 0, v37, vcc_lo
	v_mov_b32_e32 v3, v24
	v_mad_co_u64_u32 v[24:25], null, s11, v36, v[25:26]
	s_clause 0x3
	global_load_b64 v[16:17], v[16:17], off
	global_load_b64 v[22:23], v[22:23], off
	;; [unrolled: 1-line block ×4, first 2 shown]
	v_mad_co_u64_u32 v[32:33], null, s10, v47, 0
	v_lshlrev_b64_e32 v[2:3], 2, v[2:3]
	global_load_b64 v[34:35], v[34:35], off
	s_load_b32 s4, s[0:1], 0x40
	v_mov_b32_e32 v31, v24
	v_mov_b32_e32 v25, v33
	v_add_co_u32 v24, vcc_lo, s24, v2
	s_wait_kmcnt 0x0
	v_fma_mixlo_f16 v4, s4, v4, 0
	v_fma_mixlo_f16 v5, s4, v5, 0
	s_wait_loadcnt 0xb
	v_fma_mixlo_f16 v6, s4, v6, 0
	v_fma_mixlo_f16 v7, s4, v7, 0
	s_wait_loadcnt 0xa
	;; [unrolled: 3-line block ×3, first 2 shown]
	v_fma_mixlo_f16 v12, s4, v12, 0
	v_fma_mixlo_f16 v13, s4, v13, 0
	;; [unrolled: 1-line block ×4, first 2 shown]
	s_wait_loadcnt 0x7
	v_fma_mixlo_f16 v14, s4, v14, 0
	v_fma_mixlo_f16 v15, s4, v15, 0
	s_wait_loadcnt 0x6
	v_fma_mixlo_f16 v18, s4, v18, 0
	v_fma_mixlo_f16 v19, s4, v19, 0
	;; [unrolled: 3-line block ×3, first 2 shown]
	v_lshlrev_b32_e32 v5, 16, v5
	v_and_b32_e32 v4, 0xffff, v4
	v_lshlrev_b32_e32 v7, 16, v7
	v_and_b32_e32 v6, 0xffff, v6
	;; [unrolled: 2-line block ×8, first 2 shown]
	v_or_b32_e32 v4, v5, v4
	v_or_b32_e32 v5, v7, v6
	;; [unrolled: 1-line block ×8, first 2 shown]
	s_wait_loadcnt 0x4
	v_fma_mixlo_f16 v12, s4, v16, 0
	v_fma_mixlo_f16 v13, s4, v17, 0
	s_wait_loadcnt 0x2
	v_mad_co_u64_u32 v[36:37], null, s11, v47, v[25:26]
	s_wait_alu 0xfffd
	v_add_co_ci_u32_e64 v25, null, s25, v3, vcc_lo
	v_lshlrev_b64_e32 v[2:3], 2, v[30:31]
	v_add_co_u32 v24, vcc_lo, v24, v39
	s_wait_alu 0xfffd
	s_delay_alu instid0(VALU_DEP_3) | instskip(SKIP_1) | instid1(VALU_DEP_4)
	v_add_co_ci_u32_e64 v25, null, 0, v25, vcc_lo
	v_mov_b32_e32 v33, v36
	v_add_co_u32 v2, vcc_lo, s26, v2
	s_wait_alu 0xfffd
	v_add_co_ci_u32_e64 v3, null, s27, v3, vcc_lo
	s_delay_alu instid0(VALU_DEP_3)
	v_lshlrev_b64_e32 v[30:31], 2, v[32:33]
	v_fma_mixlo_f16 v14, s4, v22, 0
	v_fma_mixlo_f16 v15, s4, v23, 0
	;; [unrolled: 1-line block ×4, first 2 shown]
	s_wait_loadcnt 0x1
	v_fma_mixlo_f16 v18, s4, v28, 0
	v_add_co_u32 v30, vcc_lo, s42, v30
	s_wait_alu 0xfffd
	v_add_co_ci_u32_e64 v31, null, s43, v31, vcc_lo
	v_add_co_u32 v2, vcc_lo, v2, v39
	s_wait_alu 0xfffd
	v_add_co_ci_u32_e64 v3, null, 0, v3, vcc_lo
	v_add_co_u32 v30, vcc_lo, v30, v39
	s_wait_alu 0xfffd
	v_add_co_ci_u32_e64 v31, null, 0, v31, vcc_lo
	s_clause 0x2
	global_load_b64 v[24:25], v[24:25], off
	global_load_b64 v[32:33], v[2:3], off
	;; [unrolled: 1-line block ×3, first 2 shown]
	v_lshl_add_u32 v3, v96, 2, 0x4400
	v_lshlrev_b32_e32 v2, 11, v1
	v_fma_mixlo_f16 v19, s4, v29, 0
	s_wait_loadcnt 0x3
	v_fma_mixlo_f16 v20, s4, v34, 0
	v_fma_mixlo_f16 v21, s4, v35, 0
	v_lshl_add_u32 v37, v38, 7, v3
	v_add_nc_u32_e32 v36, v3, v2
	ds_store_2addr_b32 v36, v4, v5 offset1:32
	ds_store_2addr_b32 v36, v6, v7 offset0:64 offset1:96
	ds_store_2addr_b32 v36, v8, v9 offset0:128 offset1:160
	;; [unrolled: 1-line block ×3, first 2 shown]
	v_lshlrev_b32_e32 v4, 16, v13
	v_and_b32_e32 v5, 0xffff, v12
	v_lshlrev_b32_e32 v6, 16, v15
	v_and_b32_e32 v7, 0xffff, v14
	;; [unrolled: 2-line block ×5, first 2 shown]
	v_or_b32_e32 v4, v4, v5
	v_lshl_add_u32 v38, v40, 7, v3
	v_or_b32_e32 v5, v6, v7
	v_lshl_add_u32 v39, v41, 7, v3
	;; [unrolled: 2-line block ×5, first 2 shown]
	v_lshl_add_u32 v43, v45, 7, v3
	v_lshl_add_u32 v3, v46, 7, v3
	s_wait_loadcnt 0x2
	v_fma_mixlo_f16 v22, s4, v24, 0
	v_fma_mixlo_f16 v23, s4, v25, 0
	s_wait_loadcnt 0x1
	v_fma_mixlo_f16 v24, s4, v32, 0
	v_fma_mixlo_f16 v25, s4, v33, 0
	;; [unrolled: 3-line block ×3, first 2 shown]
	v_lshlrev_b32_e32 v14, 16, v23
	v_and_b32_e32 v15, 0xffff, v22
	v_lshlrev_b32_e32 v16, 16, v25
	v_and_b32_e32 v17, 0xffff, v24
	;; [unrolled: 2-line block ×3, first 2 shown]
	v_or_b32_e32 v9, v14, v15
	s_delay_alu instid0(VALU_DEP_4) | instskip(NEXT) | instid1(VALU_DEP_3)
	v_or_b32_e32 v10, v16, v17
	v_or_b32_e32 v11, v18, v19
	ds_store_b32 v37, v4
	ds_store_b32 v38, v5
	;; [unrolled: 1-line block ×8, first 2 shown]
	s_wait_dscnt 0x0
	s_barrier_signal -1
	s_barrier_wait -1
	global_inv scope:SCOPE_SE
	s_cbranch_scc1 .LBB0_4
; %bb.3:
	s_load_b32 s4, s[0:1], 0xd0
	s_mov_b32 s5, 0
	s_wait_kmcnt 0x0
	s_mul_i32 s4, s4, s28
	s_wait_alu 0xfffe
	s_add_co_i32 s4, s4, ttmp9
	s_wait_alu 0xfffe
	s_lshl_b64 s[4:5], s[4:5], 2
	s_wait_alu 0xfffe
	s_add_nc_u64 s[4:5], s[14:15], s[4:5]
	s_load_b32 s30, s[4:5], 0x0
.LBB0_4:
	s_and_b32 s4, ttmp7, 0xffff
	v_mbcnt_lo_u32_b32 v99, -1, 0
	s_wait_alu 0xfffe
	s_lshl_b32 s10, s4, 6
	s_wait_kmcnt 0x0
	s_wait_alu 0xfffe
	s_cmp_lt_i32 s10, s30
	s_cbranch_scc1 .LBB0_7
; %bb.5:
	v_mbcnt_lo_u32_b32 v16, -1, 0
	v_mov_b32_e32 v101, 32
	s_delay_alu instid0(VALU_DEP_2)
	v_xor_b32_e32 v105, 16, v16
	v_xor_b32_e32 v106, 8, v16
	;; [unrolled: 1-line block ×5, first 2 shown]
	s_mov_b32 s29, 0
	s_cbranch_execz .LBB0_8
; %bb.6:
	v_dual_mov_b32 v0, 0xfeffffff :: v_dual_mov_b32 v145, 0
	v_dual_mov_b32 v38, 0 :: v_dual_mov_b32 v37, 0
	;; [unrolled: 1-line block ×3, first 2 shown]
	s_delay_alu instid0(VALU_DEP_3)
	v_dual_mov_b32 v1, v0 :: v_dual_mov_b32 v2, v0
	v_dual_mov_b32 v3, v0 :: v_dual_mov_b32 v4, v0
	;; [unrolled: 1-line block ×20, first 2 shown]
	v_dual_mov_b32 v132, 0 :: v_dual_lshlrev_b32 v61, 1, v96
	v_mov_b32_e32 v130, 0
	s_branch .LBB0_11
.LBB0_7:
                                        ; implicit-def: $vgpr16
                                        ; implicit-def: $vgpr101
                                        ; implicit-def: $vgpr105
                                        ; implicit-def: $vgpr106
                                        ; implicit-def: $vgpr103
                                        ; implicit-def: $vgpr104
                                        ; implicit-def: $vgpr102
	s_mov_b32 s29, 0
.LBB0_8:
	s_mul_f32 s5, s36, 0x4f7ffffe
	s_clause 0x1
	s_load_b128 s[24:27], s[0:1], 0x98
	s_load_b64 s[40:41], s[0:1], 0x8c
	s_sub_co_i32 s11, 0, s3
	s_abs_i32 s36, s2
	s_cvt_u32_f32 s5, s5
	s_mov_b32 s15, s37
	s_ashr_i32 s38, s2, 31
	s_ashr_i32 s33, s33, 31
	s_wait_alu 0xfffe
	s_mul_i32 s11, s11, s5
	v_lshrrev_b32_e32 v3, 3, v96
	s_wait_alu 0xfffe
	s_mul_hi_u32 s11, s5, s11
	v_add3_u32 v11, s31, v97, 1
	s_wait_alu 0xfffe
	s_add_co_i32 s14, s5, s11
	s_xor_b32 s11, s38, s33
	s_mul_u64 s[14:15], s[36:37], s[14:15]
	s_ashr_i32 s5, s39, 1
	s_mul_i32 s33, s15, s3
	s_add_co_i32 s37, s15, 1
	s_sub_co_i32 s33, s36, s33
	v_lshl_add_u32 v12, v1, 2, v3
	s_wait_kmcnt 0x0
	s_ashr_i32 s14, s26, 2
	s_ashr_i32 s26, s40, 2
	s_sub_co_i32 s36, s33, s3
	s_cmp_ge_u32 s33, s3
	v_mul_hi_u32 v1, s20, v11
	s_cselect_b32 s15, s37, s15
	s_cselect_b32 s33, s36, s33
	s_add_co_i32 s36, s15, 1
	s_cmp_ge_u32 s33, s3
	s_wait_alu 0xfffe
	v_mul_lo_u32 v3, s26, v12
	s_cselect_b32 s3, s36, s15
	s_mul_u64 s[24:25], s[24:25], s[28:29]
	s_wait_alu 0xfffe
	s_xor_b32 s3, s3, s11
	v_dual_mov_b32 v134, 0 :: v_dual_add_nc_u32 v1, v11, v1
	s_wait_alu 0xfffe
	s_sub_co_i32 s3, s3, s11
	s_add_nc_u64 s[6:7], s[6:7], s[24:25]
	s_wait_alu 0xfffe
	s_mul_i32 s38, s3, s41
	s_mul_i32 s24, s3, s27
	s_lshl_b32 s3, s26, 4
	v_lshrrev_b32_e32 v1, s21, v1
	s_wait_alu 0xfffe
	v_dual_mov_b32 v136, 0 :: v_dual_add_nc_u32 v5, s3, v3
	v_dual_mov_b32 v130, 0 :: v_dual_lshlrev_b32 v107, 2, v96
	s_delay_alu instid0(VALU_DEP_3) | instskip(SKIP_1) | instid1(VALU_DEP_4)
	v_mul_lo_u32 v14, v1, s22
	v_mul_lo_u32 v1, s14, v12
	v_dual_mov_b32 v138, 0 :: v_dual_add_nc_u32 v7, s3, v5
	s_delay_alu instid0(VALU_DEP_4) | instskip(SKIP_2) | instid1(VALU_DEP_3)
	v_and_b32_e32 v17, 28, v107
	s_load_b64 s[42:43], s[0:1], 0xa8
	v_dual_mov_b32 v131, 0 :: v_dual_add_nc_u32 v112, 0x4400, v2
	v_dual_mov_b32 v142, 0 :: v_dual_add_nc_u32 v9, s3, v7
	s_lshl_b32 s3, s14, 4
	v_sub_nc_u32_e32 v14, v11, v14
	s_wait_alu 0xfffe
	v_add_nc_u32_e32 v11, s3, v1
	v_mul_lo_u32 v114, v0, s5
	v_dual_mov_b32 v24, 0 :: v_dual_add_nc_u32 v117, 0x2400, v2
	v_ashrrev_i32_e32 v2, 31, v1
	v_dual_mov_b32 v0, 0xfeffffff :: v_dual_lshlrev_b32 v13, 2, v17
	v_mov_b32_e32 v132, 0
	v_ashrrev_i32_e32 v4, 31, v3
	s_delay_alu instid0(VALU_DEP_4)
	v_lshlrev_b64_e32 v[72:73], 2, v[1:2]
	v_mov_b32_e32 v2, 0xfeffffff
	v_mad_u32_u24 v108, 0x90, v12, v13
	v_lshl_or_b32 v116, v12, 7, v13
	v_add_nc_u32_e32 v13, s3, v11
	v_ashrrev_i32_e32 v6, 31, v5
	v_lshlrev_b64_e32 v[64:65], 2, v[3:4]
	v_mov_b32_e32 v4, 0xfeffffff
	v_ashrrev_i32_e32 v8, 31, v7
	v_add_nc_u32_e32 v15, s3, v13
	v_ashrrev_i32_e32 v10, 31, v9
	v_mul_lo_u32 v115, v14, s5
	v_ashrrev_i32_e32 v12, 31, v11
	v_ashrrev_i32_e32 v14, 31, v13
	v_lshlrev_b64_e32 v[66:67], 2, v[5:6]
	v_mov_b32_e32 v6, 0xfeffffff
	v_ashrrev_i32_e32 v16, 31, v15
	v_dual_mov_b32 v133, 0 :: v_dual_lshlrev_b32 v18, 4, v96
	s_wait_kmcnt 0x0
	s_mul_u64 s[36:37], s[42:43], s[28:29]
	v_lshlrev_b64_e32 v[68:69], 2, v[7:8]
	v_lshlrev_b64_e32 v[70:71], 2, v[9:10]
	;; [unrolled: 1-line block ×5, first 2 shown]
	v_dual_mov_b32 v140, 0 :: v_dual_add_nc_u32 v109, 0x900, v108
	v_dual_mov_b32 v101, 32 :: v_dual_add_nc_u32 v110, 0x1200, v108
	;; [unrolled: 1-line block ×3, first 2 shown]
	v_mul_u32_u24_e32 v113, 0x90, v96
	v_dual_mov_b32 v135, 0 :: v_dual_add_nc_u32 v118, 0x800, v116
	v_dual_mov_b32 v26, 0 :: v_dual_add_nc_u32 v119, 0x1000, v116
	;; [unrolled: 1-line block ×3, first 2 shown]
	v_dual_mov_b32 v8, 0xfeffffff :: v_dual_lshlrev_b32 v121, 2, v17
	v_xor_b32_e32 v105, 16, v99
	v_xor_b32_e32 v106, 8, v99
	;; [unrolled: 1-line block ×5, first 2 shown]
	v_dual_mov_b32 v139, 0 :: v_dual_add_nc_u32 v122, v117, v18
	v_dual_mov_b32 v28, 0 :: v_dual_add_nc_u32 v123, 0x400, v107
	;; [unrolled: 1-line block ×8, first 2 shown]
	v_dual_mov_b32 v1, 0xfeffffff :: v_dual_mov_b32 v10, 0xfeffffff
	v_dual_mov_b32 v3, 0xfeffffff :: v_dual_mov_b32 v12, 0xfeffffff
	;; [unrolled: 1-line block ×6, first 2 shown]
	v_mov_b32_e32 v13, 0xfeffffff
	v_mov_b32_e32 v15, 0xfeffffff
	;; [unrolled: 1-line block ×9, first 2 shown]
	s_ashr_i32 s39, s38, 31
	s_add_nc_u64 s[8:9], s[8:9], s[36:37]
	s_ashr_i32 s25, s24, 31
	s_add_nc_u64 s[6:7], s[6:7], s[38:39]
	s_wait_alu 0xfffe
	s_add_nc_u64 s[8:9], s[8:9], s[24:25]
	s_ashr_i32 s27, s26, 31
	s_ashr_i32 s15, s14, 31
	s_add_nc_u64 s[20:21], s[0:1], 0xd0
.LBB0_9:                                ; =>This Inner Loop Header: Depth=1
	s_ashr_i32 s11, s10, 31
	v_dual_mov_b32 v176, v0 :: v_dual_mov_b32 v185, 0
	s_wait_alu 0xfffe
	s_mul_u64 s[24:25], s[10:11], s[26:27]
	v_dual_mov_b32 v160, v8 :: v_dual_mov_b32 v175, v1
	s_wait_alu 0xfffe
	s_lshl_b64 s[24:25], s[24:25], 2
	v_dual_mov_b32 v172, v25 :: v_dual_mov_b32 v171, v3
	s_wait_alu 0xfffe
	s_add_nc_u64 s[24:25], s[6:7], s[24:25]
	v_dual_mov_b32 v174, v24 :: v_dual_mov_b32 v173, v2
	s_wait_alu 0xfffe
	v_add_co_u32 v0, vcc_lo, s24, v64
	s_wait_alu 0xfffd
	v_add_co_ci_u32_e64 v1, null, s25, v65, vcc_lo
	v_dual_mov_b32 v146, v38 :: v_dual_mov_b32 v161, v31
	s_delay_alu instid0(VALU_DEP_3) | instskip(SKIP_1) | instid1(VALU_DEP_3)
	v_add_co_u32 v0, vcc_lo, v0, v121
	s_wait_alu 0xfffd
	v_add_co_ci_u32_e64 v1, null, 0, v1, vcc_lo
	v_dual_mov_b32 v148, v37 :: v_dual_mov_b32 v147, v15
	v_dual_mov_b32 v150, v36 :: v_dual_mov_b32 v149, v14
	global_load_b128 v[0:3], v[0:1], off
	v_dual_mov_b32 v152, v35 :: v_dual_mov_b32 v151, v13
	v_dual_mov_b32 v154, v34 :: v_dual_mov_b32 v153, v12
	;; [unrolled: 1-line block ×16, first 2 shown]
	v_mov_b32_e32 v182, 0
	s_wait_loadcnt 0x0
	ds_store_b128 v108, v[0:3]
	v_add_co_u32 v0, vcc_lo, s24, v66
	s_wait_alu 0xfffd
	v_add_co_ci_u32_e64 v1, null, s25, v67, vcc_lo
	s_delay_alu instid0(VALU_DEP_2) | instskip(SKIP_1) | instid1(VALU_DEP_2)
	v_add_co_u32 v0, vcc_lo, v0, v121
	s_wait_alu 0xfffd
	v_add_co_ci_u32_e64 v1, null, 0, v1, vcc_lo
	global_load_b128 v[0:3], v[0:1], off
	s_wait_loadcnt 0x0
	ds_store_b128 v109, v[0:3]
	v_add_co_u32 v0, vcc_lo, s24, v68
	s_wait_alu 0xfffd
	v_add_co_ci_u32_e64 v1, null, s25, v69, vcc_lo
	s_delay_alu instid0(VALU_DEP_2) | instskip(SKIP_1) | instid1(VALU_DEP_2)
	v_add_co_u32 v0, vcc_lo, v0, v121
	s_wait_alu 0xfffd
	v_add_co_ci_u32_e64 v1, null, 0, v1, vcc_lo
	global_load_b128 v[0:3], v[0:1], off
	s_wait_loadcnt 0x0
	ds_store_b128 v110, v[0:3]
	v_add_co_u32 v0, vcc_lo, s24, v70
	s_wait_alu 0xfffd
	v_add_co_ci_u32_e64 v1, null, s25, v71, vcc_lo
	s_mul_u64 s[24:25], s[10:11], s[14:15]
	v_add_co_u32 v0, vcc_lo, v0, v121
	s_wait_alu 0xfffd
	v_add_co_ci_u32_e64 v1, null, 0, v1, vcc_lo
	v_cmp_gt_i32_e32 vcc_lo, 32, v105
	s_wait_alu 0xfffe
	s_lshl_b64 s[24:25], s[24:25], 2
	global_load_b128 v[0:3], v[0:1], off
	s_wait_alu 0xfffe
	s_add_nc_u64 s[24:25], s[8:9], s[24:25]
	s_wait_loadcnt 0x0
	ds_store_b128 v111, v[0:3]
	s_wait_dscnt 0x0
	s_barrier_signal -1
	s_barrier_wait -1
	global_inv scope:SCOPE_SE
	ds_load_b128 v[193:196], v113
	ds_load_b128 v[0:3], v113 offset:4608
	ds_load_b128 v[197:200], v112
	ds_load_b128 v[60:63], v112 offset:128
	ds_load_b128 v[56:59], v112 offset:256
	;; [unrolled: 1-line block ×15, first 2 shown]
	s_wait_dscnt 0xf
	;;#ASMSTART
	v_dot2_f32_f16 v185, v193, v197, v185
	;;#ASMEND
	;;#ASMSTART
	v_dot2_f32_f16 v185, v194, v198, v185
	;;#ASMEND
	;;#ASMSTART
	v_dot2_f32_f16 v185, v195, v199, v185
	;;#ASMEND
	;;#ASMSTART
	v_dot2_f32_f16 v185, v196, v200, v185
	;;#ASMEND
	s_wait_dscnt 0xe
	;;#ASMSTART
	v_dot2_f32_f16 v186, v193, v60, v186
	;;#ASMEND
	;;#ASMSTART
	v_dot2_f32_f16 v186, v194, v61, v186
	;;#ASMEND
	;;#ASMSTART
	v_dot2_f32_f16 v186, v195, v62, v186
	;;#ASMEND
	;;#ASMSTART
	v_dot2_f32_f16 v186, v196, v63, v186
	;;#ASMEND
	;; [unrolled: 13-line block ×15, first 2 shown]
	s_wait_dscnt 0x0
	;;#ASMSTART
	v_dot2_f32_f16 v177, v193, v4, v177
	;;#ASMEND
	;;#ASMSTART
	v_dot2_f32_f16 v177, v194, v5, v177
	;;#ASMEND
	;;#ASMSTART
	v_dot2_f32_f16 v177, v195, v6, v177
	;;#ASMEND
	v_mov_b32_e32 v194, 0
	;;#ASMSTART
	v_dot2_f32_f16 v177, v196, v7, v177
	;;#ASMEND
	;;#ASMSTART
	v_dot2_f32_f16 v194, v0, v197, v194
	;;#ASMEND
	;;#ASMSTART
	v_dot2_f32_f16 v194, v1, v198, v194
	;;#ASMEND
	;;#ASMSTART
	v_dot2_f32_f16 v194, v2, v199, v194
	;;#ASMEND
	v_mov_b32_e32 v193, 0
	;;#ASMSTART
	v_dot2_f32_f16 v194, v3, v200, v194
	;;#ASMEND
	;; [unrolled: 13-line block ×16, first 2 shown]
	;;#ASMSTART
	v_dot2_f32_f16 v15, v0, v4, v15
	;;#ASMEND
	;;#ASMSTART
	v_dot2_f32_f16 v15, v1, v5, v15
	;;#ASMEND
	;; [unrolled: 3-line block ×4, first 2 shown]
	ds_load_b128 v[0:3], v113 offset:16
	ds_load_b128 v[4:7], v113 offset:4624
	;; [unrolled: 1-line block ×18, first 2 shown]
	s_wait_dscnt 0xf
	;;#ASMSTART
	v_dot2_f32_f16 v185, v0, v8, v185
	;;#ASMEND
	;;#ASMSTART
	v_dot2_f32_f16 v185, v1, v9, v185
	;;#ASMEND
	;;#ASMSTART
	v_dot2_f32_f16 v185, v2, v10, v185
	;;#ASMEND
	;;#ASMSTART
	v_dot2_f32_f16 v185, v3, v11, v185
	;;#ASMEND
	s_wait_dscnt 0xe
	;;#ASMSTART
	v_dot2_f32_f16 v186, v0, v195, v186
	;;#ASMEND
	;;#ASMSTART
	v_dot2_f32_f16 v186, v1, v196, v186
	;;#ASMEND
	;;#ASMSTART
	v_dot2_f32_f16 v186, v2, v197, v186
	;;#ASMEND
	;;#ASMSTART
	v_dot2_f32_f16 v186, v3, v198, v186
	;;#ASMEND
	;; [unrolled: 13-line block ×16, first 2 shown]
	;;#ASMSTART
	v_dot2_f32_f16 v194, v4, v8, v194
	;;#ASMEND
	;;#ASMSTART
	v_dot2_f32_f16 v194, v5, v9, v194
	;;#ASMEND
	;;#ASMSTART
	v_dot2_f32_f16 v194, v6, v10, v194
	;;#ASMEND
	;;#ASMSTART
	v_dot2_f32_f16 v194, v7, v11, v194
	;;#ASMEND
	;;#ASMSTART
	v_dot2_f32_f16 v193, v4, v195, v193
	;;#ASMEND
	;;#ASMSTART
	v_dot2_f32_f16 v193, v5, v196, v193
	;;#ASMEND
	;;#ASMSTART
	v_dot2_f32_f16 v193, v6, v197, v193
	;;#ASMEND
	;;#ASMSTART
	v_dot2_f32_f16 v193, v7, v198, v193
	;;#ASMEND
	;;#ASMSTART
	v_dot2_f32_f16 v60, v4, v199, v60
	;;#ASMEND
	;;#ASMSTART
	v_dot2_f32_f16 v60, v5, v200, v60
	;;#ASMEND
	;;#ASMSTART
	v_dot2_f32_f16 v60, v6, v201, v60
	;;#ASMEND
	;;#ASMSTART
	v_dot2_f32_f16 v60, v7, v202, v60
	;;#ASMEND
	;;#ASMSTART
	v_dot2_f32_f16 v56, v4, v203, v56
	;;#ASMEND
	;;#ASMSTART
	v_dot2_f32_f16 v56, v5, v204, v56
	;;#ASMEND
	;;#ASMSTART
	v_dot2_f32_f16 v56, v6, v205, v56
	;;#ASMEND
	;;#ASMSTART
	v_dot2_f32_f16 v56, v7, v206, v56
	;;#ASMEND
	;;#ASMSTART
	v_dot2_f32_f16 v52, v4, v207, v52
	;;#ASMEND
	;;#ASMSTART
	v_dot2_f32_f16 v52, v5, v208, v52
	;;#ASMEND
	;;#ASMSTART
	v_dot2_f32_f16 v52, v6, v209, v52
	;;#ASMEND
	;;#ASMSTART
	v_dot2_f32_f16 v52, v7, v210, v52
	;;#ASMEND
	;;#ASMSTART
	v_dot2_f32_f16 v48, v4, v211, v48
	;;#ASMEND
	;;#ASMSTART
	v_dot2_f32_f16 v48, v5, v212, v48
	;;#ASMEND
	;;#ASMSTART
	v_dot2_f32_f16 v48, v6, v213, v48
	;;#ASMEND
	;;#ASMSTART
	v_dot2_f32_f16 v48, v7, v214, v48
	;;#ASMEND
	;;#ASMSTART
	v_dot2_f32_f16 v44, v4, v215, v44
	;;#ASMEND
	;;#ASMSTART
	v_dot2_f32_f16 v44, v5, v216, v44
	;;#ASMEND
	;;#ASMSTART
	v_dot2_f32_f16 v44, v6, v217, v44
	;;#ASMEND
	;;#ASMSTART
	v_dot2_f32_f16 v44, v7, v218, v44
	;;#ASMEND
	;;#ASMSTART
	v_dot2_f32_f16 v40, v4, v219, v40
	;;#ASMEND
	;;#ASMSTART
	v_dot2_f32_f16 v40, v5, v220, v40
	;;#ASMEND
	;;#ASMSTART
	v_dot2_f32_f16 v40, v6, v221, v40
	;;#ASMEND
	;;#ASMSTART
	v_dot2_f32_f16 v40, v7, v222, v40
	;;#ASMEND
	;;#ASMSTART
	v_dot2_f32_f16 v36, v4, v223, v36
	;;#ASMEND
	;;#ASMSTART
	v_dot2_f32_f16 v36, v5, v224, v36
	;;#ASMEND
	;;#ASMSTART
	v_dot2_f32_f16 v36, v6, v225, v36
	;;#ASMEND
	;;#ASMSTART
	v_dot2_f32_f16 v36, v7, v226, v36
	;;#ASMEND
	;;#ASMSTART
	v_dot2_f32_f16 v32, v4, v227, v32
	;;#ASMEND
	;;#ASMSTART
	v_dot2_f32_f16 v32, v5, v228, v32
	;;#ASMEND
	;;#ASMSTART
	v_dot2_f32_f16 v32, v6, v229, v32
	;;#ASMEND
	;;#ASMSTART
	v_dot2_f32_f16 v32, v7, v230, v32
	;;#ASMEND
	;;#ASMSTART
	v_dot2_f32_f16 v28, v4, v231, v28
	;;#ASMEND
	;;#ASMSTART
	v_dot2_f32_f16 v28, v5, v232, v28
	;;#ASMEND
	;;#ASMSTART
	v_dot2_f32_f16 v28, v6, v233, v28
	;;#ASMEND
	;;#ASMSTART
	v_dot2_f32_f16 v28, v7, v234, v28
	;;#ASMEND
	;;#ASMSTART
	v_dot2_f32_f16 v24, v4, v235, v24
	;;#ASMEND
	;;#ASMSTART
	v_dot2_f32_f16 v24, v5, v236, v24
	;;#ASMEND
	;;#ASMSTART
	v_dot2_f32_f16 v24, v6, v237, v24
	;;#ASMEND
	;;#ASMSTART
	v_dot2_f32_f16 v24, v7, v238, v24
	;;#ASMEND
	;;#ASMSTART
	v_dot2_f32_f16 v20, v4, v239, v20
	;;#ASMEND
	;;#ASMSTART
	v_dot2_f32_f16 v20, v5, v240, v20
	;;#ASMEND
	;;#ASMSTART
	v_dot2_f32_f16 v20, v6, v241, v20
	;;#ASMEND
	;;#ASMSTART
	v_dot2_f32_f16 v20, v7, v242, v20
	;;#ASMEND
	;;#ASMSTART
	v_dot2_f32_f16 v16, v4, v243, v16
	;;#ASMEND
	;;#ASMSTART
	v_dot2_f32_f16 v16, v5, v244, v16
	;;#ASMEND
	;;#ASMSTART
	v_dot2_f32_f16 v16, v6, v245, v16
	;;#ASMEND
	;;#ASMSTART
	v_dot2_f32_f16 v16, v7, v246, v16
	;;#ASMEND
	;;#ASMSTART
	v_dot2_f32_f16 v14, v4, v247, v14
	;;#ASMEND
	;;#ASMSTART
	v_dot2_f32_f16 v14, v5, v248, v14
	;;#ASMEND
	;;#ASMSTART
	v_dot2_f32_f16 v14, v6, v249, v14
	;;#ASMEND
	;;#ASMSTART
	v_dot2_f32_f16 v14, v7, v250, v14
	;;#ASMEND
	;;#ASMSTART
	v_dot2_f32_f16 v15, v4, v251, v15
	;;#ASMEND
	;;#ASMSTART
	v_dot2_f32_f16 v15, v5, v252, v15
	;;#ASMEND
	;;#ASMSTART
	v_dot2_f32_f16 v15, v6, v253, v15
	;;#ASMEND
	;;#ASMSTART
	v_dot2_f32_f16 v15, v7, v254, v15
	;;#ASMEND
	ds_load_b128 v[0:3], v113 offset:32
	ds_load_b128 v[4:7], v113 offset:4640
	;; [unrolled: 1-line block ×18, first 2 shown]
	s_wait_dscnt 0xf
	;;#ASMSTART
	v_dot2_f32_f16 v185, v0, v8, v185
	;;#ASMEND
	;;#ASMSTART
	v_dot2_f32_f16 v185, v1, v9, v185
	;;#ASMEND
	;;#ASMSTART
	v_dot2_f32_f16 v185, v2, v10, v185
	;;#ASMEND
	;;#ASMSTART
	v_dot2_f32_f16 v185, v3, v11, v185
	;;#ASMEND
	s_wait_dscnt 0xe
	;;#ASMSTART
	v_dot2_f32_f16 v186, v0, v195, v186
	;;#ASMEND
	;;#ASMSTART
	v_dot2_f32_f16 v186, v1, v196, v186
	;;#ASMEND
	;;#ASMSTART
	v_dot2_f32_f16 v186, v2, v197, v186
	;;#ASMEND
	;;#ASMSTART
	v_dot2_f32_f16 v186, v3, v198, v186
	;;#ASMEND
	s_wait_dscnt 0xd
	;;#ASMSTART
	v_dot2_f32_f16 v187, v0, v199, v187
	;;#ASMEND
	;;#ASMSTART
	v_dot2_f32_f16 v187, v1, v200, v187
	;;#ASMEND
	;;#ASMSTART
	v_dot2_f32_f16 v187, v2, v201, v187
	;;#ASMEND
	;;#ASMSTART
	v_dot2_f32_f16 v187, v3, v202, v187
	;;#ASMEND
	s_wait_dscnt 0xc
	;;#ASMSTART
	v_dot2_f32_f16 v188, v0, v203, v188
	;;#ASMEND
	;;#ASMSTART
	v_dot2_f32_f16 v188, v1, v204, v188
	;;#ASMEND
	;;#ASMSTART
	v_dot2_f32_f16 v188, v2, v205, v188
	;;#ASMEND
	;;#ASMSTART
	v_dot2_f32_f16 v188, v3, v206, v188
	;;#ASMEND
	s_wait_dscnt 0xb
	;;#ASMSTART
	v_dot2_f32_f16 v189, v0, v207, v189
	;;#ASMEND
	;;#ASMSTART
	v_dot2_f32_f16 v189, v1, v208, v189
	;;#ASMEND
	;;#ASMSTART
	v_dot2_f32_f16 v189, v2, v209, v189
	;;#ASMEND
	;;#ASMSTART
	v_dot2_f32_f16 v189, v3, v210, v189
	;;#ASMEND
	s_wait_dscnt 0xa
	;;#ASMSTART
	v_dot2_f32_f16 v190, v0, v211, v190
	;;#ASMEND
	;;#ASMSTART
	v_dot2_f32_f16 v190, v1, v212, v190
	;;#ASMEND
	;;#ASMSTART
	v_dot2_f32_f16 v190, v2, v213, v190
	;;#ASMEND
	;;#ASMSTART
	v_dot2_f32_f16 v190, v3, v214, v190
	;;#ASMEND
	s_wait_dscnt 0x9
	;;#ASMSTART
	v_dot2_f32_f16 v191, v0, v215, v191
	;;#ASMEND
	;;#ASMSTART
	v_dot2_f32_f16 v191, v1, v216, v191
	;;#ASMEND
	;;#ASMSTART
	v_dot2_f32_f16 v191, v2, v217, v191
	;;#ASMEND
	;;#ASMSTART
	v_dot2_f32_f16 v191, v3, v218, v191
	;;#ASMEND
	s_wait_dscnt 0x8
	;;#ASMSTART
	v_dot2_f32_f16 v192, v0, v219, v192
	;;#ASMEND
	;;#ASMSTART
	v_dot2_f32_f16 v192, v1, v220, v192
	;;#ASMEND
	;;#ASMSTART
	v_dot2_f32_f16 v192, v2, v221, v192
	;;#ASMEND
	;;#ASMSTART
	v_dot2_f32_f16 v192, v3, v222, v192
	;;#ASMEND
	s_wait_dscnt 0x7
	;;#ASMSTART
	v_dot2_f32_f16 v184, v0, v223, v184
	;;#ASMEND
	;;#ASMSTART
	v_dot2_f32_f16 v184, v1, v224, v184
	;;#ASMEND
	;;#ASMSTART
	v_dot2_f32_f16 v184, v2, v225, v184
	;;#ASMEND
	;;#ASMSTART
	v_dot2_f32_f16 v184, v3, v226, v184
	;;#ASMEND
	s_wait_dscnt 0x6
	;;#ASMSTART
	v_dot2_f32_f16 v178, v0, v227, v178
	;;#ASMEND
	;;#ASMSTART
	v_dot2_f32_f16 v178, v1, v228, v178
	;;#ASMEND
	;;#ASMSTART
	v_dot2_f32_f16 v178, v2, v229, v178
	;;#ASMEND
	;;#ASMSTART
	v_dot2_f32_f16 v178, v3, v230, v178
	;;#ASMEND
	s_wait_dscnt 0x5
	;;#ASMSTART
	v_dot2_f32_f16 v179, v0, v231, v179
	;;#ASMEND
	;;#ASMSTART
	v_dot2_f32_f16 v179, v1, v232, v179
	;;#ASMEND
	;;#ASMSTART
	v_dot2_f32_f16 v179, v2, v233, v179
	;;#ASMEND
	;;#ASMSTART
	v_dot2_f32_f16 v179, v3, v234, v179
	;;#ASMEND
	s_wait_dscnt 0x4
	;;#ASMSTART
	v_dot2_f32_f16 v180, v0, v235, v180
	;;#ASMEND
	;;#ASMSTART
	v_dot2_f32_f16 v180, v1, v236, v180
	;;#ASMEND
	;;#ASMSTART
	v_dot2_f32_f16 v180, v2, v237, v180
	;;#ASMEND
	;;#ASMSTART
	v_dot2_f32_f16 v180, v3, v238, v180
	;;#ASMEND
	s_wait_dscnt 0x3
	;;#ASMSTART
	v_dot2_f32_f16 v181, v0, v239, v181
	;;#ASMEND
	;;#ASMSTART
	v_dot2_f32_f16 v181, v1, v240, v181
	;;#ASMEND
	;;#ASMSTART
	v_dot2_f32_f16 v181, v2, v241, v181
	;;#ASMEND
	;;#ASMSTART
	v_dot2_f32_f16 v181, v3, v242, v181
	;;#ASMEND
	s_wait_dscnt 0x2
	;;#ASMSTART
	v_dot2_f32_f16 v182, v0, v243, v182
	;;#ASMEND
	;;#ASMSTART
	v_dot2_f32_f16 v182, v1, v244, v182
	;;#ASMEND
	;;#ASMSTART
	v_dot2_f32_f16 v182, v2, v245, v182
	;;#ASMEND
	;;#ASMSTART
	v_dot2_f32_f16 v182, v3, v246, v182
	;;#ASMEND
	s_wait_dscnt 0x1
	;;#ASMSTART
	v_dot2_f32_f16 v183, v0, v247, v183
	;;#ASMEND
	;;#ASMSTART
	v_dot2_f32_f16 v183, v1, v248, v183
	;;#ASMEND
	;;#ASMSTART
	v_dot2_f32_f16 v183, v2, v249, v183
	;;#ASMEND
	;;#ASMSTART
	v_dot2_f32_f16 v183, v3, v250, v183
	;;#ASMEND
	s_wait_dscnt 0x0
	;;#ASMSTART
	v_dot2_f32_f16 v177, v0, v251, v177
	;;#ASMEND
	;;#ASMSTART
	v_dot2_f32_f16 v177, v1, v252, v177
	;;#ASMEND
	;;#ASMSTART
	v_dot2_f32_f16 v177, v2, v253, v177
	;;#ASMEND
	;;#ASMSTART
	v_dot2_f32_f16 v177, v3, v254, v177
	;;#ASMEND
	;;#ASMSTART
	v_dot2_f32_f16 v194, v4, v8, v194
	;;#ASMEND
	;;#ASMSTART
	v_dot2_f32_f16 v194, v5, v9, v194
	;;#ASMEND
	;; [unrolled: 3-line block ×64, first 2 shown]
	ds_load_b128 v[0:3], v113 offset:48
	ds_load_b128 v[4:7], v113 offset:4656
	;; [unrolled: 1-line block ×18, first 2 shown]
	s_wait_dscnt 0xf
	;;#ASMSTART
	v_dot2_f32_f16 v185, v0, v8, v185
	;;#ASMEND
	;;#ASMSTART
	v_dot2_f32_f16 v185, v1, v9, v185
	;;#ASMEND
	;;#ASMSTART
	v_dot2_f32_f16 v185, v2, v10, v185
	;;#ASMEND
	;;#ASMSTART
	v_dot2_f32_f16 v185, v3, v11, v185
	;;#ASMEND
	s_wait_dscnt 0xe
	;;#ASMSTART
	v_dot2_f32_f16 v186, v0, v195, v186
	;;#ASMEND
	;;#ASMSTART
	v_dot2_f32_f16 v186, v1, v196, v186
	;;#ASMEND
	;;#ASMSTART
	v_dot2_f32_f16 v186, v2, v197, v186
	;;#ASMEND
	;;#ASMSTART
	v_dot2_f32_f16 v186, v3, v198, v186
	;;#ASMEND
	;; [unrolled: 13-line block ×16, first 2 shown]
	;;#ASMSTART
	v_dot2_f32_f16 v194, v4, v8, v194
	;;#ASMEND
	;;#ASMSTART
	v_dot2_f32_f16 v194, v5, v9, v194
	;;#ASMEND
	;; [unrolled: 3-line block ×64, first 2 shown]
	ds_load_b128 v[0:3], v113 offset:64
	ds_load_b128 v[4:7], v113 offset:4672
	;; [unrolled: 1-line block ×18, first 2 shown]
	s_wait_dscnt 0xf
	;;#ASMSTART
	v_dot2_f32_f16 v185, v0, v8, v185
	;;#ASMEND
	;;#ASMSTART
	v_dot2_f32_f16 v185, v1, v9, v185
	;;#ASMEND
	;;#ASMSTART
	v_dot2_f32_f16 v185, v2, v10, v185
	;;#ASMEND
	;;#ASMSTART
	v_dot2_f32_f16 v185, v3, v11, v185
	;;#ASMEND
	s_wait_dscnt 0xe
	;;#ASMSTART
	v_dot2_f32_f16 v186, v0, v195, v186
	;;#ASMEND
	;;#ASMSTART
	v_dot2_f32_f16 v186, v1, v196, v186
	;;#ASMEND
	;;#ASMSTART
	v_dot2_f32_f16 v186, v2, v197, v186
	;;#ASMEND
	;;#ASMSTART
	v_dot2_f32_f16 v186, v3, v198, v186
	;;#ASMEND
	;; [unrolled: 13-line block ×16, first 2 shown]
	;;#ASMSTART
	v_dot2_f32_f16 v194, v4, v8, v194
	;;#ASMEND
	;;#ASMSTART
	v_dot2_f32_f16 v194, v5, v9, v194
	;;#ASMEND
	;; [unrolled: 3-line block ×64, first 2 shown]
	ds_load_b128 v[0:3], v113 offset:80
	ds_load_b128 v[4:7], v113 offset:4688
	;; [unrolled: 1-line block ×18, first 2 shown]
	s_wait_dscnt 0xf
	;;#ASMSTART
	v_dot2_f32_f16 v185, v0, v8, v185
	;;#ASMEND
	;;#ASMSTART
	v_dot2_f32_f16 v185, v1, v9, v185
	;;#ASMEND
	;;#ASMSTART
	v_dot2_f32_f16 v185, v2, v10, v185
	;;#ASMEND
	;;#ASMSTART
	v_dot2_f32_f16 v185, v3, v11, v185
	;;#ASMEND
	s_wait_dscnt 0xe
	;;#ASMSTART
	v_dot2_f32_f16 v186, v0, v195, v186
	;;#ASMEND
	;;#ASMSTART
	v_dot2_f32_f16 v186, v1, v196, v186
	;;#ASMEND
	;;#ASMSTART
	v_dot2_f32_f16 v186, v2, v197, v186
	;;#ASMEND
	;;#ASMSTART
	v_dot2_f32_f16 v186, v3, v198, v186
	;;#ASMEND
	;; [unrolled: 13-line block ×16, first 2 shown]
	;;#ASMSTART
	v_dot2_f32_f16 v194, v4, v8, v194
	;;#ASMEND
	;;#ASMSTART
	v_dot2_f32_f16 v194, v5, v9, v194
	;;#ASMEND
	;; [unrolled: 3-line block ×64, first 2 shown]
	ds_load_b128 v[0:3], v113 offset:96
	ds_load_b128 v[4:7], v113 offset:4704
	ds_load_b128 v[8:11], v112 offset:96
	ds_load_b128 v[195:198], v112 offset:224
	ds_load_b128 v[199:202], v112 offset:352
	ds_load_b128 v[203:206], v112 offset:480
	ds_load_b128 v[207:210], v112 offset:608
	ds_load_b128 v[211:214], v112 offset:736
	ds_load_b128 v[215:218], v112 offset:864
	ds_load_b128 v[219:222], v112 offset:992
	ds_load_b128 v[223:226], v112 offset:1120
	ds_load_b128 v[227:230], v112 offset:1248
	ds_load_b128 v[231:234], v112 offset:1376
	ds_load_b128 v[235:238], v112 offset:1504
	ds_load_b128 v[239:242], v112 offset:1632
	ds_load_b128 v[243:246], v112 offset:1760
	ds_load_b128 v[247:250], v112 offset:1888
	ds_load_b128 v[251:254], v112 offset:2016
	s_wait_dscnt 0xf
	;;#ASMSTART
	v_dot2_f32_f16 v185, v0, v8, v185
	;;#ASMEND
	;;#ASMSTART
	v_dot2_f32_f16 v185, v1, v9, v185
	;;#ASMEND
	;;#ASMSTART
	v_dot2_f32_f16 v185, v2, v10, v185
	;;#ASMEND
	;;#ASMSTART
	v_dot2_f32_f16 v185, v3, v11, v185
	;;#ASMEND
	s_wait_dscnt 0xe
	;;#ASMSTART
	v_dot2_f32_f16 v186, v0, v195, v186
	;;#ASMEND
	;;#ASMSTART
	v_dot2_f32_f16 v186, v1, v196, v186
	;;#ASMEND
	;;#ASMSTART
	v_dot2_f32_f16 v186, v2, v197, v186
	;;#ASMEND
	;;#ASMSTART
	v_dot2_f32_f16 v186, v3, v198, v186
	;;#ASMEND
	;; [unrolled: 13-line block ×16, first 2 shown]
	;;#ASMSTART
	v_dot2_f32_f16 v194, v4, v8, v194
	;;#ASMEND
	;;#ASMSTART
	v_dot2_f32_f16 v194, v5, v9, v194
	;;#ASMEND
	;; [unrolled: 3-line block ×64, first 2 shown]
	ds_load_b128 v[0:3], v113 offset:112
	ds_load_b128 v[4:7], v113 offset:4720
	;; [unrolled: 1-line block ×18, first 2 shown]
	s_wait_dscnt 0xf
	;;#ASMSTART
	v_dot2_f32_f16 v185, v0, v8, v185
	;;#ASMEND
	;;#ASMSTART
	v_dot2_f32_f16 v185, v1, v9, v185
	;;#ASMEND
	;;#ASMSTART
	v_dot2_f32_f16 v185, v2, v10, v185
	;;#ASMEND
	;;#ASMSTART
	v_dot2_f32_f16 v185, v3, v11, v185
	;;#ASMEND
	s_wait_dscnt 0xe
	;;#ASMSTART
	v_dot2_f32_f16 v186, v0, v195, v186
	;;#ASMEND
	;;#ASMSTART
	v_dot2_f32_f16 v186, v1, v196, v186
	;;#ASMEND
	;;#ASMSTART
	v_dot2_f32_f16 v186, v2, v197, v186
	;;#ASMEND
	;;#ASMSTART
	v_dot2_f32_f16 v186, v3, v198, v186
	;;#ASMEND
	;; [unrolled: 13-line block ×16, first 2 shown]
	;;#ASMSTART
	v_dot2_f32_f16 v194, v4, v8, v194
	;;#ASMEND
	;;#ASMSTART
	v_dot2_f32_f16 v194, v5, v9, v194
	;;#ASMEND
	;; [unrolled: 3-line block ×10, first 2 shown]
	s_wait_alu 0xfffd
	v_cndmask_b32_e32 v0, v99, v105, vcc_lo
	v_cmp_gt_i32_e32 vcc_lo, 32, v106
	;;#ASMSTART
	v_dot2_f32_f16 v60, v6, v201, v60
	;;#ASMEND
	;;#ASMSTART
	v_dot2_f32_f16 v60, v7, v202, v60
	;;#ASMEND
	;; [unrolled: 3-line block ×6, first 2 shown]
	s_wait_alu 0xfffd
	v_dual_cndmask_b32 v0, v99, v106 :: v_dual_lshlrev_b32 v39, 2, v0
	v_cmp_gt_i32_e32 vcc_lo, 32, v103
	;;#ASMSTART
	v_dot2_f32_f16 v52, v4, v207, v52
	;;#ASMEND
	;;#ASMSTART
	v_dot2_f32_f16 v52, v5, v208, v52
	;;#ASMEND
	;; [unrolled: 3-line block ×3, first 2 shown]
	s_wait_alu 0xfffd
	v_dual_cndmask_b32 v0, v99, v103 :: v_dual_lshlrev_b32 v51, 2, v0
	v_cmp_gt_i32_e32 vcc_lo, 32, v104
	;;#ASMSTART
	v_dot2_f32_f16 v52, v7, v210, v52
	;;#ASMEND
	;;#ASMSTART
	v_dot2_f32_f16 v48, v4, v211, v48
	;;#ASMEND
	;; [unrolled: 3-line block ×3, first 2 shown]
	v_lshlrev_b32_e32 v53, 2, v0
	s_wait_alu 0xfffd
	v_cndmask_b32_e32 v0, v99, v104, vcc_lo
	v_cmp_gt_i32_e32 vcc_lo, 32, v102
	;;#ASMSTART
	v_dot2_f32_f16 v48, v6, v213, v48
	;;#ASMEND
	;;#ASMSTART
	v_dot2_f32_f16 v48, v7, v214, v48
	;;#ASMEND
	;; [unrolled: 3-line block ×5, first 2 shown]
	v_add_nc_u32_e32 v8, s10, v96
	s_wait_alu 0xfffd
	v_dual_cndmask_b32 v0, v99, v102 :: v_dual_lshlrev_b32 v55, 2, v0
	;;#ASMSTART
	v_dot2_f32_f16 v44, v7, v218, v44
	;;#ASMEND
	;;#ASMSTART
	v_dot2_f32_f16 v40, v4, v219, v40
	;;#ASMEND
	;; [unrolled: 3-line block ×7, first 2 shown]
	v_lshlrev_b32_e32 v57, 2, v0
	v_add_nc_u32_e32 v0, v8, v114
	;;#ASMSTART
	v_dot2_f32_f16 v36, v6, v225, v36
	;;#ASMEND
	;;#ASMSTART
	v_dot2_f32_f16 v36, v7, v226, v36
	;;#ASMEND
	;; [unrolled: 3-line block ×7, first 2 shown]
	v_ashrrev_i32_e32 v1, 31, v0
	;;#ASMSTART
	v_dot2_f32_f16 v28, v5, v232, v28
	;;#ASMEND
	;;#ASMSTART
	v_dot2_f32_f16 v28, v6, v233, v28
	;;#ASMEND
	;; [unrolled: 3-line block ×6, first 2 shown]
	v_lshlrev_b64_e32 v[0:1], 1, v[0:1]
	;;#ASMSTART
	v_dot2_f32_f16 v24, v7, v238, v24
	;;#ASMEND
	;;#ASMSTART
	v_dot2_f32_f16 v20, v4, v239, v20
	;;#ASMEND
	;;#ASMSTART
	v_dot2_f32_f16 v20, v5, v240, v20
	;;#ASMEND
	;;#ASMSTART
	v_dot2_f32_f16 v20, v6, v241, v20
	;;#ASMEND
	;;#ASMSTART
	v_dot2_f32_f16 v20, v7, v242, v20
	;;#ASMEND
	;;#ASMSTART
	v_dot2_f32_f16 v16, v4, v243, v16
	;;#ASMEND
	;;#ASMSTART
	v_dot2_f32_f16 v16, v5, v244, v16
	;;#ASMEND
	;;#ASMSTART
	v_dot2_f32_f16 v16, v6, v245, v16
	;;#ASMEND
	v_add_co_u32 v0, vcc_lo, s34, v0
	;;#ASMSTART
	v_dot2_f32_f16 v16, v7, v246, v16
	;;#ASMEND
	;;#ASMSTART
	v_dot2_f32_f16 v14, v4, v247, v14
	;;#ASMEND
	;; [unrolled: 3-line block ×3, first 2 shown]
	s_wait_alu 0xfffd
	v_add_co_ci_u32_e64 v1, null, s35, v1, vcc_lo
	;;#ASMSTART
	v_dot2_f32_f16 v14, v6, v249, v14
	;;#ASMEND
	;;#ASMSTART
	v_dot2_f32_f16 v14, v7, v250, v14
	;;#ASMEND
	;; [unrolled: 3-line block ×6, first 2 shown]
	s_clause 0x1
	global_load_u16 v2, v[0:1], off
	global_load_u16 v0, v[0:1], off offset:64
	s_wait_loadcnt 0x1
	v_cvt_f32_f16_e32 v7, v2
	s_wait_loadcnt 0x0
	v_cvt_f32_f16_e32 v9, v0
	s_delay_alu instid0(VALU_DEP_2) | instskip(NEXT) | instid1(VALU_DEP_2)
	v_add_f32_e32 v50, v190, v7
	v_add_f32_e32 v59, v194, v9
	;; [unrolled: 1-line block ×5, first 2 shown]
	s_delay_alu instid0(VALU_DEP_4) | instskip(NEXT) | instid1(VALU_DEP_4)
	v_dual_add_f32 v25, v193, v9 :: v_dual_add_f32 v0, 0x40051340, v59
	v_add_f32_e32 v3, 0x40051340, v26
	s_delay_alu instid0(VALU_DEP_4)
	v_add_f32_e32 v2, 0x40051340, v58
	v_add_f32_e32 v42, v188, v7
	;; [unrolled: 1-line block ×5, first 2 shown]
	v_max3_num_f32 v0, v176, v2, v0
	v_add_f32_e32 v2, 0x40051340, v25
	v_add_f32_e32 v29, v48, v9
	;; [unrolled: 1-line block ×4, first 2 shown]
	ds_bpermute_b32 v1, v39, v0
	v_add_f32_e32 v46, v192, v7
	v_add_f32_e32 v54, v189, v7
	;; [unrolled: 1-line block ×4, first 2 shown]
	v_add_nc_u32_e32 v8, v8, v115
	v_add_f32_e32 v45, v191, v7
	v_add_f32_e32 v7, 0x40051340, v46
	;; [unrolled: 1-line block ×3, first 2 shown]
	s_delay_alu instid0(VALU_DEP_1) | instskip(NEXT) | instid1(VALU_DEP_1)
	v_add_f32_e32 v9, 0x40051340, v31
	v_max3_num_f32 v7, v163, v7, v9
	s_wait_dscnt 0x0
	v_max_num_f32_e32 v1, v1, v1
	ds_bpermute_b32 v9, v39, v7
	v_max_num_f32_e32 v0, v0, v1
	ds_bpermute_b32 v1, v51, v0
	s_wait_dscnt 0x1
	v_max_num_f32_e32 v9, v9, v9
	s_delay_alu instid0(VALU_DEP_1)
	v_max_num_f32_e32 v7, v7, v9
	s_wait_dscnt 0x0
	v_max_num_f32_e32 v1, v1, v1
	ds_bpermute_b32 v9, v51, v7
	v_max_num_f32_e32 v0, v0, v1
	ds_bpermute_b32 v1, v53, v0
	s_wait_dscnt 0x1
	v_max_num_f32_e32 v9, v9, v9
	s_delay_alu instid0(VALU_DEP_1)
	v_max_num_f32_e32 v7, v7, v9
	;; [unrolled: 9-line block ×3, first 2 shown]
	s_wait_dscnt 0x0
	v_max_num_f32_e32 v1, v1, v1
	ds_bpermute_b32 v9, v55, v7
	v_add_f32_e32 v10, 0x40051340, v30
	v_max_num_f32_e32 v0, v0, v1
	ds_bpermute_b32 v1, v57, v0
	s_wait_dscnt 0x1
	v_max_num_f32_e32 v9, v9, v9
	s_delay_alu instid0(VALU_DEP_1)
	v_max_num_f32_e32 v7, v7, v9
	s_wait_dscnt 0x0
	v_max_num_f32_e32 v1, v1, v1
	ds_bpermute_b32 v9, v57, v7
	v_max_num_f32_e32 v0, v0, v1
	v_add_f32_e32 v1, 0x40051340, v49
	s_delay_alu instid0(VALU_DEP_1) | instskip(SKIP_3) | instid1(VALU_DEP_1)
	v_max3_num_f32 v1, v175, v1, v2
	ds_bpermute_b32 v2, v39, v1
	s_wait_dscnt 0x1
	v_max_num_f32_e32 v9, v9, v9
	v_max_num_f32_e32 v7, v7, v9
	v_ashrrev_i32_e32 v9, 31, v8
	s_delay_alu instid0(VALU_DEP_2) | instskip(NEXT) | instid1(VALU_DEP_2)
	v_sub_f32_e32 v31, v31, v7
	v_lshlrev_b64_e32 v[8:9], 1, v[8:9]
	s_wait_dscnt 0x0
	v_max_num_f32_e32 v2, v2, v2
	s_delay_alu instid0(VALU_DEP_2) | instskip(NEXT) | instid1(VALU_DEP_2)
	v_add_co_u32 v8, vcc_lo, s34, v8
	v_max_num_f32_e32 v1, v1, v2
	s_wait_alu 0xfffd
	v_add_co_ci_u32_e64 v9, null, s35, v9, vcc_lo
	ds_bpermute_b32 v2, v51, v1
	s_wait_dscnt 0x0
	v_max_num_f32_e32 v2, v2, v2
	s_delay_alu instid0(VALU_DEP_1) | instskip(SKIP_3) | instid1(VALU_DEP_1)
	v_max_num_f32_e32 v1, v1, v2
	ds_bpermute_b32 v2, v53, v1
	s_wait_dscnt 0x0
	v_max_num_f32_e32 v2, v2, v2
	v_max_num_f32_e32 v1, v1, v2
	ds_bpermute_b32 v2, v55, v1
	s_wait_dscnt 0x0
	v_max_num_f32_e32 v2, v2, v2
	s_delay_alu instid0(VALU_DEP_1) | instskip(SKIP_3) | instid1(VALU_DEP_1)
	v_max_num_f32_e32 v1, v1, v2
	ds_bpermute_b32 v2, v57, v1
	s_wait_dscnt 0x0
	v_max_num_f32_e32 v2, v2, v2
	v_dual_max_num_f32 v1, v1, v2 :: v_dual_add_f32 v2, 0x40051340, v41
	s_delay_alu instid0(VALU_DEP_1) | instskip(NEXT) | instid1(VALU_DEP_2)
	v_sub_f32_e32 v25, v25, v1
	v_max3_num_f32 v2, v173, v2, v3
	ds_bpermute_b32 v3, v39, v2
	s_wait_dscnt 0x0
	v_max_num_f32_e32 v3, v3, v3
	s_delay_alu instid0(VALU_DEP_1) | instskip(SKIP_3) | instid1(VALU_DEP_1)
	v_max_num_f32_e32 v2, v2, v3
	ds_bpermute_b32 v3, v51, v2
	s_wait_dscnt 0x0
	v_max_num_f32_e32 v3, v3, v3
	v_max_num_f32_e32 v2, v2, v3
	ds_bpermute_b32 v3, v53, v2
	s_wait_dscnt 0x0
	v_max_num_f32_e32 v3, v3, v3
	s_delay_alu instid0(VALU_DEP_1) | instskip(SKIP_3) | instid1(VALU_DEP_1)
	v_max_num_f32_e32 v2, v2, v3
	ds_bpermute_b32 v3, v55, v2
	s_wait_dscnt 0x0
	v_max_num_f32_e32 v3, v3, v3
	v_max_num_f32_e32 v2, v2, v3
	ds_bpermute_b32 v3, v57, v2
	s_wait_dscnt 0x0
	v_max_num_f32_e32 v3, v3, v3
	s_delay_alu instid0(VALU_DEP_1) | instskip(NEXT) | instid1(VALU_DEP_1)
	v_dual_max_num_f32 v2, v2, v3 :: v_dual_add_f32 v3, 0x40051340, v42
	v_max3_num_f32 v3, v171, v3, v4
	ds_bpermute_b32 v4, v39, v3
	s_wait_dscnt 0x0
	v_max_num_f32_e32 v4, v4, v4
	s_delay_alu instid0(VALU_DEP_1) | instskip(SKIP_3) | instid1(VALU_DEP_1)
	v_max_num_f32_e32 v3, v3, v4
	ds_bpermute_b32 v4, v51, v3
	s_wait_dscnt 0x0
	v_max_num_f32_e32 v4, v4, v4
	v_max_num_f32_e32 v3, v3, v4
	ds_bpermute_b32 v4, v53, v3
	s_wait_dscnt 0x0
	v_max_num_f32_e32 v4, v4, v4
	s_delay_alu instid0(VALU_DEP_1) | instskip(SKIP_3) | instid1(VALU_DEP_1)
	v_max_num_f32_e32 v3, v3, v4
	ds_bpermute_b32 v4, v55, v3
	s_wait_dscnt 0x0
	v_max_num_f32_e32 v4, v4, v4
	v_max_num_f32_e32 v3, v3, v4
	ds_bpermute_b32 v4, v57, v3
	s_wait_dscnt 0x0
	v_max_num_f32_e32 v4, v4, v4
	s_delay_alu instid0(VALU_DEP_1) | instskip(NEXT) | instid1(VALU_DEP_1)
	v_dual_max_num_f32 v3, v3, v4 :: v_dual_add_f32 v4, 0x40051340, v54
	v_sub_f32_e32 v27, v27, v3
	s_delay_alu instid0(VALU_DEP_2) | instskip(SKIP_3) | instid1(VALU_DEP_1)
	v_max3_num_f32 v4, v169, v4, v5
	ds_bpermute_b32 v5, v39, v4
	s_wait_dscnt 0x0
	v_max_num_f32_e32 v5, v5, v5
	v_max_num_f32_e32 v4, v4, v5
	ds_bpermute_b32 v5, v51, v4
	s_wait_dscnt 0x0
	v_max_num_f32_e32 v5, v5, v5
	s_delay_alu instid0(VALU_DEP_1) | instskip(SKIP_3) | instid1(VALU_DEP_1)
	v_max_num_f32_e32 v4, v4, v5
	ds_bpermute_b32 v5, v53, v4
	s_wait_dscnt 0x0
	v_max_num_f32_e32 v5, v5, v5
	v_max_num_f32_e32 v4, v4, v5
	ds_bpermute_b32 v5, v55, v4
	s_wait_dscnt 0x0
	v_max_num_f32_e32 v5, v5, v5
	s_delay_alu instid0(VALU_DEP_1) | instskip(SKIP_3) | instid1(VALU_DEP_1)
	v_max_num_f32_e32 v4, v4, v5
	ds_bpermute_b32 v5, v57, v4
	s_wait_dscnt 0x0
	v_max_num_f32_e32 v5, v5, v5
	v_dual_sub_f32 v41, v41, v2 :: v_dual_max_num_f32 v4, v4, v5
	v_add_f32_e32 v5, 0x40051340, v50
	v_sub_f32_e32 v26, v26, v2
	s_delay_alu instid0(VALU_DEP_2) | instskip(SKIP_3) | instid1(VALU_DEP_1)
	v_max3_num_f32 v5, v167, v5, v6
	ds_bpermute_b32 v6, v39, v5
	s_wait_dscnt 0x0
	v_max_num_f32_e32 v6, v6, v6
	v_max_num_f32_e32 v5, v5, v6
	ds_bpermute_b32 v6, v51, v5
	s_wait_dscnt 0x0
	v_max_num_f32_e32 v6, v6, v6
	s_delay_alu instid0(VALU_DEP_1) | instskip(SKIP_3) | instid1(VALU_DEP_1)
	v_max_num_f32_e32 v5, v5, v6
	ds_bpermute_b32 v6, v53, v5
	s_wait_dscnt 0x0
	v_max_num_f32_e32 v6, v6, v6
	v_max_num_f32_e32 v5, v5, v6
	ds_bpermute_b32 v6, v55, v5
	s_wait_dscnt 0x0
	v_max_num_f32_e32 v6, v6, v6
	s_delay_alu instid0(VALU_DEP_1) | instskip(SKIP_3) | instid1(VALU_DEP_1)
	v_max_num_f32_e32 v5, v5, v6
	ds_bpermute_b32 v6, v57, v5
	s_wait_dscnt 0x0
	v_max_num_f32_e32 v6, v6, v6
	v_dual_max_num_f32 v5, v5, v6 :: v_dual_add_f32 v6, 0x40051340, v45
	s_delay_alu instid0(VALU_DEP_1) | instskip(NEXT) | instid1(VALU_DEP_2)
	v_sub_f32_e32 v50, v50, v5
	v_max3_num_f32 v6, v165, v6, v10
	v_sub_f32_e32 v29, v29, v5
	ds_bpermute_b32 v10, v39, v6
	s_wait_dscnt 0x0
	v_max_num_f32_e32 v10, v10, v10
	s_delay_alu instid0(VALU_DEP_1) | instskip(SKIP_3) | instid1(VALU_DEP_1)
	v_max_num_f32_e32 v6, v6, v10
	ds_bpermute_b32 v10, v51, v6
	s_wait_dscnt 0x0
	v_max_num_f32_e32 v10, v10, v10
	v_max_num_f32_e32 v6, v6, v10
	ds_bpermute_b32 v10, v53, v6
	s_wait_dscnt 0x0
	v_max_num_f32_e32 v10, v10, v10
	s_delay_alu instid0(VALU_DEP_1) | instskip(SKIP_3) | instid1(VALU_DEP_1)
	v_max_num_f32_e32 v6, v6, v10
	ds_bpermute_b32 v10, v55, v6
	s_wait_dscnt 0x0
	v_max_num_f32_e32 v10, v10, v10
	v_max_num_f32_e32 v6, v6, v10
	ds_bpermute_b32 v10, v57, v6
	s_wait_dscnt 0x0
	v_max_num_f32_e32 v10, v10, v10
	s_delay_alu instid0(VALU_DEP_1)
	v_max_num_f32_e32 v6, v6, v10
	s_clause 0x1
	global_load_u16 v10, v[8:9], off
	global_load_u16 v8, v[8:9], off offset:64
	s_wait_loadcnt 0x0
	s_barrier_signal -1
	s_barrier_wait -1
	global_inv scope:SCOPE_SE
	v_cvt_f32_f16_e32 v17, v10
	v_cvt_f32_f16_e32 v40, v8
	s_delay_alu instid0(VALU_DEP_2) | instskip(NEXT) | instid1(VALU_DEP_2)
	v_add_f32_e32 v48, v184, v17
	v_add_f32_e32 v47, v36, v40
	;; [unrolled: 1-line block ×3, first 2 shown]
	v_dual_add_f32 v38, v178, v17 :: v_dual_add_f32 v35, v24, v40
	s_delay_alu instid0(VALU_DEP_4) | instskip(NEXT) | instid1(VALU_DEP_4)
	v_add_f32_e32 v10, 0x40051340, v48
	v_dual_add_f32 v8, 0x40051340, v47 :: v_dual_add_f32 v33, v32, v40
	v_add_f32_e32 v23, v181, v17
	v_dual_add_f32 v37, v179, v17 :: v_dual_add_f32 v34, v28, v40
	s_delay_alu instid0(VALU_DEP_3) | instskip(NEXT) | instid1(VALU_DEP_4)
	v_max3_num_f32 v8, v160, v10, v8
	v_add_f32_e32 v10, 0x40051340, v33
	v_add_f32_e32 v22, v20, v40
	v_dual_add_f32 v12, 0x40051340, v35 :: v_dual_add_f32 v21, v182, v17
	ds_bpermute_b32 v9, v39, v8
	v_add_f32_e32 v11, 0x40051340, v34
	v_add_f32_e32 v13, 0x40051340, v22
	;; [unrolled: 1-line block ×3, first 2 shown]
	v_dual_add_f32 v17, v177, v17 :: v_dual_add_f32 v20, v16, v40
	v_add_f32_e32 v18, v14, v40
	v_sub_f32_e32 v28, v176, v0
	s_delay_alu instid0(VALU_DEP_3) | instskip(NEXT) | instid1(VALU_DEP_4)
	v_add_f32_e32 v24, 0x40051340, v17
	v_add_f32_e32 v16, 0x40051340, v20
	s_wait_dscnt 0x0
	v_dual_add_f32 v14, 0x40051340, v18 :: v_dual_max_num_f32 v9, v9, v9
	s_delay_alu instid0(VALU_DEP_1) | instskip(SKIP_3) | instid1(VALU_DEP_1)
	v_max_num_f32_e32 v8, v8, v9
	ds_bpermute_b32 v9, v51, v8
	s_wait_dscnt 0x0
	v_max_num_f32_e32 v9, v9, v9
	v_max_num_f32_e32 v8, v8, v9
	ds_bpermute_b32 v9, v53, v8
	s_wait_dscnt 0x0
	v_max_num_f32_e32 v9, v9, v9
	s_delay_alu instid0(VALU_DEP_1) | instskip(SKIP_3) | instid1(VALU_DEP_1)
	v_max_num_f32_e32 v8, v8, v9
	ds_bpermute_b32 v9, v55, v8
	s_wait_dscnt 0x0
	v_max_num_f32_e32 v9, v9, v9
	v_max_num_f32_e32 v8, v8, v9
	ds_bpermute_b32 v9, v57, v8
	s_wait_dscnt 0x0
	v_max_num_f32_e32 v9, v9, v9
	s_delay_alu instid0(VALU_DEP_1) | instskip(NEXT) | instid1(VALU_DEP_1)
	v_dual_max_num_f32 v8, v8, v9 :: v_dual_add_f32 v9, 0x40051340, v38
	v_max3_num_f32 v9, v159, v9, v10
	ds_bpermute_b32 v10, v39, v9
	s_wait_dscnt 0x0
	v_max_num_f32_e32 v10, v10, v10
	s_delay_alu instid0(VALU_DEP_1) | instskip(SKIP_3) | instid1(VALU_DEP_1)
	v_max_num_f32_e32 v9, v9, v10
	ds_bpermute_b32 v10, v51, v9
	s_wait_dscnt 0x0
	v_max_num_f32_e32 v10, v10, v10
	v_max_num_f32_e32 v9, v9, v10
	ds_bpermute_b32 v10, v53, v9
	s_wait_dscnt 0x0
	v_max_num_f32_e32 v10, v10, v10
	s_delay_alu instid0(VALU_DEP_1) | instskip(SKIP_4) | instid1(VALU_DEP_1)
	v_dual_max_num_f32 v9, v9, v10 :: v_dual_sub_f32 v42, v42, v3
	v_sub_f32_e32 v43, v43, v4
	ds_bpermute_b32 v10, v55, v9
	s_wait_dscnt 0x0
	v_max_num_f32_e32 v10, v10, v10
	v_max_num_f32_e32 v9, v9, v10
	ds_bpermute_b32 v10, v57, v9
	s_wait_dscnt 0x0
	v_max_num_f32_e32 v10, v10, v10
	s_delay_alu instid0(VALU_DEP_1) | instskip(NEXT) | instid1(VALU_DEP_1)
	v_dual_max_num_f32 v9, v9, v10 :: v_dual_add_f32 v10, 0x40051340, v37
	v_dual_sub_f32 v46, v46, v7 :: v_dual_sub_f32 v33, v33, v9
	s_delay_alu instid0(VALU_DEP_2)
	v_max3_num_f32 v10, v157, v10, v11
	ds_bpermute_b32 v11, v39, v10
	s_wait_dscnt 0x0
	v_max_num_f32_e32 v11, v11, v11
	v_sub_f32_e32 v45, v45, v6
	v_sub_f32_e32 v30, v30, v6
	s_delay_alu instid0(VALU_DEP_3) | instskip(SKIP_3) | instid1(VALU_DEP_1)
	v_max_num_f32_e32 v10, v10, v11
	ds_bpermute_b32 v11, v51, v10
	s_wait_dscnt 0x0
	v_max_num_f32_e32 v11, v11, v11
	v_max_num_f32_e32 v10, v10, v11
	ds_bpermute_b32 v11, v53, v10
	s_wait_dscnt 0x0
	v_max_num_f32_e32 v11, v11, v11
	s_delay_alu instid0(VALU_DEP_1) | instskip(SKIP_3) | instid1(VALU_DEP_1)
	v_max_num_f32_e32 v10, v10, v11
	ds_bpermute_b32 v11, v55, v10
	s_wait_dscnt 0x0
	v_max_num_f32_e32 v11, v11, v11
	v_max_num_f32_e32 v10, v10, v11
	ds_bpermute_b32 v11, v57, v10
	s_wait_dscnt 0x0
	v_max_num_f32_e32 v11, v11, v11
	s_delay_alu instid0(VALU_DEP_1) | instskip(NEXT) | instid1(VALU_DEP_1)
	v_dual_max_num_f32 v10, v10, v11 :: v_dual_add_f32 v11, 0x40051340, v36
	v_max3_num_f32 v11, v155, v11, v12
	ds_bpermute_b32 v12, v39, v11
	s_wait_dscnt 0x0
	v_max_num_f32_e32 v12, v12, v12
	s_delay_alu instid0(VALU_DEP_1) | instskip(SKIP_3) | instid1(VALU_DEP_1)
	v_max_num_f32_e32 v11, v11, v12
	ds_bpermute_b32 v12, v51, v11
	s_wait_dscnt 0x0
	v_max_num_f32_e32 v12, v12, v12
	v_max_num_f32_e32 v11, v11, v12
	ds_bpermute_b32 v12, v53, v11
	s_wait_dscnt 0x0
	v_max_num_f32_e32 v12, v12, v12
	s_delay_alu instid0(VALU_DEP_1) | instskip(SKIP_4) | instid1(VALU_DEP_1)
	v_max_num_f32_e32 v11, v11, v12
	v_sub_f32_e32 v47, v47, v8
	ds_bpermute_b32 v12, v55, v11
	s_wait_dscnt 0x0
	v_max_num_f32_e32 v12, v12, v12
	v_max_num_f32_e32 v11, v11, v12
	ds_bpermute_b32 v12, v57, v11
	s_wait_dscnt 0x0
	v_max_num_f32_e32 v12, v12, v12
	s_delay_alu instid0(VALU_DEP_1) | instskip(NEXT) | instid1(VALU_DEP_1)
	v_dual_max_num_f32 v11, v11, v12 :: v_dual_add_f32 v12, 0x40051340, v23
	v_sub_f32_e32 v35, v35, v11
	s_delay_alu instid0(VALU_DEP_2) | instskip(SKIP_3) | instid1(VALU_DEP_1)
	v_max3_num_f32 v12, v153, v12, v13
	ds_bpermute_b32 v13, v39, v12
	s_wait_dscnt 0x0
	v_max_num_f32_e32 v13, v13, v13
	v_max_num_f32_e32 v12, v12, v13
	ds_bpermute_b32 v13, v51, v12
	s_wait_dscnt 0x0
	v_max_num_f32_e32 v13, v13, v13
	s_delay_alu instid0(VALU_DEP_1) | instskip(SKIP_3) | instid1(VALU_DEP_1)
	v_max_num_f32_e32 v12, v12, v13
	ds_bpermute_b32 v13, v53, v12
	s_wait_dscnt 0x0
	v_max_num_f32_e32 v13, v13, v13
	v_max_num_f32_e32 v12, v12, v13
	ds_bpermute_b32 v13, v55, v12
	s_wait_dscnt 0x0
	v_max_num_f32_e32 v13, v13, v13
	s_delay_alu instid0(VALU_DEP_1) | instskip(SKIP_3) | instid1(VALU_DEP_1)
	v_max_num_f32_e32 v12, v12, v13
	ds_bpermute_b32 v13, v57, v12
	s_wait_dscnt 0x0
	v_max_num_f32_e32 v13, v13, v13
	v_max_num_f32_e32 v12, v12, v13
	v_add_f32_e32 v13, 0x40051340, v21
	s_delay_alu instid0(VALU_DEP_1) | instskip(SKIP_3) | instid1(VALU_DEP_1)
	v_max3_num_f32 v13, v151, v13, v16
	ds_bpermute_b32 v16, v39, v13
	s_wait_dscnt 0x0
	v_max_num_f32_e32 v16, v16, v16
	v_max_num_f32_e32 v13, v13, v16
	ds_bpermute_b32 v16, v51, v13
	s_wait_dscnt 0x0
	v_max_num_f32_e32 v16, v16, v16
	s_delay_alu instid0(VALU_DEP_1) | instskip(SKIP_3) | instid1(VALU_DEP_1)
	v_max_num_f32_e32 v13, v13, v16
	ds_bpermute_b32 v16, v53, v13
	s_wait_dscnt 0x0
	v_max_num_f32_e32 v16, v16, v16
	v_max_num_f32_e32 v13, v13, v16
	v_sub_f32_e32 v37, v37, v10
	v_sub_f32_e32 v34, v34, v10
	ds_bpermute_b32 v16, v55, v13
	s_wait_dscnt 0x0
	v_max_num_f32_e32 v16, v16, v16
	s_delay_alu instid0(VALU_DEP_1) | instskip(SKIP_3) | instid1(VALU_DEP_1)
	v_dual_max_num_f32 v13, v13, v16 :: v_dual_sub_f32 v36, v36, v11
	ds_bpermute_b32 v16, v57, v13
	s_wait_dscnt 0x0
	v_max_num_f32_e32 v16, v16, v16
	v_dual_max_num_f32 v13, v13, v16 :: v_dual_add_f32 v16, 0x40051340, v19
	s_delay_alu instid0(VALU_DEP_1) | instskip(NEXT) | instid1(VALU_DEP_2)
	v_sub_f32_e32 v20, v20, v13
	v_max3_num_f32 v14, v149, v16, v14
	v_sub_f32_e32 v21, v21, v13
	ds_bpermute_b32 v16, v39, v14
	s_wait_dscnt 0x0
	v_max_num_f32_e32 v16, v16, v16
	s_delay_alu instid0(VALU_DEP_1) | instskip(SKIP_3) | instid1(VALU_DEP_1)
	v_max_num_f32_e32 v14, v14, v16
	ds_bpermute_b32 v16, v51, v14
	s_wait_dscnt 0x0
	v_max_num_f32_e32 v16, v16, v16
	v_max_num_f32_e32 v14, v14, v16
	ds_bpermute_b32 v16, v53, v14
	s_wait_dscnt 0x0
	v_max_num_f32_e32 v16, v16, v16
	s_delay_alu instid0(VALU_DEP_1) | instskip(SKIP_3) | instid1(VALU_DEP_1)
	v_max_num_f32_e32 v14, v14, v16
	ds_bpermute_b32 v16, v55, v14
	s_wait_dscnt 0x0
	v_max_num_f32_e32 v16, v16, v16
	v_max_num_f32_e32 v14, v14, v16
	ds_bpermute_b32 v16, v57, v14
	s_wait_dscnt 0x0
	v_max_num_f32_e32 v16, v16, v16
	s_delay_alu instid0(VALU_DEP_1) | instskip(SKIP_1) | instid1(VALU_DEP_1)
	v_max_num_f32_e32 v14, v14, v16
	v_add_f32_e32 v16, v15, v40
	v_dual_sub_f32 v38, v38, v9 :: v_dual_add_f32 v15, 0x40051340, v16
	s_delay_alu instid0(VALU_DEP_1) | instskip(SKIP_3) | instid1(VALU_DEP_1)
	v_max3_num_f32 v15, v147, v24, v15
	ds_bpermute_b32 v24, v39, v15
	s_wait_dscnt 0x0
	v_max_num_f32_e32 v24, v24, v24
	v_max_num_f32_e32 v15, v15, v24
	ds_bpermute_b32 v24, v51, v15
	s_wait_dscnt 0x0
	v_max_num_f32_e32 v24, v24, v24
	s_delay_alu instid0(VALU_DEP_1) | instskip(SKIP_3) | instid1(VALU_DEP_1)
	v_max_num_f32_e32 v15, v15, v24
	ds_bpermute_b32 v24, v53, v15
	s_wait_dscnt 0x0
	v_max_num_f32_e32 v24, v24, v24
	v_max_num_f32_e32 v15, v15, v24
	ds_bpermute_b32 v24, v55, v15
	s_wait_dscnt 0x0
	v_max_num_f32_e32 v24, v24, v24
	s_delay_alu instid0(VALU_DEP_1) | instskip(SKIP_4) | instid1(VALU_DEP_1)
	v_max_num_f32_e32 v15, v15, v24
	v_sub_f32_e32 v23, v23, v12
	ds_bpermute_b32 v24, v57, v15
	s_wait_dscnt 0x0
	v_max_num_f32_e32 v24, v24, v24
	v_max_num_f32_e32 v15, v15, v24
	s_delay_alu instid0(VALU_DEP_1) | instskip(NEXT) | instid1(VALU_DEP_1)
	v_dual_sub_f32 v24, v58, v0 :: v_dual_sub_f32 v17, v17, v15
	v_mul_f32_e32 v32, 0x3fb8aa3b, v24
	v_cmp_ngt_f32_e32 vcc_lo, 0xc2ce8ed0, v24
	s_delay_alu instid0(VALU_DEP_2) | instskip(SKIP_1) | instid1(VALU_DEP_2)
	v_fma_f32 v39, 0x3fb8aa3b, v24, -v32
	v_rndne_f32_e32 v40, v32
	v_fmac_f32_e32 v39, 0x32a5705f, v24
	s_delay_alu instid0(VALU_DEP_2) | instskip(NEXT) | instid1(VALU_DEP_1)
	v_sub_f32_e32 v32, v32, v40
	v_add_f32_e32 v32, v32, v39
	v_cvt_i32_f32_e32 v39, v40
	s_delay_alu instid0(VALU_DEP_2) | instskip(NEXT) | instid1(TRANS32_DEP_1)
	v_exp_f32_e32 v32, v32
	v_ldexp_f32 v32, v32, v39
	s_wait_alu 0xfffd
	s_delay_alu instid0(VALU_DEP_1) | instskip(SKIP_2) | instid1(VALU_DEP_2)
	v_cndmask_b32_e32 v32, 0, v32, vcc_lo
	v_cmp_nlt_f32_e32 vcc_lo, 0x42b17218, v24
	s_wait_alu 0xfffd
	v_cndmask_b32_e32 v24, 0x7f800000, v32, vcc_lo
	v_sub_f32_e32 v32, v59, v0
	s_delay_alu instid0(VALU_DEP_2) | instskip(NEXT) | instid1(VALU_DEP_2)
	v_cvt_f16_f32_e32 v51, v24
	v_mul_f32_e32 v39, 0x3fb8aa3b, v32
	v_cmp_ngt_f32_e32 vcc_lo, 0xc2ce8ed0, v32
	s_delay_alu instid0(VALU_DEP_2) | instskip(SKIP_1) | instid1(VALU_DEP_2)
	v_fma_f32 v40, 0x3fb8aa3b, v32, -v39
	v_rndne_f32_e32 v44, v39
	v_fmac_f32_e32 v40, 0x32a5705f, v32
	s_delay_alu instid0(VALU_DEP_2) | instskip(NEXT) | instid1(VALU_DEP_1)
	v_sub_f32_e32 v39, v39, v44
	v_add_f32_e32 v39, v39, v40
	v_cvt_i32_f32_e32 v40, v44
	s_delay_alu instid0(VALU_DEP_2) | instskip(NEXT) | instid1(TRANS32_DEP_1)
	v_exp_f32_e32 v39, v39
	v_ldexp_f32 v39, v39, v40
	s_wait_alu 0xfffd
	s_delay_alu instid0(VALU_DEP_1) | instskip(SKIP_2) | instid1(VALU_DEP_2)
	v_cndmask_b32_e32 v39, 0, v39, vcc_lo
	v_cmp_nlt_f32_e32 vcc_lo, 0x42b17218, v32
	s_wait_alu 0xfffd
	v_cndmask_b32_e32 v32, 0x7f800000, v39, vcc_lo
	v_mul_f32_e32 v39, 0x3fb8aa3b, v28
	v_cmp_ngt_f32_e32 vcc_lo, 0xc2ce8ed0, v28
	s_delay_alu instid0(VALU_DEP_2) | instskip(SKIP_1) | instid1(VALU_DEP_2)
	v_fma_f32 v40, 0x3fb8aa3b, v28, -v39
	v_rndne_f32_e32 v44, v39
	v_fmac_f32_e32 v40, 0x32a5705f, v28
	s_delay_alu instid0(VALU_DEP_2) | instskip(SKIP_2) | instid1(VALU_DEP_3)
	v_sub_f32_e32 v39, v39, v44
	v_add_f32_e32 v24, v24, v32
	v_cvt_f16_f32_e32 v32, v32
	v_add_f32_e32 v39, v39, v40
	v_cvt_i32_f32_e32 v40, v44
	s_delay_alu instid0(VALU_DEP_2) | instskip(NEXT) | instid1(TRANS32_DEP_1)
	v_exp_f32_e32 v39, v39
	v_ldexp_f32 v39, v39, v40
	s_wait_alu 0xfffd
	s_delay_alu instid0(VALU_DEP_1) | instskip(NEXT) | instid1(VALU_DEP_1)
	v_dual_sub_f32 v40, v49, v1 :: v_dual_cndmask_b32 v39, 0, v39
	v_mul_f32_e32 v44, 0x3fb8aa3b, v40
	v_cmp_nlt_f32_e32 vcc_lo, 0x42b17218, v28
	s_delay_alu instid0(VALU_DEP_2)
	v_fma_f32 v49, 0x3fb8aa3b, v40, -v44
	v_rndne_f32_e32 v52, v44
	s_wait_alu 0xfffd
	v_cndmask_b32_e32 v28, 0x7f800000, v39, vcc_lo
	v_cmp_ngt_f32_e32 vcc_lo, 0xc2ce8ed0, v40
	v_fmac_f32_e32 v49, 0x32a5705f, v40
	v_sub_f32_e32 v44, v44, v52
	s_delay_alu instid0(VALU_DEP_1) | instskip(SKIP_1) | instid1(VALU_DEP_2)
	v_add_f32_e32 v44, v44, v49
	v_cvt_i32_f32_e32 v49, v52
	v_exp_f32_e32 v44, v44
	s_delay_alu instid0(TRANS32_DEP_1) | instskip(SKIP_1) | instid1(VALU_DEP_1)
	v_ldexp_f32 v44, v44, v49
	s_wait_alu 0xfffd
	v_cndmask_b32_e32 v44, 0, v44, vcc_lo
	v_cmp_nlt_f32_e32 vcc_lo, 0x42b17218, v40
	s_wait_alu 0xfffd
	s_delay_alu instid0(VALU_DEP_2) | instskip(SKIP_2) | instid1(VALU_DEP_3)
	v_cndmask_b32_e32 v40, 0x7f800000, v44, vcc_lo
	v_mul_f32_e32 v44, 0x3fb8aa3b, v25
	v_cmp_ngt_f32_e32 vcc_lo, 0xc2ce8ed0, v25
	v_cvt_f16_f32_e32 v53, v40
	s_delay_alu instid0(VALU_DEP_3) | instskip(SKIP_1) | instid1(VALU_DEP_1)
	v_fma_f32 v49, 0x3fb8aa3b, v25, -v44
	v_rndne_f32_e32 v52, v44
	v_dual_fmac_f32 v49, 0x32a5705f, v25 :: v_dual_sub_f32 v44, v44, v52
	v_sub_f32_e32 v22, v22, v12
	s_delay_alu instid0(VALU_DEP_2) | instskip(SKIP_1) | instid1(VALU_DEP_2)
	v_add_f32_e32 v44, v44, v49
	v_cvt_i32_f32_e32 v49, v52
	v_exp_f32_e32 v44, v44
	s_delay_alu instid0(TRANS32_DEP_1) | instskip(SKIP_1) | instid1(VALU_DEP_1)
	v_ldexp_f32 v44, v44, v49
	s_wait_alu 0xfffd
	v_cndmask_b32_e32 v44, 0, v44, vcc_lo
	v_cmp_nlt_f32_e32 vcc_lo, 0x42b17218, v25
	s_wait_alu 0xfffd
	s_delay_alu instid0(VALU_DEP_2) | instskip(NEXT) | instid1(VALU_DEP_1)
	v_cndmask_b32_e32 v44, 0x7f800000, v44, vcc_lo
	v_add_f32_e32 v25, v40, v44
	v_fmac_f32_e32 v24, v174, v28
	v_cvt_f16_f32_e32 v28, v28
	v_cvt_f16_f32_e32 v49, v44
	s_delay_alu instid0(VALU_DEP_2) | instskip(NEXT) | instid1(VALU_DEP_1)
	v_and_b32_e32 v28, 0xffff, v28
	v_mul_u32_u24_e32 v28, 0x10001, v28
	s_delay_alu instid0(VALU_DEP_1) | instskip(SKIP_1) | instid1(VALU_DEP_1)
	v_pk_mul_f16 v39, v145, v28
	v_sub_f32_e32 v28, v175, v1
	v_mul_f32_e32 v40, 0x3fb8aa3b, v28
	v_cmp_ngt_f32_e32 vcc_lo, 0xc2ce8ed0, v28
	s_delay_alu instid0(VALU_DEP_2) | instskip(SKIP_1) | instid1(VALU_DEP_2)
	v_fma_f32 v44, 0x3fb8aa3b, v28, -v40
	v_rndne_f32_e32 v52, v40
	v_fmac_f32_e32 v44, 0x32a5705f, v28
	s_delay_alu instid0(VALU_DEP_2) | instskip(NEXT) | instid1(VALU_DEP_1)
	v_sub_f32_e32 v40, v40, v52
	v_add_f32_e32 v40, v40, v44
	v_cvt_i32_f32_e32 v44, v52
	s_delay_alu instid0(VALU_DEP_2) | instskip(NEXT) | instid1(TRANS32_DEP_1)
	v_exp_f32_e32 v40, v40
	v_ldexp_f32 v40, v40, v44
	v_mul_f32_e32 v44, 0x3fb8aa3b, v41
	s_wait_alu 0xfffd
	s_delay_alu instid0(VALU_DEP_2) | instskip(NEXT) | instid1(VALU_DEP_2)
	v_cndmask_b32_e32 v40, 0, v40, vcc_lo
	v_fma_f32 v52, 0x3fb8aa3b, v41, -v44
	v_rndne_f32_e32 v55, v44
	v_cmp_nlt_f32_e32 vcc_lo, 0x42b17218, v28
	s_delay_alu instid0(VALU_DEP_3) | instskip(NEXT) | instid1(VALU_DEP_3)
	v_fmac_f32_e32 v52, 0x32a5705f, v41
	v_sub_f32_e32 v44, v44, v55
	s_wait_alu 0xfffd
	v_cndmask_b32_e32 v28, 0x7f800000, v40, vcc_lo
	v_cmp_ngt_f32_e32 vcc_lo, 0xc2ce8ed0, v41
	s_delay_alu instid0(VALU_DEP_3) | instskip(SKIP_1) | instid1(VALU_DEP_4)
	v_add_f32_e32 v44, v44, v52
	v_cvt_i32_f32_e32 v52, v55
	v_fmac_f32_e32 v25, v172, v28
	v_cvt_f16_f32_e32 v28, v28
	s_delay_alu instid0(VALU_DEP_4) | instskip(NEXT) | instid1(VALU_DEP_1)
	v_exp_f32_e32 v44, v44
	v_and_b32_e32 v28, 0xffff, v28
	s_delay_alu instid0(VALU_DEP_1) | instskip(NEXT) | instid1(TRANS32_DEP_1)
	v_mul_u32_u24_e32 v28, 0x10001, v28
	v_ldexp_f32 v44, v44, v52
	s_delay_alu instid0(VALU_DEP_2) | instskip(SKIP_2) | instid1(VALU_DEP_3)
	v_pk_mul_f16 v40, v144, v28
	v_sub_f32_e32 v28, v173, v2
	s_wait_alu 0xfffd
	v_cndmask_b32_e32 v44, 0, v44, vcc_lo
	v_cmp_nlt_f32_e32 vcc_lo, 0x42b17218, v41
	s_wait_alu 0xfffd
	s_delay_alu instid0(VALU_DEP_2) | instskip(SKIP_2) | instid1(VALU_DEP_3)
	v_cndmask_b32_e32 v41, 0x7f800000, v44, vcc_lo
	v_mul_f32_e32 v44, 0x3fb8aa3b, v26
	v_cmp_ngt_f32_e32 vcc_lo, 0xc2ce8ed0, v26
	v_cvt_f16_f32_e32 v56, v41
	s_delay_alu instid0(VALU_DEP_3) | instskip(SKIP_1) | instid1(VALU_DEP_2)
	v_fma_f32 v52, 0x3fb8aa3b, v26, -v44
	v_rndne_f32_e32 v55, v44
	v_fmac_f32_e32 v52, 0x32a5705f, v26
	s_delay_alu instid0(VALU_DEP_2) | instskip(NEXT) | instid1(VALU_DEP_1)
	v_sub_f32_e32 v44, v44, v55
	v_add_f32_e32 v44, v44, v52
	v_cvt_i32_f32_e32 v52, v55
	s_delay_alu instid0(VALU_DEP_2) | instskip(NEXT) | instid1(TRANS32_DEP_1)
	v_exp_f32_e32 v44, v44
	v_ldexp_f32 v44, v44, v52
	s_wait_alu 0xfffd
	s_delay_alu instid0(VALU_DEP_1) | instskip(SKIP_2) | instid1(VALU_DEP_2)
	v_cndmask_b32_e32 v44, 0, v44, vcc_lo
	v_cmp_nlt_f32_e32 vcc_lo, 0x42b17218, v26
	s_wait_alu 0xfffd
	v_cndmask_b32_e32 v44, 0x7f800000, v44, vcc_lo
	v_cmp_ngt_f32_e32 vcc_lo, 0xc2ce8ed0, v28
	s_delay_alu instid0(VALU_DEP_2) | instskip(SKIP_2) | instid1(VALU_DEP_2)
	v_add_f32_e32 v26, v41, v44
	v_mul_f32_e32 v41, 0x3fb8aa3b, v28
	v_cvt_f16_f32_e32 v52, v44
	v_fma_f32 v44, 0x3fb8aa3b, v28, -v41
	v_rndne_f32_e32 v55, v41
	s_delay_alu instid0(VALU_DEP_1) | instskip(NEXT) | instid1(VALU_DEP_1)
	v_dual_fmac_f32 v44, 0x32a5705f, v28 :: v_dual_sub_f32 v41, v41, v55
	v_add_f32_e32 v41, v41, v44
	v_cvt_i32_f32_e32 v44, v55
	s_delay_alu instid0(VALU_DEP_2) | instskip(NEXT) | instid1(TRANS32_DEP_1)
	v_exp_f32_e32 v41, v41
	v_ldexp_f32 v41, v41, v44
	s_wait_alu 0xfffd
	s_delay_alu instid0(VALU_DEP_1) | instskip(NEXT) | instid1(VALU_DEP_1)
	v_dual_mul_f32 v44, 0x3fb8aa3b, v42 :: v_dual_cndmask_b32 v41, 0, v41
	v_fma_f32 v55, 0x3fb8aa3b, v42, -v44
	v_rndne_f32_e32 v57, v44
	v_cmp_nlt_f32_e32 vcc_lo, 0x42b17218, v28
	s_delay_alu instid0(VALU_DEP_2) | instskip(SKIP_3) | instid1(VALU_DEP_3)
	v_dual_fmac_f32 v55, 0x32a5705f, v42 :: v_dual_sub_f32 v44, v44, v57
	s_wait_alu 0xfffd
	v_cndmask_b32_e32 v28, 0x7f800000, v41, vcc_lo
	v_cmp_ngt_f32_e32 vcc_lo, 0xc2ce8ed0, v42
	v_add_f32_e32 v44, v44, v55
	v_cvt_i32_f32_e32 v55, v57
	s_delay_alu instid0(VALU_DEP_4) | instskip(SKIP_1) | instid1(VALU_DEP_4)
	v_fmac_f32_e32 v26, v170, v28
	v_cvt_f16_f32_e32 v28, v28
	v_exp_f32_e32 v44, v44
	s_delay_alu instid0(VALU_DEP_1) | instskip(NEXT) | instid1(VALU_DEP_1)
	v_and_b32_e32 v28, 0xffff, v28
	v_mul_u32_u24_e32 v28, 0x10001, v28
	s_delay_alu instid0(TRANS32_DEP_1) | instskip(NEXT) | instid1(VALU_DEP_2)
	v_ldexp_f32 v44, v44, v55
	v_pk_mul_f16 v41, v143, v28
	v_sub_f32_e32 v28, v171, v3
	s_wait_alu 0xfffd
	s_delay_alu instid0(VALU_DEP_3) | instskip(SKIP_2) | instid1(VALU_DEP_2)
	v_cndmask_b32_e32 v44, 0, v44, vcc_lo
	v_cmp_nlt_f32_e32 vcc_lo, 0x42b17218, v42
	s_wait_alu 0xfffd
	v_cndmask_b32_e32 v42, 0x7f800000, v44, vcc_lo
	v_mul_f32_e32 v44, 0x3fb8aa3b, v27
	v_cmp_ngt_f32_e32 vcc_lo, 0xc2ce8ed0, v27
	s_delay_alu instid0(VALU_DEP_3) | instskip(NEXT) | instid1(VALU_DEP_3)
	v_cvt_f16_f32_e32 v57, v42
	v_fma_f32 v55, 0x3fb8aa3b, v27, -v44
	v_rndne_f32_e32 v58, v44
	s_delay_alu instid0(VALU_DEP_3) | instskip(NEXT) | instid1(VALU_DEP_2)
	v_pack_b32_f16 v57, v56, v57
	v_dual_fmac_f32 v55, 0x32a5705f, v27 :: v_dual_sub_f32 v44, v44, v58
	v_pack_b32_f16 v56, v51, v53
	s_delay_alu instid0(VALU_DEP_2) | instskip(SKIP_1) | instid1(VALU_DEP_2)
	v_add_f32_e32 v44, v44, v55
	v_cvt_i32_f32_e32 v55, v58
	v_exp_f32_e32 v44, v44
	s_delay_alu instid0(TRANS32_DEP_1) | instskip(SKIP_1) | instid1(VALU_DEP_1)
	v_ldexp_f32 v44, v44, v55
	s_wait_alu 0xfffd
	v_cndmask_b32_e32 v44, 0, v44, vcc_lo
	v_cmp_nlt_f32_e32 vcc_lo, 0x42b17218, v27
	s_wait_alu 0xfffd
	s_delay_alu instid0(VALU_DEP_2) | instskip(SKIP_1) | instid1(VALU_DEP_2)
	v_cndmask_b32_e32 v44, 0x7f800000, v44, vcc_lo
	v_cmp_ngt_f32_e32 vcc_lo, 0xc2ce8ed0, v28
	v_add_f32_e32 v27, v42, v44
	v_mul_f32_e32 v42, 0x3fb8aa3b, v28
	v_cvt_f16_f32_e32 v55, v44
	s_delay_alu instid0(VALU_DEP_2) | instskip(SKIP_1) | instid1(VALU_DEP_3)
	v_fma_f32 v44, 0x3fb8aa3b, v28, -v42
	v_rndne_f32_e32 v58, v42
	v_pack_b32_f16 v55, v52, v55
	s_delay_alu instid0(VALU_DEP_3) | instskip(NEXT) | instid1(VALU_DEP_3)
	v_fmac_f32_e32 v44, 0x32a5705f, v28
	v_sub_f32_e32 v42, v42, v58
	s_delay_alu instid0(VALU_DEP_1) | instskip(SKIP_1) | instid1(VALU_DEP_2)
	v_add_f32_e32 v42, v42, v44
	v_cvt_i32_f32_e32 v44, v58
	v_exp_f32_e32 v42, v42
	s_delay_alu instid0(TRANS32_DEP_1) | instskip(SKIP_2) | instid1(VALU_DEP_2)
	v_ldexp_f32 v42, v42, v44
	v_sub_f32_e32 v44, v169, v4
	s_wait_alu 0xfffd
	v_cndmask_b32_e32 v42, 0, v42, vcc_lo
	v_cmp_nlt_f32_e32 vcc_lo, 0x42b17218, v28
	s_wait_alu 0xfffd
	s_delay_alu instid0(VALU_DEP_2) | instskip(NEXT) | instid1(VALU_DEP_1)
	v_cndmask_b32_e32 v28, 0x7f800000, v42, vcc_lo
	v_fmac_f32_e32 v27, v168, v28
	v_cvt_f16_f32_e32 v28, v28
	s_delay_alu instid0(VALU_DEP_1) | instskip(NEXT) | instid1(VALU_DEP_1)
	v_and_b32_e32 v28, 0xffff, v28
	v_mul_u32_u24_e32 v28, 0x10001, v28
	s_delay_alu instid0(VALU_DEP_1) | instskip(SKIP_1) | instid1(VALU_DEP_1)
	v_pk_mul_f16 v42, v142, v28
	v_sub_f32_e32 v28, v54, v4
	v_mul_f32_e32 v54, 0x3fb8aa3b, v28
	v_cmp_ngt_f32_e32 vcc_lo, 0xc2ce8ed0, v28
	s_delay_alu instid0(VALU_DEP_2) | instskip(SKIP_1) | instid1(VALU_DEP_2)
	v_fma_f32 v58, 0x3fb8aa3b, v28, -v54
	v_rndne_f32_e32 v59, v54
	v_fmac_f32_e32 v58, 0x32a5705f, v28
	s_delay_alu instid0(VALU_DEP_2) | instskip(NEXT) | instid1(VALU_DEP_1)
	v_sub_f32_e32 v54, v54, v59
	v_add_f32_e32 v54, v54, v58
	v_cvt_i32_f32_e32 v58, v59
	s_delay_alu instid0(VALU_DEP_2) | instskip(NEXT) | instid1(TRANS32_DEP_1)
	v_exp_f32_e32 v54, v54
	v_ldexp_f32 v54, v54, v58
	s_wait_alu 0xfffd
	s_delay_alu instid0(VALU_DEP_1) | instskip(SKIP_2) | instid1(VALU_DEP_2)
	v_cndmask_b32_e32 v54, 0, v54, vcc_lo
	v_cmp_nlt_f32_e32 vcc_lo, 0x42b17218, v28
	s_wait_alu 0xfffd
	v_cndmask_b32_e32 v28, 0x7f800000, v54, vcc_lo
	v_mul_f32_e32 v54, 0x3fb8aa3b, v43
	v_cmp_ngt_f32_e32 vcc_lo, 0xc2ce8ed0, v43
	s_delay_alu instid0(VALU_DEP_3) | instskip(NEXT) | instid1(VALU_DEP_3)
	v_cvt_f16_f32_e32 v58, v28
	v_fma_f32 v59, 0x3fb8aa3b, v43, -v54
	v_rndne_f32_e32 v60, v54
	s_delay_alu instid0(VALU_DEP_1) | instskip(NEXT) | instid1(VALU_DEP_1)
	v_dual_fmac_f32 v59, 0x32a5705f, v43 :: v_dual_sub_f32 v54, v54, v60
	v_add_f32_e32 v54, v54, v59
	v_cvt_i32_f32_e32 v59, v60
	s_delay_alu instid0(VALU_DEP_2) | instskip(NEXT) | instid1(TRANS32_DEP_1)
	v_exp_f32_e32 v54, v54
	v_ldexp_f32 v54, v54, v59
	s_wait_alu 0xfffd
	s_delay_alu instid0(VALU_DEP_1) | instskip(SKIP_2) | instid1(VALU_DEP_2)
	v_cndmask_b32_e32 v54, 0, v54, vcc_lo
	v_cmp_nlt_f32_e32 vcc_lo, 0x42b17218, v43
	s_wait_alu 0xfffd
	v_cndmask_b32_e32 v43, 0x7f800000, v54, vcc_lo
	v_cmp_ngt_f32_e32 vcc_lo, 0xc2ce8ed0, v44
	s_delay_alu instid0(VALU_DEP_2) | instskip(SKIP_2) | instid1(VALU_DEP_1)
	v_add_f32_e32 v28, v28, v43
	v_cvt_f16_f32_e32 v54, v43
	v_mul_f32_e32 v43, 0x3fb8aa3b, v44
	v_fma_f32 v59, 0x3fb8aa3b, v44, -v43
	v_rndne_f32_e32 v60, v43
	s_delay_alu instid0(VALU_DEP_2) | instskip(NEXT) | instid1(VALU_DEP_2)
	v_fmac_f32_e32 v59, 0x32a5705f, v44
	v_sub_f32_e32 v43, v43, v60
	s_delay_alu instid0(VALU_DEP_1) | instskip(SKIP_1) | instid1(VALU_DEP_2)
	v_add_f32_e32 v43, v43, v59
	v_cvt_i32_f32_e32 v59, v60
	v_exp_f32_e32 v43, v43
	s_delay_alu instid0(TRANS32_DEP_1) | instskip(SKIP_2) | instid1(VALU_DEP_2)
	v_ldexp_f32 v43, v43, v59
	v_mul_f32_e32 v59, 0x3fb8aa3b, v50
	s_wait_alu 0xfffd
	v_cndmask_b32_e32 v43, 0, v43, vcc_lo
	s_delay_alu instid0(VALU_DEP_2) | instskip(SKIP_3) | instid1(VALU_DEP_3)
	v_fma_f32 v60, 0x3fb8aa3b, v50, -v59
	v_rndne_f32_e32 v61, v59
	v_cmp_nlt_f32_e32 vcc_lo, 0x42b17218, v44
	v_sub_f32_e32 v44, v167, v5
	v_dual_fmac_f32 v60, 0x32a5705f, v50 :: v_dual_sub_f32 v59, v59, v61
	s_wait_alu 0xfffd
	v_cndmask_b32_e32 v43, 0x7f800000, v43, vcc_lo
	v_cmp_ngt_f32_e32 vcc_lo, 0xc2ce8ed0, v50
	s_delay_alu instid0(VALU_DEP_3) | instskip(SKIP_1) | instid1(VALU_DEP_4)
	v_add_f32_e32 v59, v59, v60
	v_cvt_i32_f32_e32 v60, v61
	v_fmac_f32_e32 v28, v166, v43
	v_cvt_f16_f32_e32 v43, v43
	s_delay_alu instid0(VALU_DEP_4) | instskip(NEXT) | instid1(VALU_DEP_1)
	v_exp_f32_e32 v59, v59
	v_and_b32_e32 v43, 0xffff, v43
	s_delay_alu instid0(VALU_DEP_1) | instskip(NEXT) | instid1(TRANS32_DEP_1)
	v_mul_u32_u24_e32 v43, 0x10001, v43
	v_ldexp_f32 v59, v59, v60
	s_delay_alu instid0(VALU_DEP_2) | instskip(SKIP_1) | instid1(VALU_DEP_2)
	v_pk_mul_f16 v43, v141, v43
	s_wait_alu 0xfffd
	v_cndmask_b32_e32 v59, 0, v59, vcc_lo
	v_cmp_nlt_f32_e32 vcc_lo, 0x42b17218, v50
	s_wait_alu 0xfffd
	s_delay_alu instid0(VALU_DEP_2) | instskip(SKIP_2) | instid1(VALU_DEP_3)
	v_cndmask_b32_e32 v50, 0x7f800000, v59, vcc_lo
	v_mul_f32_e32 v59, 0x3fb8aa3b, v29
	v_cmp_ngt_f32_e32 vcc_lo, 0xc2ce8ed0, v29
	v_cvt_f16_f32_e32 v60, v50
	s_delay_alu instid0(VALU_DEP_3) | instskip(SKIP_1) | instid1(VALU_DEP_3)
	v_fma_f32 v61, 0x3fb8aa3b, v29, -v59
	v_rndne_f32_e32 v62, v59
	v_pack_b32_f16 v58, v58, v60
	s_delay_alu instid0(VALU_DEP_3) | instskip(NEXT) | instid1(VALU_DEP_3)
	v_fmac_f32_e32 v61, 0x32a5705f, v29
	v_sub_f32_e32 v59, v59, v62
	v_sub_f32_e32 v19, v19, v14
	s_delay_alu instid0(VALU_DEP_2) | instskip(SKIP_1) | instid1(VALU_DEP_2)
	v_dual_sub_f32 v18, v18, v14 :: v_dual_add_f32 v59, v59, v61
	v_cvt_i32_f32_e32 v61, v62
	v_exp_f32_e32 v59, v59
	s_delay_alu instid0(TRANS32_DEP_1) | instskip(SKIP_1) | instid1(VALU_DEP_1)
	v_ldexp_f32 v59, v59, v61
	s_wait_alu 0xfffd
	v_cndmask_b32_e32 v59, 0, v59, vcc_lo
	v_cmp_nlt_f32_e32 vcc_lo, 0x42b17218, v29
	v_sub_f32_e32 v16, v16, v15
	s_wait_alu 0xfffd
	s_delay_alu instid0(VALU_DEP_3) | instskip(SKIP_1) | instid1(VALU_DEP_2)
	v_cndmask_b32_e32 v59, 0x7f800000, v59, vcc_lo
	v_cmp_ngt_f32_e32 vcc_lo, 0xc2ce8ed0, v44
	v_add_f32_e32 v29, v50, v59
	v_cvt_f16_f32_e32 v50, v59
	v_mul_f32_e32 v59, 0x3fb8aa3b, v44
	s_delay_alu instid0(VALU_DEP_1) | instskip(SKIP_1) | instid1(VALU_DEP_2)
	v_fma_f32 v61, 0x3fb8aa3b, v44, -v59
	v_rndne_f32_e32 v62, v59
	v_fmac_f32_e32 v61, 0x32a5705f, v44
	s_delay_alu instid0(VALU_DEP_2) | instskip(NEXT) | instid1(VALU_DEP_1)
	v_sub_f32_e32 v59, v59, v62
	v_add_f32_e32 v59, v59, v61
	v_cvt_i32_f32_e32 v61, v62
	s_delay_alu instid0(VALU_DEP_2) | instskip(NEXT) | instid1(TRANS32_DEP_1)
	v_exp_f32_e32 v59, v59
	v_ldexp_f32 v59, v59, v61
	v_mul_f32_e32 v61, 0x3fb8aa3b, v45
	s_wait_alu 0xfffd
	s_delay_alu instid0(VALU_DEP_2) | instskip(NEXT) | instid1(VALU_DEP_2)
	v_cndmask_b32_e32 v59, 0, v59, vcc_lo
	v_fma_f32 v62, 0x3fb8aa3b, v45, -v61
	v_rndne_f32_e32 v63, v61
	v_cmp_nlt_f32_e32 vcc_lo, 0x42b17218, v44
	s_delay_alu instid0(VALU_DEP_2)
	v_dual_fmac_f32 v62, 0x32a5705f, v45 :: v_dual_sub_f32 v61, v61, v63
	s_wait_alu 0xfffd
	v_cndmask_b32_e32 v44, 0x7f800000, v59, vcc_lo
	v_cmp_ngt_f32_e32 vcc_lo, 0xc2ce8ed0, v45
	v_sub_f32_e32 v59, v165, v6
	v_add_f32_e32 v61, v61, v62
	s_delay_alu instid0(VALU_DEP_4) | instskip(SKIP_2) | instid1(VALU_DEP_4)
	v_fmac_f32_e32 v29, v164, v44
	v_cvt_f16_f32_e32 v44, v44
	v_cvt_i32_f32_e32 v62, v63
	v_exp_f32_e32 v61, v61
	s_delay_alu instid0(VALU_DEP_2) | instskip(NEXT) | instid1(VALU_DEP_1)
	v_and_b32_e32 v44, 0xffff, v44
	v_mul_u32_u24_e32 v44, 0x10001, v44
	s_delay_alu instid0(TRANS32_DEP_1) | instskip(SKIP_1) | instid1(VALU_DEP_3)
	v_ldexp_f32 v61, v61, v62
	v_mul_f32_e32 v62, 0x3fb8aa3b, v30
	v_pk_mul_f16 v44, v140, v44
	s_wait_alu 0xfffd
	s_delay_alu instid0(VALU_DEP_3) | instskip(NEXT) | instid1(VALU_DEP_3)
	v_cndmask_b32_e32 v61, 0, v61, vcc_lo
	v_fma_f32 v63, 0x3fb8aa3b, v30, -v62
	v_rndne_f32_e32 v140, v62
	v_cmp_nlt_f32_e32 vcc_lo, 0x42b17218, v45
	s_delay_alu instid0(VALU_DEP_2) | instskip(SKIP_3) | instid1(VALU_DEP_3)
	v_dual_fmac_f32 v63, 0x32a5705f, v30 :: v_dual_sub_f32 v62, v62, v140
	s_wait_alu 0xfffd
	v_cndmask_b32_e32 v45, 0x7f800000, v61, vcc_lo
	v_cmp_ngt_f32_e32 vcc_lo, 0xc2ce8ed0, v30
	v_add_f32_e32 v62, v62, v63
	v_cvt_i32_f32_e32 v63, v140
	s_delay_alu instid0(VALU_DEP_4) | instskip(NEXT) | instid1(VALU_DEP_3)
	v_cvt_f16_f32_e32 v61, v45
	v_exp_f32_e32 v62, v62
	s_delay_alu instid0(TRANS32_DEP_1) | instskip(SKIP_1) | instid1(VALU_DEP_1)
	v_ldexp_f32 v62, v62, v63
	s_wait_alu 0xfffd
	v_cndmask_b32_e32 v62, 0, v62, vcc_lo
	v_cmp_nlt_f32_e32 vcc_lo, 0x42b17218, v30
	s_wait_alu 0xfffd
	s_delay_alu instid0(VALU_DEP_2) | instskip(SKIP_1) | instid1(VALU_DEP_2)
	v_cndmask_b32_e32 v62, 0x7f800000, v62, vcc_lo
	v_cmp_ngt_f32_e32 vcc_lo, 0xc2ce8ed0, v59
	v_dual_add_f32 v30, v45, v62 :: v_dual_mul_f32 v45, 0x3fb8aa3b, v59
	v_cvt_f16_f32_e32 v62, v62
	s_delay_alu instid0(VALU_DEP_2) | instskip(SKIP_1) | instid1(VALU_DEP_2)
	v_fma_f32 v63, 0x3fb8aa3b, v59, -v45
	v_rndne_f32_e32 v140, v45
	v_fmac_f32_e32 v63, 0x32a5705f, v59
	s_delay_alu instid0(VALU_DEP_2) | instskip(NEXT) | instid1(VALU_DEP_1)
	v_sub_f32_e32 v45, v45, v140
	v_add_f32_e32 v45, v45, v63
	v_cvt_i32_f32_e32 v63, v140
	s_delay_alu instid0(VALU_DEP_2) | instskip(NEXT) | instid1(TRANS32_DEP_1)
	v_exp_f32_e32 v45, v45
	v_ldexp_f32 v45, v45, v63
	v_mul_f32_e32 v63, 0x3fb8aa3b, v46
	s_wait_alu 0xfffd
	s_delay_alu instid0(VALU_DEP_2) | instskip(SKIP_1) | instid1(VALU_DEP_3)
	v_cndmask_b32_e32 v45, 0, v45, vcc_lo
	v_cmp_nlt_f32_e32 vcc_lo, 0x42b17218, v59
	v_rndne_f32_e32 v140, v63
	v_sub_f32_e32 v59, v163, v7
	s_wait_alu 0xfffd
	v_cndmask_b32_e32 v45, 0x7f800000, v45, vcc_lo
	v_cmp_ngt_f32_e32 vcc_lo, 0xc2ce8ed0, v46
	s_delay_alu instid0(VALU_DEP_2) | instskip(SKIP_1) | instid1(VALU_DEP_1)
	v_fmac_f32_e32 v30, v162, v45
	v_cvt_f16_f32_e32 v45, v45
	v_and_b32_e32 v45, 0xffff, v45
	s_delay_alu instid0(VALU_DEP_1) | instskip(NEXT) | instid1(VALU_DEP_1)
	v_mul_u32_u24_e32 v45, 0x10001, v45
	v_pk_mul_f16 v45, v139, v45
	v_fma_f32 v139, 0x3fb8aa3b, v46, -v63
	v_sub_f32_e32 v63, v63, v140
	s_delay_alu instid0(VALU_DEP_2) | instskip(NEXT) | instid1(VALU_DEP_1)
	v_fmac_f32_e32 v139, 0x32a5705f, v46
	v_add_f32_e32 v63, v63, v139
	v_cvt_i32_f32_e32 v139, v140
	s_delay_alu instid0(VALU_DEP_2) | instskip(NEXT) | instid1(TRANS32_DEP_1)
	v_exp_f32_e32 v63, v63
	v_ldexp_f32 v63, v63, v139
	v_mul_f32_e32 v139, 0x3fb8aa3b, v31
	s_wait_alu 0xfffd
	s_delay_alu instid0(VALU_DEP_2) | instskip(NEXT) | instid1(VALU_DEP_2)
	v_cndmask_b32_e32 v63, 0, v63, vcc_lo
	v_fma_f32 v140, 0x3fb8aa3b, v31, -v139
	v_rndne_f32_e32 v141, v139
	v_cmp_nlt_f32_e32 vcc_lo, 0x42b17218, v46
	s_delay_alu instid0(VALU_DEP_2) | instskip(SKIP_3) | instid1(VALU_DEP_3)
	v_dual_fmac_f32 v140, 0x32a5705f, v31 :: v_dual_sub_f32 v139, v139, v141
	s_wait_alu 0xfffd
	v_cndmask_b32_e32 v46, 0x7f800000, v63, vcc_lo
	v_cmp_ngt_f32_e32 vcc_lo, 0xc2ce8ed0, v31
	v_add_f32_e32 v139, v139, v140
	v_cvt_i32_f32_e32 v140, v141
	s_delay_alu instid0(VALU_DEP_4) | instskip(NEXT) | instid1(VALU_DEP_3)
	v_cvt_f16_f32_e32 v63, v46
	v_exp_f32_e32 v139, v139
	s_delay_alu instid0(TRANS32_DEP_1) | instskip(SKIP_1) | instid1(VALU_DEP_1)
	v_ldexp_f32 v139, v139, v140
	s_wait_alu 0xfffd
	v_cndmask_b32_e32 v139, 0, v139, vcc_lo
	v_cmp_nlt_f32_e32 vcc_lo, 0x42b17218, v31
	s_wait_alu 0xfffd
	s_delay_alu instid0(VALU_DEP_2) | instskip(SKIP_1) | instid1(VALU_DEP_2)
	v_cndmask_b32_e32 v139, 0x7f800000, v139, vcc_lo
	v_cmp_ngt_f32_e32 vcc_lo, 0xc2ce8ed0, v59
	v_add_f32_e32 v31, v46, v139
	v_mul_f32_e32 v46, 0x3fb8aa3b, v59
	v_cvt_f16_f32_e64 v139, v139
	s_delay_alu instid0(VALU_DEP_2) | instskip(SKIP_1) | instid1(VALU_DEP_2)
	v_fma_f32 v140, 0x3fb8aa3b, v59, -v46
	v_rndne_f32_e32 v141, v46
	v_fmac_f32_e32 v140, 0x32a5705f, v59
	s_delay_alu instid0(VALU_DEP_2) | instskip(NEXT) | instid1(VALU_DEP_1)
	v_sub_f32_e32 v46, v46, v141
	v_add_f32_e32 v46, v46, v140
	v_cvt_i32_f32_e32 v140, v141
	s_delay_alu instid0(VALU_DEP_2) | instskip(NEXT) | instid1(TRANS32_DEP_1)
	v_exp_f32_e32 v46, v46
	v_ldexp_f32 v46, v46, v140
	s_wait_alu 0xfffd
	s_delay_alu instid0(VALU_DEP_1) | instskip(SKIP_3) | instid1(VALU_DEP_3)
	v_cndmask_b32_e32 v46, 0, v46, vcc_lo
	v_cmp_nlt_f32_e32 vcc_lo, 0x42b17218, v59
	v_pack_b32_f16 v59, v61, v63
	s_wait_alu 0xfffd
	v_cndmask_b32_e32 v46, 0x7f800000, v46, vcc_lo
	ds_store_b128 v122, v[56:59]
	v_pack_b32_f16 v56, v54, v50
	v_pack_b32_f16 v54, v32, v49
	v_sub_f32_e32 v32, v48, v8
	v_pack_b32_f16 v57, v62, v139
	v_sub_f32_e32 v49, v160, v8
	s_delay_alu instid0(VALU_DEP_3) | instskip(SKIP_4) | instid1(VALU_DEP_2)
	v_mul_f32_e32 v48, 0x3fb8aa3b, v32
	v_cmp_ngt_f32_e32 vcc_lo, 0xc2ce8ed0, v32
	ds_store_b128 v122, v[54:57] offset:512
	v_fma_f32 v50, 0x3fb8aa3b, v32, -v48
	v_rndne_f32_e32 v51, v48
	v_fmac_f32_e32 v50, 0x32a5705f, v32
	s_delay_alu instid0(VALU_DEP_2) | instskip(NEXT) | instid1(VALU_DEP_1)
	v_sub_f32_e32 v48, v48, v51
	v_add_f32_e32 v48, v48, v50
	v_cvt_i32_f32_e32 v50, v51
	s_delay_alu instid0(VALU_DEP_2) | instskip(NEXT) | instid1(TRANS32_DEP_1)
	v_exp_f32_e32 v48, v48
	v_ldexp_f32 v48, v48, v50
	s_wait_alu 0xfffd
	s_delay_alu instid0(VALU_DEP_1) | instskip(SKIP_2) | instid1(VALU_DEP_2)
	v_cndmask_b32_e32 v48, 0, v48, vcc_lo
	v_cmp_nlt_f32_e32 vcc_lo, 0x42b17218, v32
	s_wait_alu 0xfffd
	v_cndmask_b32_e32 v32, 0x7f800000, v48, vcc_lo
	v_mul_f32_e32 v48, 0x3fb8aa3b, v47
	v_cmp_ngt_f32_e32 vcc_lo, 0xc2ce8ed0, v47
	s_delay_alu instid0(VALU_DEP_3) | instskip(NEXT) | instid1(VALU_DEP_3)
	v_cvt_f16_f32_e32 v57, v32
	v_fma_f32 v50, 0x3fb8aa3b, v47, -v48
	v_rndne_f32_e32 v51, v48
	s_delay_alu instid0(VALU_DEP_2) | instskip(NEXT) | instid1(VALU_DEP_2)
	v_fmac_f32_e32 v50, 0x32a5705f, v47
	v_sub_f32_e32 v48, v48, v51
	s_delay_alu instid0(VALU_DEP_1) | instskip(SKIP_1) | instid1(VALU_DEP_2)
	v_add_f32_e32 v48, v48, v50
	v_cvt_i32_f32_e32 v50, v51
	v_exp_f32_e32 v48, v48
	s_delay_alu instid0(TRANS32_DEP_1) | instskip(SKIP_1) | instid1(VALU_DEP_1)
	v_ldexp_f32 v48, v48, v50
	s_wait_alu 0xfffd
	v_cndmask_b32_e32 v48, 0, v48, vcc_lo
	v_cmp_nlt_f32_e32 vcc_lo, 0x42b17218, v47
	s_wait_alu 0xfffd
	s_delay_alu instid0(VALU_DEP_2) | instskip(SKIP_1) | instid1(VALU_DEP_2)
	v_cndmask_b32_e32 v47, 0x7f800000, v48, vcc_lo
	v_cmp_ngt_f32_e32 vcc_lo, 0xc2ce8ed0, v49
	v_add_f32_e32 v32, v32, v47
	v_cvt_f16_f32_e32 v55, v47
	v_mul_f32_e32 v47, 0x3fb8aa3b, v49
	s_delay_alu instid0(VALU_DEP_1) | instskip(SKIP_1) | instid1(VALU_DEP_1)
	v_fma_f32 v48, 0x3fb8aa3b, v49, -v47
	v_rndne_f32_e32 v50, v47
	v_dual_fmac_f32 v48, 0x32a5705f, v49 :: v_dual_sub_f32 v47, v47, v50
	s_delay_alu instid0(VALU_DEP_1) | instskip(SKIP_1) | instid1(VALU_DEP_2)
	v_add_f32_e32 v47, v47, v48
	v_cvt_i32_f32_e32 v48, v50
	v_exp_f32_e32 v47, v47
	s_delay_alu instid0(TRANS32_DEP_1) | instskip(SKIP_1) | instid1(VALU_DEP_1)
	v_ldexp_f32 v47, v47, v48
	s_wait_alu 0xfffd
	v_dual_sub_f32 v48, v159, v9 :: v_dual_cndmask_b32 v47, 0, v47
	v_cmp_nlt_f32_e32 vcc_lo, 0x42b17218, v49
	v_mul_f32_e32 v49, 0x3fb8aa3b, v38
	s_wait_alu 0xfffd
	s_delay_alu instid0(VALU_DEP_3) | instskip(NEXT) | instid1(VALU_DEP_2)
	v_cndmask_b32_e32 v47, 0x7f800000, v47, vcc_lo
	v_fma_f32 v50, 0x3fb8aa3b, v38, -v49
	v_rndne_f32_e32 v51, v49
	v_cmp_ngt_f32_e32 vcc_lo, 0xc2ce8ed0, v38
	s_delay_alu instid0(VALU_DEP_2) | instskip(NEXT) | instid1(VALU_DEP_1)
	v_dual_fmac_f32 v50, 0x32a5705f, v38 :: v_dual_sub_f32 v49, v49, v51
	v_add_f32_e32 v49, v49, v50
	v_cvt_i32_f32_e32 v50, v51
	s_delay_alu instid0(VALU_DEP_2) | instskip(NEXT) | instid1(TRANS32_DEP_1)
	v_exp_f32_e32 v49, v49
	v_ldexp_f32 v49, v49, v50
	s_wait_alu 0xfffd
	s_delay_alu instid0(VALU_DEP_1) | instskip(SKIP_2) | instid1(VALU_DEP_2)
	v_cndmask_b32_e32 v49, 0, v49, vcc_lo
	v_cmp_nlt_f32_e32 vcc_lo, 0x42b17218, v38
	s_wait_alu 0xfffd
	v_cndmask_b32_e32 v38, 0x7f800000, v49, vcc_lo
	v_mul_f32_e32 v49, 0x3fb8aa3b, v33
	v_cmp_ngt_f32_e32 vcc_lo, 0xc2ce8ed0, v33
	s_delay_alu instid0(VALU_DEP_3) | instskip(NEXT) | instid1(VALU_DEP_3)
	v_cvt_f16_f32_e32 v59, v38
	v_fma_f32 v50, 0x3fb8aa3b, v33, -v49
	v_rndne_f32_e32 v51, v49
	s_delay_alu instid0(VALU_DEP_1) | instskip(NEXT) | instid1(VALU_DEP_1)
	v_dual_fmac_f32 v50, 0x32a5705f, v33 :: v_dual_sub_f32 v49, v49, v51
	v_add_f32_e32 v49, v49, v50
	v_cvt_i32_f32_e32 v50, v51
	s_delay_alu instid0(VALU_DEP_2) | instskip(NEXT) | instid1(TRANS32_DEP_1)
	v_exp_f32_e32 v49, v49
	v_ldexp_f32 v49, v49, v50
	s_wait_alu 0xfffd
	s_delay_alu instid0(VALU_DEP_1) | instskip(SKIP_2) | instid1(VALU_DEP_2)
	v_cndmask_b32_e32 v49, 0, v49, vcc_lo
	v_cmp_nlt_f32_e32 vcc_lo, 0x42b17218, v33
	s_wait_alu 0xfffd
	v_cndmask_b32_e32 v49, 0x7f800000, v49, vcc_lo
	v_cmp_ngt_f32_e32 vcc_lo, 0xc2ce8ed0, v48
	s_delay_alu instid0(VALU_DEP_2) | instskip(SKIP_1) | instid1(VALU_DEP_2)
	v_dual_add_f32 v33, v38, v49 :: v_dual_mul_f32 v38, 0x3fb8aa3b, v48
	v_cvt_f16_f32_e32 v56, v49
	v_fma_f32 v49, 0x3fb8aa3b, v48, -v38
	v_rndne_f32_e32 v50, v38
	s_delay_alu instid0(VALU_DEP_1) | instskip(NEXT) | instid1(VALU_DEP_1)
	v_dual_fmac_f32 v49, 0x32a5705f, v48 :: v_dual_sub_f32 v38, v38, v50
	v_add_f32_e32 v38, v38, v49
	v_cvt_i32_f32_e32 v49, v50
	s_delay_alu instid0(VALU_DEP_2) | instskip(NEXT) | instid1(TRANS32_DEP_1)
	v_exp_f32_e32 v38, v38
	v_ldexp_f32 v38, v38, v49
	s_wait_alu 0xfffd
	s_delay_alu instid0(VALU_DEP_1) | instskip(NEXT) | instid1(VALU_DEP_1)
	v_dual_mul_f32 v49, 0x3fb8aa3b, v37 :: v_dual_cndmask_b32 v38, 0, v38
	v_fma_f32 v50, 0x3fb8aa3b, v37, -v49
	v_rndne_f32_e32 v51, v49
	v_cmp_nlt_f32_e32 vcc_lo, 0x42b17218, v48
	s_delay_alu instid0(VALU_DEP_2) | instskip(SKIP_3) | instid1(VALU_DEP_3)
	v_dual_fmac_f32 v50, 0x32a5705f, v37 :: v_dual_sub_f32 v49, v49, v51
	s_wait_alu 0xfffd
	v_cndmask_b32_e32 v38, 0x7f800000, v38, vcc_lo
	v_cmp_ngt_f32_e32 vcc_lo, 0xc2ce8ed0, v37
	v_add_f32_e32 v49, v49, v50
	v_cvt_i32_f32_e32 v50, v51
	s_delay_alu instid0(VALU_DEP_4) | instskip(SKIP_1) | instid1(VALU_DEP_4)
	v_fmac_f32_e32 v33, v156, v38
	v_cvt_f16_f32_e32 v38, v38
	v_exp_f32_e32 v49, v49
	s_delay_alu instid0(VALU_DEP_1) | instskip(NEXT) | instid1(VALU_DEP_1)
	v_and_b32_e32 v38, 0xffff, v38
	v_mul_u32_u24_e32 v38, 0x10001, v38
	s_delay_alu instid0(TRANS32_DEP_1) | instskip(NEXT) | instid1(VALU_DEP_2)
	v_ldexp_f32 v49, v49, v50
	v_pk_mul_f16 v48, v136, v38
	s_wait_alu 0xfffd
	s_delay_alu instid0(VALU_DEP_2) | instskip(SKIP_2) | instid1(VALU_DEP_2)
	v_dual_sub_f32 v38, v157, v10 :: v_dual_cndmask_b32 v49, 0, v49
	v_cmp_nlt_f32_e32 vcc_lo, 0x42b17218, v37
	s_wait_alu 0xfffd
	v_cndmask_b32_e32 v37, 0x7f800000, v49, vcc_lo
	v_mul_f32_e32 v49, 0x3fb8aa3b, v34
	v_cmp_ngt_f32_e32 vcc_lo, 0xc2ce8ed0, v34
	s_delay_alu instid0(VALU_DEP_3) | instskip(NEXT) | instid1(VALU_DEP_3)
	v_cvt_f16_f32_e32 v61, v37
	v_fma_f32 v50, 0x3fb8aa3b, v34, -v49
	v_rndne_f32_e32 v51, v49
	s_delay_alu instid0(VALU_DEP_1) | instskip(NEXT) | instid1(VALU_DEP_1)
	v_dual_fmac_f32 v50, 0x32a5705f, v34 :: v_dual_sub_f32 v49, v49, v51
	v_add_f32_e32 v49, v49, v50
	v_cvt_i32_f32_e32 v50, v51
	s_delay_alu instid0(VALU_DEP_2) | instskip(NEXT) | instid1(TRANS32_DEP_1)
	v_exp_f32_e32 v49, v49
	v_ldexp_f32 v49, v49, v50
	s_wait_alu 0xfffd
	s_delay_alu instid0(VALU_DEP_1) | instskip(SKIP_2) | instid1(VALU_DEP_2)
	v_cndmask_b32_e32 v49, 0, v49, vcc_lo
	v_cmp_nlt_f32_e32 vcc_lo, 0x42b17218, v34
	s_wait_alu 0xfffd
	v_cndmask_b32_e32 v49, 0x7f800000, v49, vcc_lo
	v_cmp_ngt_f32_e32 vcc_lo, 0xc2ce8ed0, v38
	s_delay_alu instid0(VALU_DEP_2) | instskip(SKIP_1) | instid1(VALU_DEP_2)
	v_dual_add_f32 v34, v37, v49 :: v_dual_mul_f32 v37, 0x3fb8aa3b, v38
	v_cvt_f16_f32_e32 v58, v49
	v_fma_f32 v49, 0x3fb8aa3b, v38, -v37
	v_rndne_f32_e32 v50, v37
	s_delay_alu instid0(VALU_DEP_2) | instskip(NEXT) | instid1(VALU_DEP_2)
	v_fmac_f32_e32 v49, 0x32a5705f, v38
	v_sub_f32_e32 v37, v37, v50
	s_delay_alu instid0(VALU_DEP_1) | instskip(SKIP_1) | instid1(VALU_DEP_2)
	v_add_f32_e32 v37, v37, v49
	v_cvt_i32_f32_e32 v49, v50
	v_exp_f32_e32 v37, v37
	s_delay_alu instid0(TRANS32_DEP_1) | instskip(SKIP_1) | instid1(VALU_DEP_1)
	v_ldexp_f32 v37, v37, v49
	s_wait_alu 0xfffd
	v_cndmask_b32_e32 v37, 0, v37, vcc_lo
	v_cmp_nlt_f32_e32 vcc_lo, 0x42b17218, v38
	v_mul_f32_e32 v38, 0x3fb8aa3b, v36
	s_wait_alu 0xfffd
	s_delay_alu instid0(VALU_DEP_3) | instskip(NEXT) | instid1(VALU_DEP_2)
	v_cndmask_b32_e32 v37, 0x7f800000, v37, vcc_lo
	v_fma_f32 v50, 0x3fb8aa3b, v36, -v38
	v_rndne_f32_e32 v51, v38
	v_cmp_ngt_f32_e32 vcc_lo, 0xc2ce8ed0, v36
	s_delay_alu instid0(VALU_DEP_4) | instskip(NEXT) | instid1(VALU_DEP_4)
	v_fmac_f32_e32 v34, v154, v37
	v_fmac_f32_e32 v50, 0x32a5705f, v36
	s_delay_alu instid0(VALU_DEP_4) | instskip(SKIP_1) | instid1(VALU_DEP_2)
	v_sub_f32_e32 v38, v38, v51
	v_cvt_f16_f32_e32 v37, v37
	v_add_f32_e32 v38, v38, v50
	v_cvt_i32_f32_e32 v50, v51
	s_delay_alu instid0(VALU_DEP_3) | instskip(NEXT) | instid1(VALU_DEP_3)
	v_and_b32_e32 v37, 0xffff, v37
	v_exp_f32_e32 v38, v38
	s_delay_alu instid0(VALU_DEP_1) | instskip(NEXT) | instid1(VALU_DEP_1)
	v_mul_u32_u24_e32 v37, 0x10001, v37
	v_pk_mul_f16 v49, v135, v37
	v_sub_f32_e32 v37, v155, v11
	s_delay_alu instid0(TRANS32_DEP_1) | instskip(SKIP_1) | instid1(VALU_DEP_1)
	v_ldexp_f32 v38, v38, v50
	s_wait_alu 0xfffd
	v_cndmask_b32_e32 v38, 0, v38, vcc_lo
	v_cmp_nlt_f32_e32 vcc_lo, 0x42b17218, v36
	s_wait_alu 0xfffd
	s_delay_alu instid0(VALU_DEP_2) | instskip(SKIP_2) | instid1(VALU_DEP_3)
	v_cndmask_b32_e32 v36, 0x7f800000, v38, vcc_lo
	v_mul_f32_e32 v38, 0x3fb8aa3b, v35
	v_cmp_ngt_f32_e32 vcc_lo, 0xc2ce8ed0, v35
	v_cvt_f16_f32_e32 v62, v36
	s_delay_alu instid0(VALU_DEP_3) | instskip(SKIP_1) | instid1(VALU_DEP_2)
	v_fma_f32 v50, 0x3fb8aa3b, v35, -v38
	v_rndne_f32_e32 v51, v38
	v_fmac_f32_e32 v50, 0x32a5705f, v35
	s_delay_alu instid0(VALU_DEP_2) | instskip(NEXT) | instid1(VALU_DEP_1)
	v_sub_f32_e32 v38, v38, v51
	v_add_f32_e32 v38, v38, v50
	v_cvt_i32_f32_e32 v50, v51
	s_delay_alu instid0(VALU_DEP_2) | instskip(NEXT) | instid1(TRANS32_DEP_1)
	v_exp_f32_e32 v38, v38
	v_ldexp_f32 v38, v38, v50
	s_wait_alu 0xfffd
	s_delay_alu instid0(VALU_DEP_1) | instskip(SKIP_2) | instid1(VALU_DEP_2)
	v_cndmask_b32_e32 v38, 0, v38, vcc_lo
	v_cmp_nlt_f32_e32 vcc_lo, 0x42b17218, v35
	s_wait_alu 0xfffd
	v_cndmask_b32_e32 v38, 0x7f800000, v38, vcc_lo
	v_cmp_ngt_f32_e32 vcc_lo, 0xc2ce8ed0, v37
	s_delay_alu instid0(VALU_DEP_2) | instskip(SKIP_1) | instid1(VALU_DEP_2)
	v_dual_add_f32 v35, v36, v38 :: v_dual_mul_f32 v36, 0x3fb8aa3b, v37
	v_cvt_f16_f32_e32 v60, v38
	v_fma_f32 v38, 0x3fb8aa3b, v37, -v36
	v_rndne_f32_e32 v50, v36
	s_delay_alu instid0(VALU_DEP_2) | instskip(NEXT) | instid1(VALU_DEP_2)
	v_fmac_f32_e32 v38, 0x32a5705f, v37
	v_sub_f32_e32 v36, v36, v50
	s_delay_alu instid0(VALU_DEP_1) | instskip(SKIP_1) | instid1(VALU_DEP_2)
	v_add_f32_e32 v36, v36, v38
	v_cvt_i32_f32_e32 v38, v50
	v_exp_f32_e32 v36, v36
	s_delay_alu instid0(TRANS32_DEP_1) | instskip(SKIP_1) | instid1(VALU_DEP_1)
	v_ldexp_f32 v36, v36, v38
	s_wait_alu 0xfffd
	v_cndmask_b32_e32 v36, 0, v36, vcc_lo
	v_cmp_nlt_f32_e32 vcc_lo, 0x42b17218, v37
	v_sub_f32_e32 v37, v153, v12
	s_wait_alu 0xfffd
	s_delay_alu instid0(VALU_DEP_3) | instskip(SKIP_1) | instid1(VALU_DEP_2)
	v_cndmask_b32_e32 v36, 0x7f800000, v36, vcc_lo
	v_cmp_ngt_f32_e32 vcc_lo, 0xc2ce8ed0, v23
	v_fmac_f32_e32 v35, v152, v36
	v_cvt_f16_f32_e32 v36, v36
	s_delay_alu instid0(VALU_DEP_1) | instskip(NEXT) | instid1(VALU_DEP_1)
	v_and_b32_e32 v36, 0xffff, v36
	v_mul_u32_u24_e32 v36, 0x10001, v36
	s_delay_alu instid0(VALU_DEP_1) | instskip(SKIP_1) | instid1(VALU_DEP_1)
	v_pk_mul_f16 v50, v134, v36
	v_mul_f32_e32 v36, 0x3fb8aa3b, v23
	v_fma_f32 v38, 0x3fb8aa3b, v23, -v36
	v_rndne_f32_e32 v51, v36
	s_delay_alu instid0(VALU_DEP_2) | instskip(NEXT) | instid1(VALU_DEP_2)
	v_fmac_f32_e32 v38, 0x32a5705f, v23
	v_sub_f32_e32 v36, v36, v51
	s_delay_alu instid0(VALU_DEP_1) | instskip(SKIP_1) | instid1(VALU_DEP_2)
	v_add_f32_e32 v36, v36, v38
	v_cvt_i32_f32_e32 v38, v51
	v_exp_f32_e32 v36, v36
	s_delay_alu instid0(TRANS32_DEP_1) | instskip(SKIP_1) | instid1(VALU_DEP_1)
	v_ldexp_f32 v36, v36, v38
	s_wait_alu 0xfffd
	v_cndmask_b32_e32 v36, 0, v36, vcc_lo
	v_cmp_nlt_f32_e32 vcc_lo, 0x42b17218, v23
	s_wait_alu 0xfffd
	s_delay_alu instid0(VALU_DEP_2) | instskip(SKIP_2) | instid1(VALU_DEP_3)
	v_cndmask_b32_e32 v23, 0x7f800000, v36, vcc_lo
	v_mul_f32_e32 v36, 0x3fb8aa3b, v22
	v_cmp_ngt_f32_e32 vcc_lo, 0xc2ce8ed0, v22
	v_cvt_f16_f32_e32 v63, v23
	s_delay_alu instid0(VALU_DEP_3) | instskip(SKIP_1) | instid1(VALU_DEP_2)
	v_fma_f32 v38, 0x3fb8aa3b, v22, -v36
	v_rndne_f32_e32 v51, v36
	v_fmac_f32_e32 v38, 0x32a5705f, v22
	s_delay_alu instid0(VALU_DEP_2) | instskip(NEXT) | instid1(VALU_DEP_1)
	v_sub_f32_e32 v36, v36, v51
	v_add_f32_e32 v36, v36, v38
	v_cvt_i32_f32_e32 v38, v51
	s_delay_alu instid0(VALU_DEP_2) | instskip(NEXT) | instid1(TRANS32_DEP_1)
	v_exp_f32_e32 v36, v36
	v_ldexp_f32 v36, v36, v38
	s_wait_alu 0xfffd
	s_delay_alu instid0(VALU_DEP_1) | instskip(SKIP_2) | instid1(VALU_DEP_2)
	v_cndmask_b32_e32 v36, 0, v36, vcc_lo
	v_cmp_nlt_f32_e32 vcc_lo, 0x42b17218, v22
	s_wait_alu 0xfffd
	v_cndmask_b32_e32 v22, 0x7f800000, v36, vcc_lo
	v_cmp_ngt_f32_e32 vcc_lo, 0xc2ce8ed0, v37
	s_delay_alu instid0(VALU_DEP_2) | instskip(SKIP_1) | instid1(VALU_DEP_2)
	v_dual_add_f32 v36, v23, v22 :: v_dual_mul_f32 v23, 0x3fb8aa3b, v37
	v_cvt_f16_f32_e32 v22, v22
	v_fma_f32 v38, 0x3fb8aa3b, v37, -v23
	v_rndne_f32_e32 v51, v23
	s_delay_alu instid0(VALU_DEP_1) | instskip(NEXT) | instid1(VALU_DEP_1)
	v_dual_fmac_f32 v38, 0x32a5705f, v37 :: v_dual_sub_f32 v23, v23, v51
	v_add_f32_e32 v23, v23, v38
	v_cvt_i32_f32_e32 v38, v51
	s_delay_alu instid0(VALU_DEP_2) | instskip(NEXT) | instid1(TRANS32_DEP_1)
	v_exp_f32_e32 v23, v23
	v_ldexp_f32 v23, v23, v38
	s_wait_alu 0xfffd
	s_delay_alu instid0(VALU_DEP_1) | instskip(SKIP_3) | instid1(VALU_DEP_3)
	v_cndmask_b32_e32 v23, 0, v23, vcc_lo
	v_cmp_nlt_f32_e32 vcc_lo, 0x42b17218, v37
	v_mul_f32_e32 v37, 0x3fb8aa3b, v21
	s_wait_alu 0xfffd
	v_cndmask_b32_e32 v23, 0x7f800000, v23, vcc_lo
	s_delay_alu instid0(VALU_DEP_2) | instskip(SKIP_2) | instid1(VALU_DEP_4)
	v_fma_f32 v38, 0x3fb8aa3b, v21, -v37
	v_rndne_f32_e32 v52, v37
	v_cmp_ngt_f32_e32 vcc_lo, 0xc2ce8ed0, v21
	v_fmac_f32_e32 v36, v150, v23
	s_delay_alu instid0(VALU_DEP_3) | instskip(SKIP_1) | instid1(VALU_DEP_2)
	v_dual_fmac_f32 v38, 0x32a5705f, v21 :: v_dual_sub_f32 v37, v37, v52
	v_cvt_f16_f32_e32 v23, v23
	v_add_f32_e32 v37, v37, v38
	v_cvt_i32_f32_e32 v38, v52
	s_delay_alu instid0(VALU_DEP_3) | instskip(NEXT) | instid1(VALU_DEP_3)
	v_and_b32_e32 v23, 0xffff, v23
	v_exp_f32_e32 v37, v37
	s_delay_alu instid0(VALU_DEP_1) | instskip(NEXT) | instid1(VALU_DEP_1)
	v_mul_u32_u24_e32 v23, 0x10001, v23
	v_pk_mul_f16 v51, v133, v23
	v_sub_f32_e32 v23, v151, v13
	s_delay_alu instid0(TRANS32_DEP_1) | instskip(SKIP_1) | instid1(VALU_DEP_1)
	v_ldexp_f32 v37, v37, v38
	s_wait_alu 0xfffd
	v_cndmask_b32_e32 v37, 0, v37, vcc_lo
	v_cmp_nlt_f32_e32 vcc_lo, 0x42b17218, v21
	s_wait_alu 0xfffd
	s_delay_alu instid0(VALU_DEP_2) | instskip(SKIP_2) | instid1(VALU_DEP_3)
	v_cndmask_b32_e32 v21, 0x7f800000, v37, vcc_lo
	v_mul_f32_e32 v37, 0x3fb8aa3b, v20
	v_cmp_ngt_f32_e32 vcc_lo, 0xc2ce8ed0, v20
	v_cvt_f16_f32_e64 v133, v21
	s_delay_alu instid0(VALU_DEP_3) | instskip(SKIP_1) | instid1(VALU_DEP_2)
	v_fma_f32 v38, 0x3fb8aa3b, v20, -v37
	v_rndne_f32_e32 v52, v37
	v_fmac_f32_e32 v38, 0x32a5705f, v20
	s_delay_alu instid0(VALU_DEP_2) | instskip(SKIP_2) | instid1(VALU_DEP_3)
	v_sub_f32_e32 v37, v37, v52
	v_fmac_f32_e32 v31, v161, v46
	v_cvt_f16_f32_e32 v46, v46
	v_add_f32_e32 v37, v37, v38
	v_cvt_i32_f32_e32 v38, v52
	s_delay_alu instid0(VALU_DEP_2) | instskip(NEXT) | instid1(TRANS32_DEP_1)
	v_exp_f32_e32 v37, v37
	v_ldexp_f32 v37, v37, v38
	s_wait_alu 0xfffd
	s_delay_alu instid0(VALU_DEP_1) | instskip(SKIP_1) | instid1(VALU_DEP_2)
	v_dual_cndmask_b32 v37, 0, v37 :: v_dual_and_b32 v46, 0xffff, v46
	v_cmp_nlt_f32_e32 vcc_lo, 0x42b17218, v20
	v_mul_u32_u24_e32 v46, 0x10001, v46
	s_wait_alu 0xfffd
	s_delay_alu instid0(VALU_DEP_3) | instskip(SKIP_1) | instid1(VALU_DEP_3)
	v_cndmask_b32_e32 v20, 0x7f800000, v37, vcc_lo
	v_cmp_ngt_f32_e32 vcc_lo, 0xc2ce8ed0, v23
	v_pk_mul_f16 v46, v138, v46
	s_delay_alu instid0(VALU_DEP_3) | instskip(SKIP_2) | instid1(VALU_DEP_2)
	v_add_f32_e32 v37, v21, v20
	v_mul_f32_e32 v21, 0x3fb8aa3b, v23
	v_cvt_f16_f32_e32 v20, v20
	v_fma_f32 v38, 0x3fb8aa3b, v23, -v21
	v_rndne_f32_e32 v52, v21
	s_delay_alu instid0(VALU_DEP_1) | instskip(NEXT) | instid1(VALU_DEP_1)
	v_dual_fmac_f32 v38, 0x32a5705f, v23 :: v_dual_sub_f32 v21, v21, v52
	v_add_f32_e32 v21, v21, v38
	v_cvt_i32_f32_e32 v38, v52
	s_delay_alu instid0(VALU_DEP_2) | instskip(NEXT) | instid1(TRANS32_DEP_1)
	v_exp_f32_e32 v21, v21
	v_ldexp_f32 v21, v21, v38
	s_wait_alu 0xfffd
	s_delay_alu instid0(VALU_DEP_1) | instskip(SKIP_3) | instid1(VALU_DEP_3)
	v_cndmask_b32_e32 v21, 0, v21, vcc_lo
	v_cmp_nlt_f32_e32 vcc_lo, 0x42b17218, v23
	v_mul_f32_e32 v23, 0x3fb8aa3b, v19
	s_wait_alu 0xfffd
	v_cndmask_b32_e32 v21, 0x7f800000, v21, vcc_lo
	s_delay_alu instid0(VALU_DEP_2) | instskip(SKIP_2) | instid1(VALU_DEP_3)
	v_fma_f32 v38, 0x3fb8aa3b, v19, -v23
	v_rndne_f32_e32 v53, v23
	v_cmp_ngt_f32_e32 vcc_lo, 0xc2ce8ed0, v19
	v_dual_fmac_f32 v37, v148, v21 :: v_dual_fmac_f32 v38, 0x32a5705f, v19
	s_delay_alu instid0(VALU_DEP_3) | instskip(SKIP_3) | instid1(VALU_DEP_4)
	v_sub_f32_e32 v23, v23, v53
	v_cvt_f16_f32_e32 v21, v21
	v_fmac_f32_e32 v32, v158, v47
	v_cvt_f16_f32_e32 v47, v47
	v_add_f32_e32 v23, v23, v38
	v_cvt_i32_f32_e32 v38, v53
	v_and_b32_e32 v21, 0xffff, v21
	s_delay_alu instid0(VALU_DEP_4) | instskip(NEXT) | instid1(VALU_DEP_4)
	v_and_b32_e32 v47, 0xffff, v47
	v_exp_f32_e32 v23, v23
	s_delay_alu instid0(VALU_DEP_2) | instskip(NEXT) | instid1(VALU_DEP_2)
	v_mul_u32_u24_e32 v21, 0x10001, v21
	v_mul_u32_u24_e32 v47, 0x10001, v47
	s_delay_alu instid0(VALU_DEP_2) | instskip(SKIP_1) | instid1(VALU_DEP_3)
	v_pk_mul_f16 v52, v132, v21
	v_sub_f32_e32 v21, v149, v14
	v_pk_mul_f16 v47, v137, v47
	s_delay_alu instid0(TRANS32_DEP_1) | instskip(SKIP_1) | instid1(VALU_DEP_1)
	v_ldexp_f32 v23, v23, v38
	s_wait_alu 0xfffd
	v_dual_mul_f32 v38, 0x3fb8aa3b, v18 :: v_dual_cndmask_b32 v23, 0, v23
	s_delay_alu instid0(VALU_DEP_1) | instskip(SKIP_2) | instid1(VALU_DEP_3)
	v_fma_f32 v53, 0x3fb8aa3b, v18, -v38
	v_rndne_f32_e32 v54, v38
	v_cmp_nlt_f32_e32 vcc_lo, 0x42b17218, v19
	v_fmac_f32_e32 v53, 0x32a5705f, v18
	s_wait_alu 0xfffd
	s_delay_alu instid0(VALU_DEP_3) | instskip(SKIP_1) | instid1(VALU_DEP_2)
	v_dual_sub_f32 v38, v38, v54 :: v_dual_cndmask_b32 v19, 0x7f800000, v23
	v_cmp_ngt_f32_e32 vcc_lo, 0xc2ce8ed0, v18
	v_add_f32_e32 v38, v38, v53
	v_cvt_i32_f32_e32 v53, v54
	s_delay_alu instid0(VALU_DEP_4) | instskip(NEXT) | instid1(VALU_DEP_3)
	v_cvt_f16_f32_e32 v23, v19
	v_exp_f32_e32 v38, v38
	s_delay_alu instid0(TRANS32_DEP_1) | instskip(SKIP_1) | instid1(VALU_DEP_1)
	v_ldexp_f32 v38, v38, v53
	s_wait_alu 0xfffd
	v_cndmask_b32_e32 v38, 0, v38, vcc_lo
	v_cmp_nlt_f32_e32 vcc_lo, 0x42b17218, v18
	s_wait_alu 0xfffd
	s_delay_alu instid0(VALU_DEP_2) | instskip(SKIP_1) | instid1(VALU_DEP_2)
	v_cndmask_b32_e32 v18, 0x7f800000, v38, vcc_lo
	v_cmp_ngt_f32_e32 vcc_lo, 0xc2ce8ed0, v21
	v_add_f32_e32 v38, v19, v18
	v_cvt_f16_f32_e64 v132, v18
	v_mul_f32_e32 v18, 0x3fb8aa3b, v21
	s_delay_alu instid0(VALU_DEP_1) | instskip(SKIP_1) | instid1(VALU_DEP_2)
	v_fma_f32 v19, 0x3fb8aa3b, v21, -v18
	v_rndne_f32_e32 v53, v18
	v_fmac_f32_e32 v19, 0x32a5705f, v21
	s_delay_alu instid0(VALU_DEP_2) | instskip(NEXT) | instid1(VALU_DEP_1)
	v_sub_f32_e32 v18, v18, v53
	v_add_f32_e32 v18, v18, v19
	v_cvt_i32_f32_e32 v19, v53
	s_delay_alu instid0(VALU_DEP_2) | instskip(NEXT) | instid1(TRANS32_DEP_1)
	v_exp_f32_e32 v18, v18
	v_ldexp_f32 v18, v18, v19
	s_wait_alu 0xfffd
	s_delay_alu instid0(VALU_DEP_1) | instskip(SKIP_1) | instid1(VALU_DEP_2)
	v_dual_mul_f32 v19, 0x3fb8aa3b, v17 :: v_dual_cndmask_b32 v18, 0, v18
	v_cmp_nlt_f32_e32 vcc_lo, 0x42b17218, v21
	v_fma_f32 v21, 0x3fb8aa3b, v17, -v19
	v_rndne_f32_e32 v54, v19
	s_wait_alu 0xfffd
	v_cndmask_b32_e32 v18, 0x7f800000, v18, vcc_lo
	s_delay_alu instid0(VALU_DEP_3) | instskip(NEXT) | instid1(VALU_DEP_3)
	v_fmac_f32_e32 v21, 0x32a5705f, v17
	v_sub_f32_e32 v19, v19, v54
	v_cmp_ngt_f32_e32 vcc_lo, 0xc2ce8ed0, v17
	s_delay_alu instid0(VALU_DEP_4) | instskip(SKIP_1) | instid1(VALU_DEP_4)
	v_fmac_f32_e32 v38, v146, v18
	v_cvt_f16_f32_e32 v18, v18
	v_add_f32_e32 v19, v19, v21
	v_cvt_i32_f32_e32 v21, v54
	s_delay_alu instid0(VALU_DEP_3) | instskip(NEXT) | instid1(VALU_DEP_3)
	v_and_b32_e32 v18, 0xffff, v18
	v_exp_f32_e32 v19, v19
	s_delay_alu instid0(VALU_DEP_1) | instskip(NEXT) | instid1(VALU_DEP_1)
	v_mul_u32_u24_e32 v18, 0x10001, v18
	v_pk_mul_f16 v53, v131, v18
	s_delay_alu instid0(TRANS32_DEP_1) | instskip(SKIP_2) | instid1(VALU_DEP_2)
	v_ldexp_f32 v19, v19, v21
	v_dual_mul_f32 v21, 0x3fb8aa3b, v16 :: v_dual_sub_f32 v18, v147, v15
	s_wait_alu 0xfffd
	v_cndmask_b32_e32 v19, 0, v19, vcc_lo
	s_delay_alu instid0(VALU_DEP_2) | instskip(SKIP_2) | instid1(VALU_DEP_2)
	v_fma_f32 v54, 0x3fb8aa3b, v16, -v21
	v_rndne_f32_e32 v131, v21
	v_cmp_nlt_f32_e32 vcc_lo, 0x42b17218, v17
	v_dual_fmac_f32 v54, 0x32a5705f, v16 :: v_dual_sub_f32 v21, v21, v131
	s_wait_alu 0xfffd
	v_cndmask_b32_e32 v17, 0x7f800000, v19, vcc_lo
	v_cmp_ngt_f32_e32 vcc_lo, 0xc2ce8ed0, v16
	s_delay_alu instid0(VALU_DEP_3) | instskip(SKIP_1) | instid1(VALU_DEP_4)
	v_add_f32_e32 v21, v21, v54
	v_cvt_i32_f32_e32 v54, v131
	v_cvt_f16_f32_e32 v19, v17
	s_delay_alu instid0(VALU_DEP_3) | instskip(NEXT) | instid1(VALU_DEP_1)
	v_exp_f32_e32 v21, v21
	v_pack_b32_f16 v19, v23, v19
	s_delay_alu instid0(TRANS32_DEP_1) | instskip(SKIP_1) | instid1(VALU_DEP_1)
	v_ldexp_f32 v21, v21, v54
	s_wait_alu 0xfffd
	v_cndmask_b32_e32 v21, 0, v21, vcc_lo
	v_cmp_nlt_f32_e32 vcc_lo, 0x42b17218, v16
	s_wait_alu 0xfffd
	s_delay_alu instid0(VALU_DEP_2) | instskip(SKIP_1) | instid1(VALU_DEP_2)
	v_cndmask_b32_e32 v16, 0x7f800000, v21, vcc_lo
	v_cmp_ngt_f32_e32 vcc_lo, 0xc2ce8ed0, v18
	v_add_f32_e32 v17, v17, v16
	v_cvt_f16_f32_e32 v21, v16
	v_mul_f32_e32 v16, 0x3fb8aa3b, v18
	s_delay_alu instid0(VALU_DEP_1) | instskip(SKIP_1) | instid1(VALU_DEP_2)
	v_fma_f32 v54, 0x3fb8aa3b, v18, -v16
	v_rndne_f32_e32 v131, v16
	v_fmac_f32_e32 v54, 0x32a5705f, v18
	s_delay_alu instid0(VALU_DEP_2) | instskip(NEXT) | instid1(VALU_DEP_1)
	v_sub_f32_e32 v16, v16, v131
	v_add_f32_e32 v16, v16, v54
	v_cvt_i32_f32_e32 v54, v131
	s_delay_alu instid0(VALU_DEP_2) | instskip(NEXT) | instid1(TRANS32_DEP_1)
	v_exp_f32_e32 v16, v16
	v_ldexp_f32 v16, v16, v54
	s_wait_alu 0xfffd
	s_delay_alu instid0(VALU_DEP_1)
	v_cndmask_b32_e32 v16, 0, v16, vcc_lo
	v_cmp_nlt_f32_e32 vcc_lo, 0x42b17218, v18
	v_mov_b32_e32 v18, v100
	v_mov_b32_e32 v100, v17
	v_pack_b32_f16 v17, v61, v62
	s_wait_alu 0xfffd
	v_cndmask_b32_e32 v16, 0x7f800000, v16, vcc_lo
	s_delay_alu instid0(VALU_DEP_1) | instskip(SKIP_2) | instid1(VALU_DEP_2)
	v_fmac_f32_e32 v100, v18, v16
	v_cvt_f16_f32_e32 v16, v16
	v_pack_b32_f16 v18, v63, v133
	v_and_b32_e32 v16, 0xffff, v16
	s_delay_alu instid0(VALU_DEP_1) | instskip(NEXT) | instid1(VALU_DEP_1)
	v_mul_u32_u24_e32 v16, 0x10001, v16
	v_pk_mul_f16 v54, v130, v16
	v_pack_b32_f16 v16, v57, v59
	ds_store_b128 v122, v[16:19] offset:1024
	v_pack_b32_f16 v19, v132, v21
	v_pack_b32_f16 v18, v22, v20
	v_pack_b32_f16 v17, v58, v60
	v_pack_b32_f16 v16, v55, v56
	ds_store_b128 v122, v[16:19] offset:1536
	s_wait_alu 0xfffe
	v_add_co_u32 v16, vcc_lo, s24, v72
	s_wait_alu 0xfffd
	v_add_co_ci_u32_e64 v17, null, s25, v73, vcc_lo
	s_delay_alu instid0(VALU_DEP_2) | instskip(SKIP_1) | instid1(VALU_DEP_2)
	v_add_co_u32 v22, vcc_lo, v16, v121
	s_wait_alu 0xfffd
	v_add_co_ci_u32_e64 v23, null, 0, v17, vcc_lo
	v_add_co_u32 v16, vcc_lo, s24, v74
	s_wait_alu 0xfffd
	v_add_co_ci_u32_e64 v17, null, s25, v75, vcc_lo
	global_load_b128 v[55:58], v[22:23], off
	v_add_co_u32 v20, vcc_lo, v16, v121
	s_wait_alu 0xfffd
	v_add_co_ci_u32_e64 v21, null, 0, v17, vcc_lo
	v_add_co_u32 v16, vcc_lo, s24, v76
	s_wait_alu 0xfffd
	v_add_co_ci_u32_e64 v17, null, s25, v77, vcc_lo
	global_load_b128 v[20:23], v[20:21], off
	v_add_co_u32 v18, vcc_lo, v16, v121
	s_wait_alu 0xfffd
	v_add_co_ci_u32_e64 v19, null, 0, v17, vcc_lo
	v_add_co_u32 v16, vcc_lo, s24, v78
	s_wait_alu 0xfffd
	v_add_co_ci_u32_e64 v17, null, s25, v79, vcc_lo
	s_delay_alu instid0(VALU_DEP_2) | instskip(SKIP_1) | instid1(VALU_DEP_2)
	v_add_co_u32 v16, vcc_lo, v16, v121
	s_wait_alu 0xfffd
	v_add_co_ci_u32_e64 v17, null, 0, v17, vcc_lo
	s_wait_loadcnt 0x1
	ds_store_b128 v116, v[55:58]
	s_wait_loadcnt 0x0
	ds_store_b128 v118, v[20:23]
	global_load_b128 v[18:21], v[18:19], off
	s_wait_loadcnt 0x0
	ds_store_b128 v119, v[18:21]
	global_load_b128 v[16:19], v[16:17], off
	s_wait_loadcnt 0x0
	ds_store_b128 v120, v[16:19]
	s_wait_dscnt 0x0
	s_barrier_signal -1
	s_barrier_wait -1
	global_inv scope:SCOPE_SE
	ds_load_2addr_b32 v[130:131], v107 offset1:32
	ds_load_b128 v[16:19], v117
	ds_load_b128 v[20:23], v117 offset:16
	ds_load_b128 v[55:58], v117 offset:32
	;; [unrolled: 1-line block ×3, first 2 shown]
	s_wait_dscnt 0x3
	v_lshrrev_b32_e32 v63, 16, v16
	v_and_b32_e32 v16, 0xffff, v16
	v_lshrrev_b32_e32 v132, 16, v17
	v_lshrrev_b32_e32 v133, 16, v18
	;; [unrolled: 1-line block ×3, first 2 shown]
	v_mul_u32_u24_e32 v63, 0x10001, v63
	v_mul_u32_u24_e32 v135, 0x10001, v16
	v_and_b32_e32 v16, 0xffff, v17
	v_mul_u32_u24_e32 v132, 0x10001, v132
	v_mul_u32_u24_e32 v133, 0x10001, v133
	v_pk_fma_f16 v40, v130, v63, v40
	v_mul_u32_u24_e32 v134, 0x10001, v134
	v_mul_u32_u24_e32 v136, 0x10001, v16
	v_and_b32_e32 v16, 0xffff, v18
	v_pk_fma_f16 v39, v130, v135, v39
	v_pk_fma_f16 v42, v130, v132, v42
	;; [unrolled: 1-line block ×4, first 2 shown]
	v_mul_u32_u24_e32 v137, 0x10001, v16
	v_and_b32_e32 v16, 0xffff, v19
	v_pk_fma_f16 v46, v130, v134, v46
	s_delay_alu instid0(VALU_DEP_3) | instskip(NEXT) | instid1(VALU_DEP_3)
	v_pk_fma_f16 v43, v130, v137, v43
	v_mul_u32_u24_e32 v138, 0x10001, v16
	ds_load_b128 v[16:19], v117 offset:1024
	v_pk_fma_f16 v45, v130, v138, v45
	s_wait_dscnt 0x0
	v_lshrrev_b32_e32 v139, 16, v16
	v_and_b32_e32 v16, 0xffff, v16
	v_lshrrev_b32_e32 v140, 16, v17
	v_and_b32_e32 v17, 0xffff, v17
	v_lshrrev_b32_e32 v141, 16, v18
	v_lshrrev_b32_e32 v142, 16, v19
	v_mul_u32_u24_e32 v16, 0x10001, v16
	v_and_b32_e32 v18, 0xffff, v18
	v_mul_u32_u24_e32 v17, 0x10001, v17
	v_and_b32_e32 v19, 0xffff, v19
	v_mul_u32_u24_e32 v139, 0x10001, v139
	v_pk_fma_f16 v47, v130, v16, v47
	v_lshrrev_b32_e32 v16, 16, v20
	v_mul_u32_u24_e32 v18, 0x10001, v18
	v_mul_u32_u24_e32 v19, 0x10001, v19
	v_pk_fma_f16 v49, v130, v17, v49
	v_lshrrev_b32_e32 v17, 16, v21
	v_mul_u32_u24_e32 v63, 0x10001, v16
	v_and_b32_e32 v16, 0xffff, v21
	v_mul_u32_u24_e32 v140, 0x10001, v140
	v_mul_u32_u24_e32 v141, 0x10001, v141
	;; [unrolled: 1-line block ×3, first 2 shown]
	v_pk_fma_f16 v51, v130, v18, v51
	v_mul_u32_u24_e32 v21, 0x10001, v16
	v_and_b32_e32 v16, 0xffff, v22
	v_pk_fma_f16 v53, v130, v19, v53
	v_lshrrev_b32_e32 v18, 16, v22
	v_lshrrev_b32_e32 v19, 16, v23
	v_pk_fma_f16 v48, v130, v139, v48
	v_mul_u32_u24_e32 v22, 0x10001, v16
	v_and_b32_e32 v16, 0xffff, v23
	v_pk_fma_f16 v50, v130, v140, v50
	v_pk_fma_f16 v52, v130, v141, v52
	;; [unrolled: 1-line block ×3, first 2 shown]
	v_mul_u32_u24_e32 v130, 0x10001, v17
	v_mul_u32_u24_e32 v132, 0x10001, v18
	;; [unrolled: 1-line block ×4, first 2 shown]
	ds_load_b128 v[16:19], v117 offset:1040
	v_pk_fma_f16 v22, v131, v22, v43
	v_pk_fma_f16 v43, v131, v132, v44
	;; [unrolled: 1-line block ×4, first 2 shown]
	v_and_b32_e32 v20, 0xffff, v20
	v_pk_fma_f16 v40, v131, v63, v40
	v_pk_fma_f16 v42, v131, v130, v42
	;; [unrolled: 1-line block ×3, first 2 shown]
	s_delay_alu instid0(VALU_DEP_4) | instskip(NEXT) | instid1(VALU_DEP_1)
	v_mul_u32_u24_e32 v20, 0x10001, v20
	v_pk_fma_f16 v39, v131, v20, v39
	ds_load_2addr_b32 v[20:21], v107 offset0:64 offset1:96
	s_wait_dscnt 0x1
	v_lshrrev_b32_e32 v134, 16, v16
	v_and_b32_e32 v16, 0xffff, v16
	v_lshrrev_b32_e32 v135, 16, v17
	v_lshrrev_b32_e32 v136, 16, v18
	;; [unrolled: 1-line block ×3, first 2 shown]
	v_mul_u32_u24_e32 v134, 0x10001, v134
	v_mul_u32_u24_e32 v16, 0x10001, v16
	v_and_b32_e32 v17, 0xffff, v17
	v_mul_u32_u24_e32 v135, 0x10001, v135
	v_and_b32_e32 v18, 0xffff, v18
	;; [unrolled: 2-line block ×3, first 2 shown]
	v_mul_u32_u24_e32 v137, 0x10001, v137
	v_pk_fma_f16 v45, v131, v16, v47
	v_lshrrev_b32_e32 v16, 16, v55
	v_mul_u32_u24_e32 v17, 0x10001, v17
	v_mul_u32_u24_e32 v18, 0x10001, v18
	;; [unrolled: 1-line block ×3, first 2 shown]
	v_pk_fma_f16 v46, v131, v134, v48
	v_pk_fma_f16 v48, v131, v135, v50
	;; [unrolled: 1-line block ×4, first 2 shown]
	v_mul_u32_u24_e32 v54, 0x10001, v16
	v_and_b32_e32 v16, 0xffff, v56
	v_pk_fma_f16 v47, v131, v17, v49
	v_pk_fma_f16 v49, v131, v18, v51
	;; [unrolled: 1-line block ×3, first 2 shown]
	v_and_b32_e32 v53, 0xffff, v55
	v_mul_u32_u24_e32 v55, 0x10001, v16
	v_and_b32_e32 v16, 0xffff, v57
	v_lshrrev_b32_e32 v17, 16, v56
	v_lshrrev_b32_e32 v18, 16, v57
	;; [unrolled: 1-line block ×3, first 2 shown]
	v_mul_u32_u24_e32 v53, 0x10001, v53
	v_mul_u32_u24_e32 v57, 0x10001, v16
	v_and_b32_e32 v16, 0xffff, v58
	v_mul_u32_u24_e32 v56, 0x10001, v17
	v_mul_u32_u24_e32 v63, 0x10001, v18
	;; [unrolled: 1-line block ×3, first 2 shown]
	s_wait_dscnt 0x0
	v_pk_fma_f16 v39, v20, v53, v39
	v_mul_u32_u24_e32 v58, 0x10001, v16
	ds_load_b128 v[16:19], v117 offset:1056
	v_pk_fma_f16 v40, v20, v54, v40
	v_pk_fma_f16 v42, v20, v56, v42
	;; [unrolled: 1-line block ×7, first 2 shown]
	s_wait_dscnt 0x0
	v_lshrrev_b32_e32 v131, 16, v16
	v_and_b32_e32 v16, 0xffff, v16
	v_lshrrev_b32_e32 v132, 16, v17
	v_lshrrev_b32_e32 v133, 16, v18
	;; [unrolled: 1-line block ×3, first 2 shown]
	v_and_b32_e32 v17, 0xffff, v17
	v_mul_u32_u24_e32 v16, 0x10001, v16
	v_and_b32_e32 v18, 0xffff, v18
	v_and_b32_e32 v19, 0xffff, v19
	v_mul_u32_u24_e32 v131, 0x10001, v131
	v_mul_u32_u24_e32 v17, 0x10001, v17
	v_pk_fma_f16 v45, v20, v16, v45
	v_lshrrev_b32_e32 v16, 16, v59
	v_mul_u32_u24_e32 v18, 0x10001, v18
	v_mul_u32_u24_e32 v19, 0x10001, v19
	;; [unrolled: 1-line block ×5, first 2 shown]
	v_and_b32_e32 v16, 0xffff, v60
	v_mul_u32_u24_e32 v134, 0x10001, v134
	v_pk_fma_f16 v47, v20, v17, v47
	v_pk_fma_f16 v49, v20, v18, v49
	;; [unrolled: 1-line block ×3, first 2 shown]
	v_mul_u32_u24_e32 v54, 0x10001, v16
	v_and_b32_e32 v16, 0xffff, v61
	v_lshrrev_b32_e32 v17, 16, v60
	v_lshrrev_b32_e32 v18, 16, v61
	;; [unrolled: 1-line block ×3, first 2 shown]
	v_pk_fma_f16 v46, v20, v131, v46
	v_mul_u32_u24_e32 v56, 0x10001, v16
	v_and_b32_e32 v16, 0xffff, v62
	v_pk_fma_f16 v48, v20, v132, v48
	v_pk_fma_f16 v50, v20, v133, v50
	;; [unrolled: 1-line block ×3, first 2 shown]
	v_and_b32_e32 v52, 0xffff, v59
	v_mul_u32_u24_e32 v55, 0x10001, v17
	v_mul_u32_u24_e32 v57, 0x10001, v18
	v_mul_u32_u24_e32 v58, 0x10001, v16
	v_mul_u32_u24_e32 v59, 0x10001, v19
	ds_load_b128 v[16:19], v117 offset:1072
	v_mul_u32_u24_e32 v52, 0x10001, v52
	v_pk_fma_f16 v40, v21, v53, v40
	v_pk_fma_f16 v41, v21, v54, v41
	v_pk_fma_f16 v42, v21, v55, v42
	v_pk_fma_f16 v22, v21, v56, v22
	v_pk_fma_f16 v39, v21, v52, v39
	v_pk_fma_f16 v43, v21, v57, v43
	v_pk_fma_f16 v23, v21, v58, v23
	v_pk_fma_f16 v44, v21, v59, v44
	s_wait_dscnt 0x0
	v_lshrrev_b32_e32 v60, 16, v16
	v_lshrrev_b32_e32 v61, 16, v17
	;; [unrolled: 1-line block ×4, first 2 shown]
	v_and_b32_e32 v16, 0xffff, v16
	v_and_b32_e32 v17, 0xffff, v17
	;; [unrolled: 1-line block ×4, first 2 shown]
	v_mul_u32_u24_e32 v60, 0x10001, v60
	v_mul_u32_u24_e32 v16, 0x10001, v16
	;; [unrolled: 1-line block ×8, first 2 shown]
	v_pk_fma_f16 v45, v21, v16, v45
	v_pk_fma_f16 v46, v21, v60, v46
	;; [unrolled: 1-line block ×8, first 2 shown]
	ds_load_2addr_b32 v[20:21], v107 offset0:128 offset1:160
	ds_load_b128 v[16:19], v117 offset:64
	s_wait_dscnt 0x0
	v_lshrrev_b32_e32 v53, 16, v16
	v_and_b32_e32 v16, 0xffff, v16
	v_lshrrev_b32_e32 v54, 16, v17
	v_lshrrev_b32_e32 v55, 16, v18
	;; [unrolled: 1-line block ×3, first 2 shown]
	v_mul_u32_u24_e32 v53, 0x10001, v53
	v_mul_u32_u24_e32 v57, 0x10001, v16
	v_and_b32_e32 v16, 0xffff, v17
	v_mul_u32_u24_e32 v54, 0x10001, v54
	v_mul_u32_u24_e32 v55, 0x10001, v55
	;; [unrolled: 1-line block ×3, first 2 shown]
	v_pk_fma_f16 v39, v20, v57, v39
	v_mul_u32_u24_e32 v58, 0x10001, v16
	v_and_b32_e32 v16, 0xffff, v18
	v_pk_fma_f16 v40, v20, v53, v40
	v_pk_fma_f16 v42, v20, v54, v42
	;; [unrolled: 1-line block ×4, first 2 shown]
	v_mul_u32_u24_e32 v59, 0x10001, v16
	v_and_b32_e32 v16, 0xffff, v19
	v_pk_fma_f16 v44, v20, v56, v44
	s_delay_alu instid0(VALU_DEP_3) | instskip(NEXT) | instid1(VALU_DEP_3)
	v_pk_fma_f16 v22, v20, v59, v22
	v_mul_u32_u24_e32 v60, 0x10001, v16
	ds_load_b128 v[16:19], v117 offset:1088
	v_pk_fma_f16 v23, v20, v60, v23
	s_wait_dscnt 0x0
	v_lshrrev_b32_e32 v61, 16, v16
	v_lshrrev_b32_e32 v62, 16, v17
	;; [unrolled: 1-line block ×4, first 2 shown]
	v_and_b32_e32 v16, 0xffff, v16
	v_and_b32_e32 v17, 0xffff, v17
	;; [unrolled: 1-line block ×4, first 2 shown]
	v_mul_u32_u24_e32 v61, 0x10001, v61
	v_mul_u32_u24_e32 v16, 0x10001, v16
	;; [unrolled: 1-line block ×6, first 2 shown]
	v_pk_fma_f16 v45, v20, v16, v45
	v_pk_fma_f16 v47, v20, v17, v47
	;; [unrolled: 1-line block ×4, first 2 shown]
	ds_load_b128 v[16:19], v117 offset:80
	v_mul_u32_u24_e32 v63, 0x10001, v63
	v_mul_u32_u24_e32 v130, 0x10001, v130
	v_pk_fma_f16 v46, v20, v61, v46
	v_pk_fma_f16 v48, v20, v62, v48
	s_delay_alu instid0(VALU_DEP_4) | instskip(NEXT) | instid1(VALU_DEP_4)
	v_pk_fma_f16 v50, v20, v63, v50
	v_pk_fma_f16 v20, v20, v130, v52
	s_wait_dscnt 0x0
	v_lshrrev_b32_e32 v52, 16, v16
	v_and_b32_e32 v16, 0xffff, v16
	v_lshrrev_b32_e32 v53, 16, v17
	v_lshrrev_b32_e32 v54, 16, v18
	;; [unrolled: 1-line block ×3, first 2 shown]
	v_mul_u32_u24_e32 v52, 0x10001, v52
	v_mul_u32_u24_e32 v56, 0x10001, v16
	v_and_b32_e32 v16, 0xffff, v17
	v_mul_u32_u24_e32 v53, 0x10001, v53
	v_mul_u32_u24_e32 v54, 0x10001, v54
	v_mul_u32_u24_e32 v55, 0x10001, v55
	v_pk_fma_f16 v39, v21, v56, v39
	v_mul_u32_u24_e32 v57, 0x10001, v16
	v_and_b32_e32 v16, 0xffff, v18
	v_pk_fma_f16 v40, v21, v52, v40
	v_pk_fma_f16 v42, v21, v53, v42
	;; [unrolled: 1-line block ×4, first 2 shown]
	v_mul_u32_u24_e32 v58, 0x10001, v16
	v_and_b32_e32 v16, 0xffff, v19
	v_pk_fma_f16 v44, v21, v55, v44
	s_delay_alu instid0(VALU_DEP_3) | instskip(NEXT) | instid1(VALU_DEP_3)
	v_pk_fma_f16 v22, v21, v58, v22
	v_mul_u32_u24_e32 v59, 0x10001, v16
	ds_load_b128 v[16:19], v117 offset:1104
	v_pk_fma_f16 v23, v21, v59, v23
	s_wait_dscnt 0x0
	v_lshrrev_b32_e32 v60, 16, v16
	v_lshrrev_b32_e32 v61, 16, v17
	;; [unrolled: 1-line block ×4, first 2 shown]
	v_and_b32_e32 v16, 0xffff, v16
	v_and_b32_e32 v17, 0xffff, v17
	;; [unrolled: 1-line block ×4, first 2 shown]
	v_mul_u32_u24_e32 v60, 0x10001, v60
	v_mul_u32_u24_e32 v16, 0x10001, v16
	;; [unrolled: 1-line block ×8, first 2 shown]
	v_pk_fma_f16 v45, v21, v16, v45
	v_pk_fma_f16 v46, v21, v60, v46
	;; [unrolled: 1-line block ×8, first 2 shown]
	ds_load_2addr_b32 v[20:21], v107 offset0:192 offset1:224
	ds_load_b128 v[16:19], v117 offset:96
	s_wait_dscnt 0x0
	v_lshrrev_b32_e32 v53, 16, v16
	v_and_b32_e32 v16, 0xffff, v16
	v_lshrrev_b32_e32 v54, 16, v17
	v_lshrrev_b32_e32 v55, 16, v18
	;; [unrolled: 1-line block ×3, first 2 shown]
	v_mul_u32_u24_e32 v53, 0x10001, v53
	v_mul_u32_u24_e32 v57, 0x10001, v16
	v_and_b32_e32 v16, 0xffff, v17
	v_mul_u32_u24_e32 v54, 0x10001, v54
	v_mul_u32_u24_e32 v55, 0x10001, v55
	;; [unrolled: 1-line block ×3, first 2 shown]
	v_pk_fma_f16 v39, v20, v57, v39
	v_mul_u32_u24_e32 v58, 0x10001, v16
	v_and_b32_e32 v16, 0xffff, v18
	v_pk_fma_f16 v40, v20, v53, v40
	v_pk_fma_f16 v42, v20, v54, v42
	;; [unrolled: 1-line block ×4, first 2 shown]
	v_mul_u32_u24_e32 v59, 0x10001, v16
	v_and_b32_e32 v16, 0xffff, v19
	v_pk_fma_f16 v44, v20, v56, v44
	s_delay_alu instid0(VALU_DEP_3) | instskip(NEXT) | instid1(VALU_DEP_3)
	v_pk_fma_f16 v22, v20, v59, v22
	v_mul_u32_u24_e32 v60, 0x10001, v16
	ds_load_b128 v[16:19], v117 offset:1120
	v_pk_fma_f16 v23, v20, v60, v23
	s_wait_dscnt 0x0
	v_lshrrev_b32_e32 v61, 16, v16
	v_lshrrev_b32_e32 v62, 16, v17
	;; [unrolled: 1-line block ×4, first 2 shown]
	v_and_b32_e32 v16, 0xffff, v16
	v_and_b32_e32 v17, 0xffff, v17
	;; [unrolled: 1-line block ×4, first 2 shown]
	v_mul_u32_u24_e32 v61, 0x10001, v61
	v_mul_u32_u24_e32 v16, 0x10001, v16
	;; [unrolled: 1-line block ×6, first 2 shown]
	v_pk_fma_f16 v45, v20, v16, v45
	v_pk_fma_f16 v47, v20, v17, v47
	;; [unrolled: 1-line block ×4, first 2 shown]
	ds_load_b128 v[16:19], v117 offset:112
	v_mul_u32_u24_e32 v63, 0x10001, v63
	v_mul_u32_u24_e32 v130, 0x10001, v130
	v_pk_fma_f16 v46, v20, v61, v46
	v_pk_fma_f16 v48, v20, v62, v48
	s_delay_alu instid0(VALU_DEP_4) | instskip(NEXT) | instid1(VALU_DEP_4)
	v_pk_fma_f16 v50, v20, v63, v50
	v_pk_fma_f16 v20, v20, v130, v52
	s_wait_dscnt 0x0
	v_lshrrev_b32_e32 v52, 16, v16
	v_and_b32_e32 v16, 0xffff, v16
	v_lshrrev_b32_e32 v53, 16, v17
	v_lshrrev_b32_e32 v54, 16, v18
	;; [unrolled: 1-line block ×3, first 2 shown]
	v_mul_u32_u24_e32 v52, 0x10001, v52
	v_mul_u32_u24_e32 v56, 0x10001, v16
	v_and_b32_e32 v16, 0xffff, v17
	v_mul_u32_u24_e32 v53, 0x10001, v53
	v_mul_u32_u24_e32 v54, 0x10001, v54
	;; [unrolled: 1-line block ×3, first 2 shown]
	v_pk_fma_f16 v39, v21, v56, v39
	v_mul_u32_u24_e32 v57, 0x10001, v16
	v_and_b32_e32 v16, 0xffff, v18
	v_pk_fma_f16 v40, v21, v52, v40
	v_pk_fma_f16 v42, v21, v53, v42
	;; [unrolled: 1-line block ×4, first 2 shown]
	v_mul_u32_u24_e32 v58, 0x10001, v16
	v_and_b32_e32 v16, 0xffff, v19
	v_pk_fma_f16 v44, v21, v55, v44
	s_delay_alu instid0(VALU_DEP_3) | instskip(NEXT) | instid1(VALU_DEP_3)
	v_pk_fma_f16 v22, v21, v58, v22
	v_mul_u32_u24_e32 v59, 0x10001, v16
	ds_load_b128 v[16:19], v117 offset:1136
	v_pk_fma_f16 v23, v21, v59, v23
	s_wait_dscnt 0x0
	v_lshrrev_b32_e32 v60, 16, v16
	v_lshrrev_b32_e32 v61, 16, v17
	v_lshrrev_b32_e32 v62, 16, v18
	v_lshrrev_b32_e32 v63, 16, v19
	v_and_b32_e32 v16, 0xffff, v16
	v_and_b32_e32 v17, 0xffff, v17
	v_and_b32_e32 v18, 0xffff, v18
	v_and_b32_e32 v19, 0xffff, v19
	v_mul_u32_u24_e32 v60, 0x10001, v60
	v_mul_u32_u24_e32 v16, 0x10001, v16
	;; [unrolled: 1-line block ×8, first 2 shown]
	v_pk_fma_f16 v45, v21, v16, v45
	v_pk_fma_f16 v46, v21, v60, v46
	v_pk_fma_f16 v47, v21, v17, v47
	v_pk_fma_f16 v48, v21, v61, v48
	v_pk_fma_f16 v49, v21, v18, v49
	v_pk_fma_f16 v50, v21, v62, v50
	v_pk_fma_f16 v51, v21, v19, v51
	v_pk_fma_f16 v52, v21, v63, v20
	ds_load_2addr_b32 v[20:21], v123 offset1:32
	ds_load_b128 v[16:19], v117 offset:128
	s_wait_dscnt 0x0
	v_lshrrev_b32_e32 v53, 16, v16
	v_and_b32_e32 v16, 0xffff, v16
	v_lshrrev_b32_e32 v54, 16, v17
	v_lshrrev_b32_e32 v55, 16, v18
	v_lshrrev_b32_e32 v56, 16, v19
	v_mul_u32_u24_e32 v53, 0x10001, v53
	v_mul_u32_u24_e32 v57, 0x10001, v16
	v_and_b32_e32 v16, 0xffff, v17
	v_mul_u32_u24_e32 v54, 0x10001, v54
	v_mul_u32_u24_e32 v55, 0x10001, v55
	;; [unrolled: 1-line block ×3, first 2 shown]
	v_pk_fma_f16 v39, v20, v57, v39
	v_mul_u32_u24_e32 v58, 0x10001, v16
	v_and_b32_e32 v16, 0xffff, v18
	v_pk_fma_f16 v40, v20, v53, v40
	v_pk_fma_f16 v42, v20, v54, v42
	;; [unrolled: 1-line block ×4, first 2 shown]
	v_mul_u32_u24_e32 v59, 0x10001, v16
	v_and_b32_e32 v16, 0xffff, v19
	v_pk_fma_f16 v44, v20, v56, v44
	s_delay_alu instid0(VALU_DEP_3) | instskip(NEXT) | instid1(VALU_DEP_3)
	v_pk_fma_f16 v22, v20, v59, v22
	v_mul_u32_u24_e32 v60, 0x10001, v16
	ds_load_b128 v[16:19], v117 offset:1152
	v_pk_fma_f16 v23, v20, v60, v23
	s_wait_dscnt 0x0
	v_lshrrev_b32_e32 v61, 16, v16
	v_lshrrev_b32_e32 v62, 16, v17
	;; [unrolled: 1-line block ×4, first 2 shown]
	v_and_b32_e32 v16, 0xffff, v16
	v_and_b32_e32 v17, 0xffff, v17
	;; [unrolled: 1-line block ×4, first 2 shown]
	v_mul_u32_u24_e32 v61, 0x10001, v61
	v_mul_u32_u24_e32 v16, 0x10001, v16
	;; [unrolled: 1-line block ×6, first 2 shown]
	v_pk_fma_f16 v45, v20, v16, v45
	v_pk_fma_f16 v47, v20, v17, v47
	v_pk_fma_f16 v49, v20, v18, v49
	v_pk_fma_f16 v51, v20, v19, v51
	ds_load_b128 v[16:19], v117 offset:144
	v_mul_u32_u24_e32 v63, 0x10001, v63
	v_mul_u32_u24_e32 v130, 0x10001, v130
	v_pk_fma_f16 v46, v20, v61, v46
	v_pk_fma_f16 v48, v20, v62, v48
	s_delay_alu instid0(VALU_DEP_4) | instskip(NEXT) | instid1(VALU_DEP_4)
	v_pk_fma_f16 v50, v20, v63, v50
	v_pk_fma_f16 v20, v20, v130, v52
	s_wait_dscnt 0x0
	v_lshrrev_b32_e32 v52, 16, v16
	v_and_b32_e32 v16, 0xffff, v16
	v_lshrrev_b32_e32 v53, 16, v17
	v_lshrrev_b32_e32 v54, 16, v18
	;; [unrolled: 1-line block ×3, first 2 shown]
	v_mul_u32_u24_e32 v52, 0x10001, v52
	v_mul_u32_u24_e32 v56, 0x10001, v16
	v_and_b32_e32 v16, 0xffff, v17
	v_mul_u32_u24_e32 v53, 0x10001, v53
	v_mul_u32_u24_e32 v54, 0x10001, v54
	;; [unrolled: 1-line block ×3, first 2 shown]
	v_pk_fma_f16 v39, v21, v56, v39
	v_mul_u32_u24_e32 v57, 0x10001, v16
	v_and_b32_e32 v16, 0xffff, v18
	v_pk_fma_f16 v40, v21, v52, v40
	v_pk_fma_f16 v42, v21, v53, v42
	;; [unrolled: 1-line block ×4, first 2 shown]
	v_mul_u32_u24_e32 v58, 0x10001, v16
	v_and_b32_e32 v16, 0xffff, v19
	v_pk_fma_f16 v44, v21, v55, v44
	s_delay_alu instid0(VALU_DEP_3) | instskip(NEXT) | instid1(VALU_DEP_3)
	v_pk_fma_f16 v22, v21, v58, v22
	v_mul_u32_u24_e32 v59, 0x10001, v16
	ds_load_b128 v[16:19], v117 offset:1168
	v_pk_fma_f16 v23, v21, v59, v23
	s_wait_dscnt 0x0
	v_lshrrev_b32_e32 v60, 16, v16
	v_lshrrev_b32_e32 v61, 16, v17
	;; [unrolled: 1-line block ×4, first 2 shown]
	v_and_b32_e32 v16, 0xffff, v16
	v_and_b32_e32 v17, 0xffff, v17
	;; [unrolled: 1-line block ×4, first 2 shown]
	v_mul_u32_u24_e32 v60, 0x10001, v60
	v_mul_u32_u24_e32 v16, 0x10001, v16
	v_mul_u32_u24_e32 v17, 0x10001, v17
	v_mul_u32_u24_e32 v61, 0x10001, v61
	v_mul_u32_u24_e32 v18, 0x10001, v18
	v_mul_u32_u24_e32 v62, 0x10001, v62
	v_mul_u32_u24_e32 v19, 0x10001, v19
	v_mul_u32_u24_e32 v63, 0x10001, v63
	v_pk_fma_f16 v45, v21, v16, v45
	v_pk_fma_f16 v46, v21, v60, v46
	v_pk_fma_f16 v47, v21, v17, v47
	v_pk_fma_f16 v48, v21, v61, v48
	v_pk_fma_f16 v49, v21, v18, v49
	v_pk_fma_f16 v50, v21, v62, v50
	v_pk_fma_f16 v51, v21, v19, v51
	v_pk_fma_f16 v52, v21, v63, v20
	ds_load_2addr_b32 v[20:21], v123 offset0:64 offset1:96
	ds_load_b128 v[16:19], v117 offset:160
	s_wait_dscnt 0x0
	v_lshrrev_b32_e32 v53, 16, v16
	v_and_b32_e32 v16, 0xffff, v16
	v_lshrrev_b32_e32 v54, 16, v17
	v_lshrrev_b32_e32 v55, 16, v18
	;; [unrolled: 1-line block ×3, first 2 shown]
	v_mul_u32_u24_e32 v53, 0x10001, v53
	v_mul_u32_u24_e32 v57, 0x10001, v16
	v_and_b32_e32 v16, 0xffff, v17
	v_mul_u32_u24_e32 v54, 0x10001, v54
	v_mul_u32_u24_e32 v55, 0x10001, v55
	v_mul_u32_u24_e32 v56, 0x10001, v56
	v_pk_fma_f16 v39, v20, v57, v39
	v_mul_u32_u24_e32 v58, 0x10001, v16
	v_and_b32_e32 v16, 0xffff, v18
	v_pk_fma_f16 v40, v20, v53, v40
	v_pk_fma_f16 v42, v20, v54, v42
	;; [unrolled: 1-line block ×4, first 2 shown]
	v_mul_u32_u24_e32 v59, 0x10001, v16
	v_and_b32_e32 v16, 0xffff, v19
	v_pk_fma_f16 v44, v20, v56, v44
	s_delay_alu instid0(VALU_DEP_3) | instskip(NEXT) | instid1(VALU_DEP_3)
	v_pk_fma_f16 v22, v20, v59, v22
	v_mul_u32_u24_e32 v60, 0x10001, v16
	ds_load_b128 v[16:19], v117 offset:1184
	v_pk_fma_f16 v23, v20, v60, v23
	s_wait_dscnt 0x0
	v_lshrrev_b32_e32 v61, 16, v16
	v_lshrrev_b32_e32 v62, 16, v17
	;; [unrolled: 1-line block ×4, first 2 shown]
	v_and_b32_e32 v16, 0xffff, v16
	v_and_b32_e32 v17, 0xffff, v17
	;; [unrolled: 1-line block ×4, first 2 shown]
	v_mul_u32_u24_e32 v61, 0x10001, v61
	v_mul_u32_u24_e32 v16, 0x10001, v16
	v_mul_u32_u24_e32 v17, 0x10001, v17
	v_mul_u32_u24_e32 v18, 0x10001, v18
	v_mul_u32_u24_e32 v19, 0x10001, v19
	v_mul_u32_u24_e32 v62, 0x10001, v62
	v_pk_fma_f16 v45, v20, v16, v45
	v_pk_fma_f16 v47, v20, v17, v47
	;; [unrolled: 1-line block ×4, first 2 shown]
	ds_load_b128 v[16:19], v117 offset:176
	v_mul_u32_u24_e32 v63, 0x10001, v63
	v_mul_u32_u24_e32 v130, 0x10001, v130
	v_pk_fma_f16 v46, v20, v61, v46
	v_pk_fma_f16 v48, v20, v62, v48
	s_delay_alu instid0(VALU_DEP_4) | instskip(NEXT) | instid1(VALU_DEP_4)
	v_pk_fma_f16 v50, v20, v63, v50
	v_pk_fma_f16 v20, v20, v130, v52
	s_wait_dscnt 0x0
	v_lshrrev_b32_e32 v52, 16, v16
	v_and_b32_e32 v16, 0xffff, v16
	v_lshrrev_b32_e32 v53, 16, v17
	v_lshrrev_b32_e32 v54, 16, v18
	v_lshrrev_b32_e32 v55, 16, v19
	v_mul_u32_u24_e32 v52, 0x10001, v52
	v_mul_u32_u24_e32 v56, 0x10001, v16
	v_and_b32_e32 v16, 0xffff, v17
	v_mul_u32_u24_e32 v53, 0x10001, v53
	v_mul_u32_u24_e32 v54, 0x10001, v54
	;; [unrolled: 1-line block ×3, first 2 shown]
	v_pk_fma_f16 v39, v21, v56, v39
	v_mul_u32_u24_e32 v57, 0x10001, v16
	v_and_b32_e32 v16, 0xffff, v18
	v_pk_fma_f16 v40, v21, v52, v40
	v_pk_fma_f16 v42, v21, v53, v42
	;; [unrolled: 1-line block ×4, first 2 shown]
	v_mul_u32_u24_e32 v58, 0x10001, v16
	v_and_b32_e32 v16, 0xffff, v19
	v_pk_fma_f16 v44, v21, v55, v44
	s_delay_alu instid0(VALU_DEP_3) | instskip(NEXT) | instid1(VALU_DEP_3)
	v_pk_fma_f16 v22, v21, v58, v22
	v_mul_u32_u24_e32 v59, 0x10001, v16
	ds_load_b128 v[16:19], v117 offset:1200
	v_pk_fma_f16 v23, v21, v59, v23
	s_wait_dscnt 0x0
	v_lshrrev_b32_e32 v60, 16, v16
	v_lshrrev_b32_e32 v61, 16, v17
	;; [unrolled: 1-line block ×4, first 2 shown]
	v_and_b32_e32 v16, 0xffff, v16
	v_and_b32_e32 v17, 0xffff, v17
	;; [unrolled: 1-line block ×4, first 2 shown]
	v_mul_u32_u24_e32 v60, 0x10001, v60
	v_mul_u32_u24_e32 v16, 0x10001, v16
	v_mul_u32_u24_e32 v17, 0x10001, v17
	v_mul_u32_u24_e32 v61, 0x10001, v61
	v_mul_u32_u24_e32 v18, 0x10001, v18
	v_mul_u32_u24_e32 v62, 0x10001, v62
	v_mul_u32_u24_e32 v19, 0x10001, v19
	v_mul_u32_u24_e32 v63, 0x10001, v63
	v_pk_fma_f16 v45, v21, v16, v45
	v_pk_fma_f16 v46, v21, v60, v46
	;; [unrolled: 1-line block ×8, first 2 shown]
	ds_load_2addr_b32 v[20:21], v123 offset0:128 offset1:160
	ds_load_b128 v[16:19], v117 offset:192
	s_wait_dscnt 0x0
	v_lshrrev_b32_e32 v53, 16, v16
	v_and_b32_e32 v16, 0xffff, v16
	v_lshrrev_b32_e32 v54, 16, v17
	v_lshrrev_b32_e32 v55, 16, v18
	;; [unrolled: 1-line block ×3, first 2 shown]
	v_mul_u32_u24_e32 v53, 0x10001, v53
	v_mul_u32_u24_e32 v57, 0x10001, v16
	v_and_b32_e32 v16, 0xffff, v17
	v_mul_u32_u24_e32 v54, 0x10001, v54
	v_mul_u32_u24_e32 v55, 0x10001, v55
	;; [unrolled: 1-line block ×3, first 2 shown]
	v_pk_fma_f16 v39, v20, v57, v39
	v_mul_u32_u24_e32 v58, 0x10001, v16
	v_and_b32_e32 v16, 0xffff, v18
	v_pk_fma_f16 v40, v20, v53, v40
	v_pk_fma_f16 v42, v20, v54, v42
	;; [unrolled: 1-line block ×4, first 2 shown]
	v_mul_u32_u24_e32 v59, 0x10001, v16
	v_and_b32_e32 v16, 0xffff, v19
	v_pk_fma_f16 v44, v20, v56, v44
	s_delay_alu instid0(VALU_DEP_3) | instskip(NEXT) | instid1(VALU_DEP_3)
	v_pk_fma_f16 v22, v20, v59, v22
	v_mul_u32_u24_e32 v60, 0x10001, v16
	ds_load_b128 v[16:19], v117 offset:1216
	v_pk_fma_f16 v23, v20, v60, v23
	s_wait_dscnt 0x0
	v_lshrrev_b32_e32 v61, 16, v16
	v_lshrrev_b32_e32 v62, 16, v17
	;; [unrolled: 1-line block ×4, first 2 shown]
	v_and_b32_e32 v16, 0xffff, v16
	v_and_b32_e32 v17, 0xffff, v17
	;; [unrolled: 1-line block ×4, first 2 shown]
	v_mul_u32_u24_e32 v61, 0x10001, v61
	v_mul_u32_u24_e32 v16, 0x10001, v16
	;; [unrolled: 1-line block ×6, first 2 shown]
	v_pk_fma_f16 v45, v20, v16, v45
	v_pk_fma_f16 v47, v20, v17, v47
	v_pk_fma_f16 v49, v20, v18, v49
	v_pk_fma_f16 v51, v20, v19, v51
	ds_load_b128 v[16:19], v117 offset:208
	v_mul_u32_u24_e32 v63, 0x10001, v63
	v_mul_u32_u24_e32 v130, 0x10001, v130
	v_pk_fma_f16 v46, v20, v61, v46
	v_pk_fma_f16 v48, v20, v62, v48
	s_delay_alu instid0(VALU_DEP_4) | instskip(NEXT) | instid1(VALU_DEP_4)
	v_pk_fma_f16 v50, v20, v63, v50
	v_pk_fma_f16 v20, v20, v130, v52
	s_wait_dscnt 0x0
	v_lshrrev_b32_e32 v52, 16, v16
	v_and_b32_e32 v16, 0xffff, v16
	v_lshrrev_b32_e32 v53, 16, v17
	v_lshrrev_b32_e32 v54, 16, v18
	;; [unrolled: 1-line block ×3, first 2 shown]
	v_mul_u32_u24_e32 v52, 0x10001, v52
	v_mul_u32_u24_e32 v56, 0x10001, v16
	v_and_b32_e32 v16, 0xffff, v17
	v_mul_u32_u24_e32 v53, 0x10001, v53
	v_mul_u32_u24_e32 v54, 0x10001, v54
	;; [unrolled: 1-line block ×3, first 2 shown]
	v_pk_fma_f16 v39, v21, v56, v39
	v_mul_u32_u24_e32 v57, 0x10001, v16
	v_and_b32_e32 v16, 0xffff, v18
	v_pk_fma_f16 v40, v21, v52, v40
	v_pk_fma_f16 v42, v21, v53, v42
	;; [unrolled: 1-line block ×4, first 2 shown]
	v_mul_u32_u24_e32 v58, 0x10001, v16
	v_and_b32_e32 v16, 0xffff, v19
	v_pk_fma_f16 v44, v21, v55, v44
	s_delay_alu instid0(VALU_DEP_3) | instskip(NEXT) | instid1(VALU_DEP_3)
	v_pk_fma_f16 v22, v21, v58, v22
	v_mul_u32_u24_e32 v59, 0x10001, v16
	ds_load_b128 v[16:19], v117 offset:1232
	v_pk_fma_f16 v23, v21, v59, v23
	s_wait_dscnt 0x0
	v_lshrrev_b32_e32 v60, 16, v16
	v_lshrrev_b32_e32 v61, 16, v17
	;; [unrolled: 1-line block ×4, first 2 shown]
	v_and_b32_e32 v16, 0xffff, v16
	v_and_b32_e32 v17, 0xffff, v17
	;; [unrolled: 1-line block ×4, first 2 shown]
	v_mul_u32_u24_e32 v60, 0x10001, v60
	v_mul_u32_u24_e32 v16, 0x10001, v16
	;; [unrolled: 1-line block ×8, first 2 shown]
	v_pk_fma_f16 v45, v21, v16, v45
	v_pk_fma_f16 v46, v21, v60, v46
	;; [unrolled: 1-line block ×8, first 2 shown]
	ds_load_2addr_b32 v[20:21], v123 offset0:192 offset1:224
	ds_load_b128 v[16:19], v117 offset:224
	s_wait_dscnt 0x0
	v_lshrrev_b32_e32 v53, 16, v16
	v_and_b32_e32 v16, 0xffff, v16
	v_lshrrev_b32_e32 v54, 16, v17
	v_lshrrev_b32_e32 v55, 16, v18
	;; [unrolled: 1-line block ×3, first 2 shown]
	v_mul_u32_u24_e32 v53, 0x10001, v53
	v_mul_u32_u24_e32 v57, 0x10001, v16
	v_and_b32_e32 v16, 0xffff, v17
	v_mul_u32_u24_e32 v54, 0x10001, v54
	v_mul_u32_u24_e32 v55, 0x10001, v55
	;; [unrolled: 1-line block ×3, first 2 shown]
	v_pk_fma_f16 v39, v20, v57, v39
	v_mul_u32_u24_e32 v58, 0x10001, v16
	v_and_b32_e32 v16, 0xffff, v18
	v_pk_fma_f16 v40, v20, v53, v40
	v_pk_fma_f16 v42, v20, v54, v42
	;; [unrolled: 1-line block ×4, first 2 shown]
	v_mul_u32_u24_e32 v59, 0x10001, v16
	v_and_b32_e32 v16, 0xffff, v19
	v_pk_fma_f16 v44, v20, v56, v44
	s_delay_alu instid0(VALU_DEP_3) | instskip(NEXT) | instid1(VALU_DEP_3)
	v_pk_fma_f16 v22, v20, v59, v22
	v_mul_u32_u24_e32 v60, 0x10001, v16
	ds_load_b128 v[16:19], v117 offset:1248
	v_pk_fma_f16 v23, v20, v60, v23
	s_wait_dscnt 0x0
	v_lshrrev_b32_e32 v61, 16, v16
	v_lshrrev_b32_e32 v62, 16, v17
	;; [unrolled: 1-line block ×4, first 2 shown]
	v_and_b32_e32 v16, 0xffff, v16
	v_and_b32_e32 v17, 0xffff, v17
	;; [unrolled: 1-line block ×4, first 2 shown]
	v_mul_u32_u24_e32 v61, 0x10001, v61
	v_mul_u32_u24_e32 v16, 0x10001, v16
	;; [unrolled: 1-line block ×6, first 2 shown]
	v_pk_fma_f16 v45, v20, v16, v45
	v_pk_fma_f16 v47, v20, v17, v47
	;; [unrolled: 1-line block ×4, first 2 shown]
	ds_load_b128 v[16:19], v117 offset:240
	v_mul_u32_u24_e32 v63, 0x10001, v63
	v_mul_u32_u24_e32 v130, 0x10001, v130
	v_pk_fma_f16 v46, v20, v61, v46
	v_pk_fma_f16 v48, v20, v62, v48
	s_delay_alu instid0(VALU_DEP_4) | instskip(NEXT) | instid1(VALU_DEP_4)
	v_pk_fma_f16 v50, v20, v63, v50
	v_pk_fma_f16 v20, v20, v130, v52
	s_wait_dscnt 0x0
	v_lshrrev_b32_e32 v52, 16, v16
	v_and_b32_e32 v16, 0xffff, v16
	v_lshrrev_b32_e32 v53, 16, v17
	v_lshrrev_b32_e32 v54, 16, v18
	;; [unrolled: 1-line block ×3, first 2 shown]
	v_mul_u32_u24_e32 v52, 0x10001, v52
	v_mul_u32_u24_e32 v56, 0x10001, v16
	v_and_b32_e32 v16, 0xffff, v17
	v_mul_u32_u24_e32 v53, 0x10001, v53
	v_mul_u32_u24_e32 v54, 0x10001, v54
	;; [unrolled: 1-line block ×3, first 2 shown]
	v_pk_fma_f16 v39, v21, v56, v39
	v_mul_u32_u24_e32 v57, 0x10001, v16
	v_and_b32_e32 v16, 0xffff, v18
	v_pk_fma_f16 v40, v21, v52, v40
	v_pk_fma_f16 v42, v21, v53, v42
	;; [unrolled: 1-line block ×4, first 2 shown]
	v_mul_u32_u24_e32 v58, 0x10001, v16
	v_and_b32_e32 v16, 0xffff, v19
	v_pk_fma_f16 v44, v21, v55, v44
	s_delay_alu instid0(VALU_DEP_3) | instskip(NEXT) | instid1(VALU_DEP_3)
	v_pk_fma_f16 v22, v21, v58, v22
	v_mul_u32_u24_e32 v59, 0x10001, v16
	ds_load_b128 v[16:19], v117 offset:1264
	v_pk_fma_f16 v23, v21, v59, v23
	s_wait_dscnt 0x0
	v_lshrrev_b32_e32 v60, 16, v16
	v_lshrrev_b32_e32 v61, 16, v17
	;; [unrolled: 1-line block ×4, first 2 shown]
	v_and_b32_e32 v16, 0xffff, v16
	v_and_b32_e32 v17, 0xffff, v17
	;; [unrolled: 1-line block ×4, first 2 shown]
	v_mul_u32_u24_e32 v60, 0x10001, v60
	v_mul_u32_u24_e32 v16, 0x10001, v16
	;; [unrolled: 1-line block ×8, first 2 shown]
	v_pk_fma_f16 v45, v21, v16, v45
	v_pk_fma_f16 v46, v21, v60, v46
	;; [unrolled: 1-line block ×8, first 2 shown]
	ds_load_2addr_b32 v[20:21], v124 offset1:32
	ds_load_b128 v[16:19], v117 offset:256
	s_wait_dscnt 0x0
	v_lshrrev_b32_e32 v53, 16, v16
	v_and_b32_e32 v16, 0xffff, v16
	v_lshrrev_b32_e32 v54, 16, v17
	v_lshrrev_b32_e32 v55, 16, v18
	;; [unrolled: 1-line block ×3, first 2 shown]
	v_mul_u32_u24_e32 v53, 0x10001, v53
	v_mul_u32_u24_e32 v57, 0x10001, v16
	v_and_b32_e32 v16, 0xffff, v17
	v_mul_u32_u24_e32 v54, 0x10001, v54
	v_mul_u32_u24_e32 v55, 0x10001, v55
	;; [unrolled: 1-line block ×3, first 2 shown]
	v_pk_fma_f16 v39, v20, v57, v39
	v_mul_u32_u24_e32 v58, 0x10001, v16
	v_and_b32_e32 v16, 0xffff, v18
	v_pk_fma_f16 v40, v20, v53, v40
	v_pk_fma_f16 v42, v20, v54, v42
	;; [unrolled: 1-line block ×4, first 2 shown]
	v_mul_u32_u24_e32 v59, 0x10001, v16
	v_and_b32_e32 v16, 0xffff, v19
	v_pk_fma_f16 v44, v20, v56, v44
	s_delay_alu instid0(VALU_DEP_3) | instskip(NEXT) | instid1(VALU_DEP_3)
	v_pk_fma_f16 v22, v20, v59, v22
	v_mul_u32_u24_e32 v60, 0x10001, v16
	ds_load_b128 v[16:19], v117 offset:1280
	v_pk_fma_f16 v23, v20, v60, v23
	s_wait_dscnt 0x0
	v_lshrrev_b32_e32 v61, 16, v16
	v_lshrrev_b32_e32 v62, 16, v17
	;; [unrolled: 1-line block ×4, first 2 shown]
	v_and_b32_e32 v16, 0xffff, v16
	v_and_b32_e32 v17, 0xffff, v17
	;; [unrolled: 1-line block ×4, first 2 shown]
	v_mul_u32_u24_e32 v61, 0x10001, v61
	v_mul_u32_u24_e32 v16, 0x10001, v16
	;; [unrolled: 1-line block ×6, first 2 shown]
	v_pk_fma_f16 v45, v20, v16, v45
	v_pk_fma_f16 v47, v20, v17, v47
	;; [unrolled: 1-line block ×4, first 2 shown]
	ds_load_b128 v[16:19], v117 offset:272
	v_mul_u32_u24_e32 v63, 0x10001, v63
	v_mul_u32_u24_e32 v130, 0x10001, v130
	v_pk_fma_f16 v46, v20, v61, v46
	v_pk_fma_f16 v48, v20, v62, v48
	s_delay_alu instid0(VALU_DEP_4) | instskip(NEXT) | instid1(VALU_DEP_4)
	v_pk_fma_f16 v50, v20, v63, v50
	v_pk_fma_f16 v20, v20, v130, v52
	s_wait_dscnt 0x0
	v_lshrrev_b32_e32 v52, 16, v16
	v_and_b32_e32 v16, 0xffff, v16
	v_lshrrev_b32_e32 v53, 16, v17
	v_lshrrev_b32_e32 v54, 16, v18
	;; [unrolled: 1-line block ×3, first 2 shown]
	v_mul_u32_u24_e32 v52, 0x10001, v52
	v_mul_u32_u24_e32 v56, 0x10001, v16
	v_and_b32_e32 v16, 0xffff, v17
	v_mul_u32_u24_e32 v53, 0x10001, v53
	v_mul_u32_u24_e32 v54, 0x10001, v54
	;; [unrolled: 1-line block ×3, first 2 shown]
	v_pk_fma_f16 v39, v21, v56, v39
	v_mul_u32_u24_e32 v57, 0x10001, v16
	v_and_b32_e32 v16, 0xffff, v18
	v_pk_fma_f16 v40, v21, v52, v40
	v_pk_fma_f16 v42, v21, v53, v42
	;; [unrolled: 1-line block ×4, first 2 shown]
	v_mul_u32_u24_e32 v58, 0x10001, v16
	v_and_b32_e32 v16, 0xffff, v19
	v_pk_fma_f16 v44, v21, v55, v44
	s_delay_alu instid0(VALU_DEP_3) | instskip(NEXT) | instid1(VALU_DEP_3)
	v_pk_fma_f16 v22, v21, v58, v22
	v_mul_u32_u24_e32 v59, 0x10001, v16
	ds_load_b128 v[16:19], v117 offset:1296
	v_pk_fma_f16 v23, v21, v59, v23
	s_wait_dscnt 0x0
	v_lshrrev_b32_e32 v60, 16, v16
	v_lshrrev_b32_e32 v61, 16, v17
	;; [unrolled: 1-line block ×4, first 2 shown]
	v_and_b32_e32 v16, 0xffff, v16
	v_and_b32_e32 v17, 0xffff, v17
	v_and_b32_e32 v18, 0xffff, v18
	v_and_b32_e32 v19, 0xffff, v19
	v_mul_u32_u24_e32 v60, 0x10001, v60
	v_mul_u32_u24_e32 v16, 0x10001, v16
	;; [unrolled: 1-line block ×8, first 2 shown]
	v_pk_fma_f16 v45, v21, v16, v45
	v_pk_fma_f16 v46, v21, v60, v46
	;; [unrolled: 1-line block ×8, first 2 shown]
	ds_load_2addr_b32 v[20:21], v124 offset0:64 offset1:96
	ds_load_b128 v[16:19], v117 offset:288
	s_wait_dscnt 0x0
	v_lshrrev_b32_e32 v53, 16, v16
	v_and_b32_e32 v16, 0xffff, v16
	v_lshrrev_b32_e32 v54, 16, v17
	v_lshrrev_b32_e32 v55, 16, v18
	;; [unrolled: 1-line block ×3, first 2 shown]
	v_mul_u32_u24_e32 v53, 0x10001, v53
	v_mul_u32_u24_e32 v57, 0x10001, v16
	v_and_b32_e32 v16, 0xffff, v17
	v_mul_u32_u24_e32 v54, 0x10001, v54
	v_mul_u32_u24_e32 v55, 0x10001, v55
	;; [unrolled: 1-line block ×3, first 2 shown]
	v_pk_fma_f16 v39, v20, v57, v39
	v_mul_u32_u24_e32 v58, 0x10001, v16
	v_and_b32_e32 v16, 0xffff, v18
	v_pk_fma_f16 v40, v20, v53, v40
	v_pk_fma_f16 v42, v20, v54, v42
	;; [unrolled: 1-line block ×4, first 2 shown]
	v_mul_u32_u24_e32 v59, 0x10001, v16
	v_and_b32_e32 v16, 0xffff, v19
	v_pk_fma_f16 v44, v20, v56, v44
	s_delay_alu instid0(VALU_DEP_3) | instskip(NEXT) | instid1(VALU_DEP_3)
	v_pk_fma_f16 v22, v20, v59, v22
	v_mul_u32_u24_e32 v60, 0x10001, v16
	ds_load_b128 v[16:19], v117 offset:1312
	v_pk_fma_f16 v23, v20, v60, v23
	s_wait_dscnt 0x0
	v_lshrrev_b32_e32 v61, 16, v16
	v_lshrrev_b32_e32 v62, 16, v17
	;; [unrolled: 1-line block ×4, first 2 shown]
	v_and_b32_e32 v16, 0xffff, v16
	v_and_b32_e32 v17, 0xffff, v17
	;; [unrolled: 1-line block ×4, first 2 shown]
	v_mul_u32_u24_e32 v61, 0x10001, v61
	v_mul_u32_u24_e32 v16, 0x10001, v16
	;; [unrolled: 1-line block ×6, first 2 shown]
	v_pk_fma_f16 v45, v20, v16, v45
	v_pk_fma_f16 v47, v20, v17, v47
	;; [unrolled: 1-line block ×4, first 2 shown]
	ds_load_b128 v[16:19], v117 offset:304
	v_mul_u32_u24_e32 v63, 0x10001, v63
	v_mul_u32_u24_e32 v130, 0x10001, v130
	v_pk_fma_f16 v46, v20, v61, v46
	v_pk_fma_f16 v48, v20, v62, v48
	s_delay_alu instid0(VALU_DEP_4) | instskip(NEXT) | instid1(VALU_DEP_4)
	v_pk_fma_f16 v50, v20, v63, v50
	v_pk_fma_f16 v20, v20, v130, v52
	s_wait_dscnt 0x0
	v_lshrrev_b32_e32 v52, 16, v16
	v_and_b32_e32 v16, 0xffff, v16
	v_lshrrev_b32_e32 v53, 16, v17
	v_lshrrev_b32_e32 v54, 16, v18
	;; [unrolled: 1-line block ×3, first 2 shown]
	v_mul_u32_u24_e32 v52, 0x10001, v52
	v_mul_u32_u24_e32 v56, 0x10001, v16
	v_and_b32_e32 v16, 0xffff, v17
	v_mul_u32_u24_e32 v53, 0x10001, v53
	v_mul_u32_u24_e32 v54, 0x10001, v54
	;; [unrolled: 1-line block ×3, first 2 shown]
	v_pk_fma_f16 v39, v21, v56, v39
	v_mul_u32_u24_e32 v57, 0x10001, v16
	v_and_b32_e32 v16, 0xffff, v18
	v_pk_fma_f16 v40, v21, v52, v40
	v_pk_fma_f16 v42, v21, v53, v42
	;; [unrolled: 1-line block ×4, first 2 shown]
	v_mul_u32_u24_e32 v58, 0x10001, v16
	v_and_b32_e32 v16, 0xffff, v19
	v_pk_fma_f16 v44, v21, v55, v44
	s_delay_alu instid0(VALU_DEP_3) | instskip(NEXT) | instid1(VALU_DEP_3)
	v_pk_fma_f16 v22, v21, v58, v22
	v_mul_u32_u24_e32 v59, 0x10001, v16
	ds_load_b128 v[16:19], v117 offset:1328
	v_pk_fma_f16 v23, v21, v59, v23
	s_wait_dscnt 0x0
	v_lshrrev_b32_e32 v60, 16, v16
	v_lshrrev_b32_e32 v61, 16, v17
	v_lshrrev_b32_e32 v62, 16, v18
	v_lshrrev_b32_e32 v63, 16, v19
	v_and_b32_e32 v16, 0xffff, v16
	v_and_b32_e32 v17, 0xffff, v17
	;; [unrolled: 1-line block ×4, first 2 shown]
	v_mul_u32_u24_e32 v60, 0x10001, v60
	v_mul_u32_u24_e32 v16, 0x10001, v16
	v_mul_u32_u24_e32 v17, 0x10001, v17
	v_mul_u32_u24_e32 v61, 0x10001, v61
	v_mul_u32_u24_e32 v18, 0x10001, v18
	v_mul_u32_u24_e32 v62, 0x10001, v62
	v_mul_u32_u24_e32 v19, 0x10001, v19
	v_mul_u32_u24_e32 v63, 0x10001, v63
	v_pk_fma_f16 v45, v21, v16, v45
	v_pk_fma_f16 v46, v21, v60, v46
	;; [unrolled: 1-line block ×8, first 2 shown]
	ds_load_2addr_b32 v[20:21], v124 offset0:128 offset1:160
	ds_load_b128 v[16:19], v117 offset:320
	s_wait_dscnt 0x0
	v_lshrrev_b32_e32 v53, 16, v16
	v_and_b32_e32 v16, 0xffff, v16
	v_lshrrev_b32_e32 v54, 16, v17
	v_lshrrev_b32_e32 v55, 16, v18
	;; [unrolled: 1-line block ×3, first 2 shown]
	v_mul_u32_u24_e32 v53, 0x10001, v53
	v_mul_u32_u24_e32 v57, 0x10001, v16
	v_and_b32_e32 v16, 0xffff, v17
	v_mul_u32_u24_e32 v54, 0x10001, v54
	v_mul_u32_u24_e32 v55, 0x10001, v55
	;; [unrolled: 1-line block ×3, first 2 shown]
	v_pk_fma_f16 v39, v20, v57, v39
	v_mul_u32_u24_e32 v58, 0x10001, v16
	v_and_b32_e32 v16, 0xffff, v18
	v_pk_fma_f16 v40, v20, v53, v40
	v_pk_fma_f16 v42, v20, v54, v42
	;; [unrolled: 1-line block ×4, first 2 shown]
	v_mul_u32_u24_e32 v59, 0x10001, v16
	v_and_b32_e32 v16, 0xffff, v19
	v_pk_fma_f16 v44, v20, v56, v44
	s_delay_alu instid0(VALU_DEP_3) | instskip(NEXT) | instid1(VALU_DEP_3)
	v_pk_fma_f16 v22, v20, v59, v22
	v_mul_u32_u24_e32 v60, 0x10001, v16
	ds_load_b128 v[16:19], v117 offset:1344
	v_pk_fma_f16 v23, v20, v60, v23
	s_wait_dscnt 0x0
	v_lshrrev_b32_e32 v61, 16, v16
	v_lshrrev_b32_e32 v62, 16, v17
	;; [unrolled: 1-line block ×4, first 2 shown]
	v_and_b32_e32 v16, 0xffff, v16
	v_and_b32_e32 v17, 0xffff, v17
	;; [unrolled: 1-line block ×4, first 2 shown]
	v_mul_u32_u24_e32 v61, 0x10001, v61
	v_mul_u32_u24_e32 v16, 0x10001, v16
	;; [unrolled: 1-line block ×6, first 2 shown]
	v_pk_fma_f16 v45, v20, v16, v45
	v_pk_fma_f16 v47, v20, v17, v47
	;; [unrolled: 1-line block ×4, first 2 shown]
	ds_load_b128 v[16:19], v117 offset:336
	v_mul_u32_u24_e32 v63, 0x10001, v63
	v_mul_u32_u24_e32 v130, 0x10001, v130
	v_pk_fma_f16 v46, v20, v61, v46
	v_pk_fma_f16 v48, v20, v62, v48
	s_delay_alu instid0(VALU_DEP_4) | instskip(NEXT) | instid1(VALU_DEP_4)
	v_pk_fma_f16 v50, v20, v63, v50
	v_pk_fma_f16 v20, v20, v130, v52
	s_wait_dscnt 0x0
	v_lshrrev_b32_e32 v52, 16, v16
	v_and_b32_e32 v16, 0xffff, v16
	v_lshrrev_b32_e32 v53, 16, v17
	v_lshrrev_b32_e32 v54, 16, v18
	;; [unrolled: 1-line block ×3, first 2 shown]
	v_mul_u32_u24_e32 v52, 0x10001, v52
	v_mul_u32_u24_e32 v56, 0x10001, v16
	v_and_b32_e32 v16, 0xffff, v17
	v_mul_u32_u24_e32 v53, 0x10001, v53
	v_mul_u32_u24_e32 v54, 0x10001, v54
	;; [unrolled: 1-line block ×3, first 2 shown]
	v_pk_fma_f16 v39, v21, v56, v39
	v_mul_u32_u24_e32 v57, 0x10001, v16
	v_and_b32_e32 v16, 0xffff, v18
	v_pk_fma_f16 v40, v21, v52, v40
	v_pk_fma_f16 v42, v21, v53, v42
	;; [unrolled: 1-line block ×4, first 2 shown]
	v_mul_u32_u24_e32 v58, 0x10001, v16
	v_and_b32_e32 v16, 0xffff, v19
	v_pk_fma_f16 v44, v21, v55, v44
	s_delay_alu instid0(VALU_DEP_3) | instskip(NEXT) | instid1(VALU_DEP_3)
	v_pk_fma_f16 v22, v21, v58, v22
	v_mul_u32_u24_e32 v59, 0x10001, v16
	ds_load_b128 v[16:19], v117 offset:1360
	v_pk_fma_f16 v23, v21, v59, v23
	s_wait_dscnt 0x0
	v_lshrrev_b32_e32 v60, 16, v16
	v_lshrrev_b32_e32 v61, 16, v17
	;; [unrolled: 1-line block ×4, first 2 shown]
	v_and_b32_e32 v16, 0xffff, v16
	v_and_b32_e32 v17, 0xffff, v17
	v_and_b32_e32 v18, 0xffff, v18
	v_and_b32_e32 v19, 0xffff, v19
	v_mul_u32_u24_e32 v60, 0x10001, v60
	v_mul_u32_u24_e32 v16, 0x10001, v16
	;; [unrolled: 1-line block ×8, first 2 shown]
	v_pk_fma_f16 v45, v21, v16, v45
	v_pk_fma_f16 v46, v21, v60, v46
	;; [unrolled: 1-line block ×8, first 2 shown]
	ds_load_2addr_b32 v[20:21], v124 offset0:192 offset1:224
	ds_load_b128 v[16:19], v117 offset:352
	s_wait_dscnt 0x0
	v_lshrrev_b32_e32 v53, 16, v16
	v_and_b32_e32 v16, 0xffff, v16
	v_lshrrev_b32_e32 v54, 16, v17
	v_lshrrev_b32_e32 v55, 16, v18
	;; [unrolled: 1-line block ×3, first 2 shown]
	v_mul_u32_u24_e32 v53, 0x10001, v53
	v_mul_u32_u24_e32 v57, 0x10001, v16
	v_and_b32_e32 v16, 0xffff, v17
	v_mul_u32_u24_e32 v54, 0x10001, v54
	v_mul_u32_u24_e32 v55, 0x10001, v55
	;; [unrolled: 1-line block ×3, first 2 shown]
	v_pk_fma_f16 v39, v20, v57, v39
	v_mul_u32_u24_e32 v58, 0x10001, v16
	v_and_b32_e32 v16, 0xffff, v18
	v_pk_fma_f16 v40, v20, v53, v40
	v_pk_fma_f16 v42, v20, v54, v42
	;; [unrolled: 1-line block ×4, first 2 shown]
	v_mul_u32_u24_e32 v59, 0x10001, v16
	v_and_b32_e32 v16, 0xffff, v19
	v_pk_fma_f16 v44, v20, v56, v44
	s_delay_alu instid0(VALU_DEP_3) | instskip(NEXT) | instid1(VALU_DEP_3)
	v_pk_fma_f16 v22, v20, v59, v22
	v_mul_u32_u24_e32 v60, 0x10001, v16
	ds_load_b128 v[16:19], v117 offset:1376
	v_pk_fma_f16 v23, v20, v60, v23
	s_wait_dscnt 0x0
	v_lshrrev_b32_e32 v61, 16, v16
	v_lshrrev_b32_e32 v62, 16, v17
	;; [unrolled: 1-line block ×4, first 2 shown]
	v_and_b32_e32 v16, 0xffff, v16
	v_and_b32_e32 v17, 0xffff, v17
	;; [unrolled: 1-line block ×4, first 2 shown]
	v_mul_u32_u24_e32 v61, 0x10001, v61
	v_mul_u32_u24_e32 v16, 0x10001, v16
	;; [unrolled: 1-line block ×6, first 2 shown]
	v_pk_fma_f16 v45, v20, v16, v45
	v_pk_fma_f16 v47, v20, v17, v47
	v_pk_fma_f16 v49, v20, v18, v49
	v_pk_fma_f16 v51, v20, v19, v51
	ds_load_b128 v[16:19], v117 offset:368
	v_mul_u32_u24_e32 v63, 0x10001, v63
	v_mul_u32_u24_e32 v130, 0x10001, v130
	v_pk_fma_f16 v46, v20, v61, v46
	v_pk_fma_f16 v48, v20, v62, v48
	s_delay_alu instid0(VALU_DEP_4) | instskip(NEXT) | instid1(VALU_DEP_4)
	v_pk_fma_f16 v50, v20, v63, v50
	v_pk_fma_f16 v20, v20, v130, v52
	s_wait_dscnt 0x0
	v_lshrrev_b32_e32 v52, 16, v16
	v_and_b32_e32 v16, 0xffff, v16
	v_lshrrev_b32_e32 v53, 16, v17
	v_lshrrev_b32_e32 v54, 16, v18
	;; [unrolled: 1-line block ×3, first 2 shown]
	v_mul_u32_u24_e32 v52, 0x10001, v52
	v_mul_u32_u24_e32 v56, 0x10001, v16
	v_and_b32_e32 v16, 0xffff, v17
	v_mul_u32_u24_e32 v53, 0x10001, v53
	v_mul_u32_u24_e32 v54, 0x10001, v54
	;; [unrolled: 1-line block ×3, first 2 shown]
	v_pk_fma_f16 v39, v21, v56, v39
	v_mul_u32_u24_e32 v57, 0x10001, v16
	v_and_b32_e32 v16, 0xffff, v18
	v_pk_fma_f16 v40, v21, v52, v40
	v_pk_fma_f16 v42, v21, v53, v42
	;; [unrolled: 1-line block ×4, first 2 shown]
	v_mul_u32_u24_e32 v58, 0x10001, v16
	v_and_b32_e32 v16, 0xffff, v19
	v_pk_fma_f16 v44, v21, v55, v44
	s_delay_alu instid0(VALU_DEP_3) | instskip(NEXT) | instid1(VALU_DEP_3)
	v_pk_fma_f16 v22, v21, v58, v22
	v_mul_u32_u24_e32 v59, 0x10001, v16
	ds_load_b128 v[16:19], v117 offset:1392
	v_pk_fma_f16 v23, v21, v59, v23
	s_wait_dscnt 0x0
	v_lshrrev_b32_e32 v60, 16, v16
	v_lshrrev_b32_e32 v61, 16, v17
	;; [unrolled: 1-line block ×4, first 2 shown]
	v_and_b32_e32 v16, 0xffff, v16
	v_and_b32_e32 v17, 0xffff, v17
	;; [unrolled: 1-line block ×4, first 2 shown]
	v_mul_u32_u24_e32 v60, 0x10001, v60
	v_mul_u32_u24_e32 v16, 0x10001, v16
	;; [unrolled: 1-line block ×8, first 2 shown]
	v_pk_fma_f16 v45, v21, v16, v45
	v_pk_fma_f16 v46, v21, v60, v46
	;; [unrolled: 1-line block ×8, first 2 shown]
	ds_load_2addr_b32 v[20:21], v125 offset1:32
	ds_load_b128 v[16:19], v117 offset:384
	s_wait_dscnt 0x0
	v_lshrrev_b32_e32 v53, 16, v16
	v_and_b32_e32 v16, 0xffff, v16
	v_lshrrev_b32_e32 v54, 16, v17
	v_lshrrev_b32_e32 v55, 16, v18
	;; [unrolled: 1-line block ×3, first 2 shown]
	v_mul_u32_u24_e32 v53, 0x10001, v53
	v_mul_u32_u24_e32 v57, 0x10001, v16
	v_and_b32_e32 v16, 0xffff, v17
	v_mul_u32_u24_e32 v54, 0x10001, v54
	v_mul_u32_u24_e32 v55, 0x10001, v55
	;; [unrolled: 1-line block ×3, first 2 shown]
	v_pk_fma_f16 v39, v20, v57, v39
	v_mul_u32_u24_e32 v58, 0x10001, v16
	v_and_b32_e32 v16, 0xffff, v18
	v_pk_fma_f16 v40, v20, v53, v40
	v_pk_fma_f16 v42, v20, v54, v42
	;; [unrolled: 1-line block ×4, first 2 shown]
	v_mul_u32_u24_e32 v59, 0x10001, v16
	v_and_b32_e32 v16, 0xffff, v19
	v_pk_fma_f16 v44, v20, v56, v44
	s_delay_alu instid0(VALU_DEP_3) | instskip(NEXT) | instid1(VALU_DEP_3)
	v_pk_fma_f16 v22, v20, v59, v22
	v_mul_u32_u24_e32 v60, 0x10001, v16
	ds_load_b128 v[16:19], v117 offset:1408
	v_pk_fma_f16 v23, v20, v60, v23
	s_wait_dscnt 0x0
	v_lshrrev_b32_e32 v61, 16, v16
	v_lshrrev_b32_e32 v62, 16, v17
	;; [unrolled: 1-line block ×4, first 2 shown]
	v_and_b32_e32 v16, 0xffff, v16
	v_and_b32_e32 v17, 0xffff, v17
	;; [unrolled: 1-line block ×4, first 2 shown]
	v_mul_u32_u24_e32 v61, 0x10001, v61
	v_mul_u32_u24_e32 v16, 0x10001, v16
	;; [unrolled: 1-line block ×6, first 2 shown]
	v_pk_fma_f16 v45, v20, v16, v45
	v_pk_fma_f16 v47, v20, v17, v47
	;; [unrolled: 1-line block ×4, first 2 shown]
	ds_load_b128 v[16:19], v117 offset:400
	v_mul_u32_u24_e32 v63, 0x10001, v63
	v_mul_u32_u24_e32 v130, 0x10001, v130
	v_pk_fma_f16 v46, v20, v61, v46
	v_pk_fma_f16 v48, v20, v62, v48
	s_delay_alu instid0(VALU_DEP_4) | instskip(NEXT) | instid1(VALU_DEP_4)
	v_pk_fma_f16 v50, v20, v63, v50
	v_pk_fma_f16 v20, v20, v130, v52
	s_wait_dscnt 0x0
	v_lshrrev_b32_e32 v52, 16, v16
	v_and_b32_e32 v16, 0xffff, v16
	v_lshrrev_b32_e32 v53, 16, v17
	v_lshrrev_b32_e32 v54, 16, v18
	;; [unrolled: 1-line block ×3, first 2 shown]
	v_mul_u32_u24_e32 v52, 0x10001, v52
	v_mul_u32_u24_e32 v56, 0x10001, v16
	v_and_b32_e32 v16, 0xffff, v17
	v_mul_u32_u24_e32 v53, 0x10001, v53
	v_mul_u32_u24_e32 v54, 0x10001, v54
	;; [unrolled: 1-line block ×3, first 2 shown]
	v_pk_fma_f16 v39, v21, v56, v39
	v_mul_u32_u24_e32 v57, 0x10001, v16
	v_and_b32_e32 v16, 0xffff, v18
	v_pk_fma_f16 v40, v21, v52, v40
	v_pk_fma_f16 v42, v21, v53, v42
	;; [unrolled: 1-line block ×4, first 2 shown]
	v_mul_u32_u24_e32 v58, 0x10001, v16
	v_and_b32_e32 v16, 0xffff, v19
	v_pk_fma_f16 v44, v21, v55, v44
	s_delay_alu instid0(VALU_DEP_3) | instskip(NEXT) | instid1(VALU_DEP_3)
	v_pk_fma_f16 v22, v21, v58, v22
	v_mul_u32_u24_e32 v59, 0x10001, v16
	ds_load_b128 v[16:19], v117 offset:1424
	v_pk_fma_f16 v23, v21, v59, v23
	s_wait_dscnt 0x0
	v_lshrrev_b32_e32 v60, 16, v16
	v_lshrrev_b32_e32 v61, 16, v17
	;; [unrolled: 1-line block ×4, first 2 shown]
	v_and_b32_e32 v16, 0xffff, v16
	v_and_b32_e32 v17, 0xffff, v17
	;; [unrolled: 1-line block ×4, first 2 shown]
	v_mul_u32_u24_e32 v60, 0x10001, v60
	v_mul_u32_u24_e32 v16, 0x10001, v16
	;; [unrolled: 1-line block ×8, first 2 shown]
	v_pk_fma_f16 v45, v21, v16, v45
	v_pk_fma_f16 v46, v21, v60, v46
	;; [unrolled: 1-line block ×8, first 2 shown]
	ds_load_2addr_b32 v[20:21], v125 offset0:64 offset1:96
	ds_load_b128 v[16:19], v117 offset:416
	s_wait_dscnt 0x0
	v_lshrrev_b32_e32 v53, 16, v16
	v_and_b32_e32 v16, 0xffff, v16
	v_lshrrev_b32_e32 v54, 16, v17
	v_lshrrev_b32_e32 v55, 16, v18
	;; [unrolled: 1-line block ×3, first 2 shown]
	v_mul_u32_u24_e32 v53, 0x10001, v53
	v_mul_u32_u24_e32 v57, 0x10001, v16
	v_and_b32_e32 v16, 0xffff, v17
	v_mul_u32_u24_e32 v54, 0x10001, v54
	v_mul_u32_u24_e32 v55, 0x10001, v55
	;; [unrolled: 1-line block ×3, first 2 shown]
	v_pk_fma_f16 v39, v20, v57, v39
	v_mul_u32_u24_e32 v58, 0x10001, v16
	v_and_b32_e32 v16, 0xffff, v18
	v_pk_fma_f16 v40, v20, v53, v40
	v_pk_fma_f16 v42, v20, v54, v42
	;; [unrolled: 1-line block ×4, first 2 shown]
	v_mul_u32_u24_e32 v59, 0x10001, v16
	v_and_b32_e32 v16, 0xffff, v19
	v_pk_fma_f16 v44, v20, v56, v44
	s_delay_alu instid0(VALU_DEP_3) | instskip(NEXT) | instid1(VALU_DEP_3)
	v_pk_fma_f16 v22, v20, v59, v22
	v_mul_u32_u24_e32 v60, 0x10001, v16
	ds_load_b128 v[16:19], v117 offset:1440
	v_pk_fma_f16 v23, v20, v60, v23
	s_wait_dscnt 0x0
	v_lshrrev_b32_e32 v61, 16, v16
	v_lshrrev_b32_e32 v62, 16, v17
	;; [unrolled: 1-line block ×4, first 2 shown]
	v_and_b32_e32 v16, 0xffff, v16
	v_and_b32_e32 v17, 0xffff, v17
	;; [unrolled: 1-line block ×4, first 2 shown]
	v_mul_u32_u24_e32 v61, 0x10001, v61
	v_mul_u32_u24_e32 v16, 0x10001, v16
	;; [unrolled: 1-line block ×6, first 2 shown]
	v_pk_fma_f16 v45, v20, v16, v45
	v_pk_fma_f16 v47, v20, v17, v47
	;; [unrolled: 1-line block ×4, first 2 shown]
	ds_load_b128 v[16:19], v117 offset:432
	v_mul_u32_u24_e32 v63, 0x10001, v63
	v_mul_u32_u24_e32 v130, 0x10001, v130
	v_pk_fma_f16 v46, v20, v61, v46
	v_pk_fma_f16 v48, v20, v62, v48
	s_delay_alu instid0(VALU_DEP_4) | instskip(NEXT) | instid1(VALU_DEP_4)
	v_pk_fma_f16 v50, v20, v63, v50
	v_pk_fma_f16 v20, v20, v130, v52
	s_wait_dscnt 0x0
	v_lshrrev_b32_e32 v52, 16, v16
	v_and_b32_e32 v16, 0xffff, v16
	v_lshrrev_b32_e32 v53, 16, v17
	v_lshrrev_b32_e32 v54, 16, v18
	;; [unrolled: 1-line block ×3, first 2 shown]
	v_mul_u32_u24_e32 v52, 0x10001, v52
	v_mul_u32_u24_e32 v56, 0x10001, v16
	v_and_b32_e32 v16, 0xffff, v17
	v_mul_u32_u24_e32 v53, 0x10001, v53
	v_mul_u32_u24_e32 v54, 0x10001, v54
	;; [unrolled: 1-line block ×3, first 2 shown]
	v_pk_fma_f16 v39, v21, v56, v39
	v_mul_u32_u24_e32 v57, 0x10001, v16
	v_and_b32_e32 v16, 0xffff, v18
	v_pk_fma_f16 v40, v21, v52, v40
	v_pk_fma_f16 v42, v21, v53, v42
	;; [unrolled: 1-line block ×4, first 2 shown]
	v_mul_u32_u24_e32 v58, 0x10001, v16
	v_and_b32_e32 v16, 0xffff, v19
	v_pk_fma_f16 v44, v21, v55, v44
	s_delay_alu instid0(VALU_DEP_3) | instskip(NEXT) | instid1(VALU_DEP_3)
	v_pk_fma_f16 v22, v21, v58, v22
	v_mul_u32_u24_e32 v59, 0x10001, v16
	ds_load_b128 v[16:19], v117 offset:1456
	v_pk_fma_f16 v23, v21, v59, v23
	s_wait_dscnt 0x0
	v_lshrrev_b32_e32 v60, 16, v16
	v_lshrrev_b32_e32 v61, 16, v17
	;; [unrolled: 1-line block ×4, first 2 shown]
	v_and_b32_e32 v16, 0xffff, v16
	v_and_b32_e32 v17, 0xffff, v17
	;; [unrolled: 1-line block ×4, first 2 shown]
	v_mul_u32_u24_e32 v60, 0x10001, v60
	v_mul_u32_u24_e32 v16, 0x10001, v16
	;; [unrolled: 1-line block ×8, first 2 shown]
	v_pk_fma_f16 v45, v21, v16, v45
	v_pk_fma_f16 v46, v21, v60, v46
	;; [unrolled: 1-line block ×8, first 2 shown]
	ds_load_2addr_b32 v[20:21], v125 offset0:128 offset1:160
	ds_load_b128 v[16:19], v117 offset:448
	s_wait_dscnt 0x0
	v_lshrrev_b32_e32 v53, 16, v16
	v_and_b32_e32 v16, 0xffff, v16
	v_lshrrev_b32_e32 v54, 16, v17
	v_lshrrev_b32_e32 v55, 16, v18
	v_lshrrev_b32_e32 v56, 16, v19
	v_mul_u32_u24_e32 v53, 0x10001, v53
	v_mul_u32_u24_e32 v57, 0x10001, v16
	v_and_b32_e32 v16, 0xffff, v17
	v_mul_u32_u24_e32 v54, 0x10001, v54
	v_mul_u32_u24_e32 v55, 0x10001, v55
	;; [unrolled: 1-line block ×3, first 2 shown]
	v_pk_fma_f16 v39, v20, v57, v39
	v_mul_u32_u24_e32 v58, 0x10001, v16
	v_and_b32_e32 v16, 0xffff, v18
	v_pk_fma_f16 v40, v20, v53, v40
	v_pk_fma_f16 v42, v20, v54, v42
	;; [unrolled: 1-line block ×4, first 2 shown]
	v_mul_u32_u24_e32 v59, 0x10001, v16
	v_and_b32_e32 v16, 0xffff, v19
	v_pk_fma_f16 v44, v20, v56, v44
	s_delay_alu instid0(VALU_DEP_3) | instskip(NEXT) | instid1(VALU_DEP_3)
	v_pk_fma_f16 v22, v20, v59, v22
	v_mul_u32_u24_e32 v60, 0x10001, v16
	ds_load_b128 v[16:19], v117 offset:1472
	v_pk_fma_f16 v23, v20, v60, v23
	s_wait_dscnt 0x0
	v_lshrrev_b32_e32 v61, 16, v16
	v_lshrrev_b32_e32 v62, 16, v17
	;; [unrolled: 1-line block ×4, first 2 shown]
	v_and_b32_e32 v16, 0xffff, v16
	v_and_b32_e32 v17, 0xffff, v17
	;; [unrolled: 1-line block ×4, first 2 shown]
	v_mul_u32_u24_e32 v61, 0x10001, v61
	v_mul_u32_u24_e32 v16, 0x10001, v16
	;; [unrolled: 1-line block ×6, first 2 shown]
	v_pk_fma_f16 v45, v20, v16, v45
	v_pk_fma_f16 v47, v20, v17, v47
	;; [unrolled: 1-line block ×4, first 2 shown]
	ds_load_b128 v[16:19], v117 offset:464
	v_mul_u32_u24_e32 v63, 0x10001, v63
	v_mul_u32_u24_e32 v130, 0x10001, v130
	v_pk_fma_f16 v46, v20, v61, v46
	v_pk_fma_f16 v48, v20, v62, v48
	s_delay_alu instid0(VALU_DEP_4) | instskip(NEXT) | instid1(VALU_DEP_4)
	v_pk_fma_f16 v50, v20, v63, v50
	v_pk_fma_f16 v20, v20, v130, v52
	s_wait_dscnt 0x0
	v_lshrrev_b32_e32 v52, 16, v16
	v_and_b32_e32 v16, 0xffff, v16
	v_lshrrev_b32_e32 v53, 16, v17
	v_lshrrev_b32_e32 v54, 16, v18
	v_lshrrev_b32_e32 v55, 16, v19
	v_mul_u32_u24_e32 v52, 0x10001, v52
	v_mul_u32_u24_e32 v56, 0x10001, v16
	v_and_b32_e32 v16, 0xffff, v17
	v_mul_u32_u24_e32 v53, 0x10001, v53
	v_mul_u32_u24_e32 v54, 0x10001, v54
	;; [unrolled: 1-line block ×3, first 2 shown]
	v_pk_fma_f16 v39, v21, v56, v39
	v_mul_u32_u24_e32 v57, 0x10001, v16
	v_and_b32_e32 v16, 0xffff, v18
	v_pk_fma_f16 v40, v21, v52, v40
	v_pk_fma_f16 v42, v21, v53, v42
	;; [unrolled: 1-line block ×4, first 2 shown]
	v_mul_u32_u24_e32 v58, 0x10001, v16
	v_and_b32_e32 v16, 0xffff, v19
	v_pk_fma_f16 v44, v21, v55, v44
	s_delay_alu instid0(VALU_DEP_3) | instskip(NEXT) | instid1(VALU_DEP_3)
	v_pk_fma_f16 v22, v21, v58, v22
	v_mul_u32_u24_e32 v59, 0x10001, v16
	ds_load_b128 v[16:19], v117 offset:1488
	v_pk_fma_f16 v23, v21, v59, v23
	s_wait_dscnt 0x0
	v_lshrrev_b32_e32 v60, 16, v16
	v_lshrrev_b32_e32 v61, 16, v17
	;; [unrolled: 1-line block ×4, first 2 shown]
	v_and_b32_e32 v16, 0xffff, v16
	v_and_b32_e32 v17, 0xffff, v17
	;; [unrolled: 1-line block ×4, first 2 shown]
	v_mul_u32_u24_e32 v60, 0x10001, v60
	v_mul_u32_u24_e32 v16, 0x10001, v16
	;; [unrolled: 1-line block ×8, first 2 shown]
	v_pk_fma_f16 v45, v21, v16, v45
	v_pk_fma_f16 v46, v21, v60, v46
	;; [unrolled: 1-line block ×8, first 2 shown]
	ds_load_2addr_b32 v[20:21], v125 offset0:192 offset1:224
	ds_load_b128 v[16:19], v117 offset:480
	s_wait_dscnt 0x0
	v_lshrrev_b32_e32 v53, 16, v16
	v_and_b32_e32 v16, 0xffff, v16
	v_lshrrev_b32_e32 v54, 16, v17
	v_lshrrev_b32_e32 v55, 16, v18
	;; [unrolled: 1-line block ×3, first 2 shown]
	v_mul_u32_u24_e32 v53, 0x10001, v53
	v_mul_u32_u24_e32 v57, 0x10001, v16
	v_and_b32_e32 v16, 0xffff, v17
	v_mul_u32_u24_e32 v54, 0x10001, v54
	v_mul_u32_u24_e32 v55, 0x10001, v55
	;; [unrolled: 1-line block ×3, first 2 shown]
	v_pk_fma_f16 v39, v20, v57, v39
	v_mul_u32_u24_e32 v58, 0x10001, v16
	v_and_b32_e32 v16, 0xffff, v18
	v_pk_fma_f16 v40, v20, v53, v40
	v_pk_fma_f16 v42, v20, v54, v42
	;; [unrolled: 1-line block ×4, first 2 shown]
	v_mul_u32_u24_e32 v59, 0x10001, v16
	v_and_b32_e32 v16, 0xffff, v19
	v_pk_fma_f16 v44, v20, v56, v44
	s_delay_alu instid0(VALU_DEP_3) | instskip(NEXT) | instid1(VALU_DEP_3)
	v_pk_fma_f16 v22, v20, v59, v22
	v_mul_u32_u24_e32 v60, 0x10001, v16
	ds_load_b128 v[16:19], v117 offset:1504
	v_pk_fma_f16 v23, v20, v60, v23
	s_wait_dscnt 0x0
	v_lshrrev_b32_e32 v61, 16, v16
	v_lshrrev_b32_e32 v62, 16, v17
	;; [unrolled: 1-line block ×4, first 2 shown]
	v_and_b32_e32 v16, 0xffff, v16
	v_and_b32_e32 v17, 0xffff, v17
	;; [unrolled: 1-line block ×4, first 2 shown]
	v_mul_u32_u24_e32 v61, 0x10001, v61
	v_mul_u32_u24_e32 v16, 0x10001, v16
	;; [unrolled: 1-line block ×6, first 2 shown]
	v_pk_fma_f16 v45, v20, v16, v45
	v_pk_fma_f16 v47, v20, v17, v47
	;; [unrolled: 1-line block ×4, first 2 shown]
	ds_load_b128 v[16:19], v117 offset:496
	v_mul_u32_u24_e32 v63, 0x10001, v63
	v_mul_u32_u24_e32 v130, 0x10001, v130
	v_pk_fma_f16 v46, v20, v61, v46
	v_pk_fma_f16 v48, v20, v62, v48
	s_delay_alu instid0(VALU_DEP_4) | instskip(NEXT) | instid1(VALU_DEP_4)
	v_pk_fma_f16 v50, v20, v63, v50
	v_pk_fma_f16 v20, v20, v130, v52
	s_wait_dscnt 0x0
	v_lshrrev_b32_e32 v52, 16, v16
	v_and_b32_e32 v16, 0xffff, v16
	v_lshrrev_b32_e32 v53, 16, v17
	v_lshrrev_b32_e32 v54, 16, v18
	;; [unrolled: 1-line block ×3, first 2 shown]
	v_mul_u32_u24_e32 v52, 0x10001, v52
	v_mul_u32_u24_e32 v56, 0x10001, v16
	v_and_b32_e32 v16, 0xffff, v17
	v_mul_u32_u24_e32 v53, 0x10001, v53
	v_mul_u32_u24_e32 v54, 0x10001, v54
	;; [unrolled: 1-line block ×3, first 2 shown]
	v_pk_fma_f16 v39, v21, v56, v39
	v_mul_u32_u24_e32 v57, 0x10001, v16
	v_and_b32_e32 v16, 0xffff, v18
	v_pk_fma_f16 v40, v21, v52, v40
	v_pk_fma_f16 v42, v21, v53, v42
	;; [unrolled: 1-line block ×4, first 2 shown]
	v_mul_u32_u24_e32 v58, 0x10001, v16
	v_and_b32_e32 v16, 0xffff, v19
	v_pk_fma_f16 v44, v21, v55, v44
	s_delay_alu instid0(VALU_DEP_3) | instskip(NEXT) | instid1(VALU_DEP_3)
	v_pk_fma_f16 v22, v21, v58, v22
	v_mul_u32_u24_e32 v59, 0x10001, v16
	ds_load_b128 v[16:19], v117 offset:1520
	v_pk_fma_f16 v23, v21, v59, v23
	s_wait_dscnt 0x0
	v_lshrrev_b32_e32 v60, 16, v16
	v_lshrrev_b32_e32 v61, 16, v17
	;; [unrolled: 1-line block ×4, first 2 shown]
	v_and_b32_e32 v16, 0xffff, v16
	v_and_b32_e32 v17, 0xffff, v17
	;; [unrolled: 1-line block ×4, first 2 shown]
	v_mul_u32_u24_e32 v60, 0x10001, v60
	v_mul_u32_u24_e32 v16, 0x10001, v16
	;; [unrolled: 1-line block ×8, first 2 shown]
	v_pk_fma_f16 v45, v21, v16, v45
	v_pk_fma_f16 v46, v21, v60, v46
	;; [unrolled: 1-line block ×8, first 2 shown]
	ds_load_2addr_b32 v[20:21], v126 offset1:32
	ds_load_b128 v[16:19], v117 offset:512
	s_wait_dscnt 0x0
	v_lshrrev_b32_e32 v53, 16, v16
	v_and_b32_e32 v16, 0xffff, v16
	v_lshrrev_b32_e32 v54, 16, v17
	v_lshrrev_b32_e32 v55, 16, v18
	;; [unrolled: 1-line block ×3, first 2 shown]
	v_mul_u32_u24_e32 v53, 0x10001, v53
	v_mul_u32_u24_e32 v57, 0x10001, v16
	v_and_b32_e32 v16, 0xffff, v17
	v_mul_u32_u24_e32 v54, 0x10001, v54
	v_mul_u32_u24_e32 v55, 0x10001, v55
	v_mul_u32_u24_e32 v56, 0x10001, v56
	v_pk_fma_f16 v39, v20, v57, v39
	v_mul_u32_u24_e32 v58, 0x10001, v16
	v_and_b32_e32 v16, 0xffff, v18
	v_pk_fma_f16 v40, v20, v53, v40
	v_pk_fma_f16 v42, v20, v54, v42
	;; [unrolled: 1-line block ×4, first 2 shown]
	v_mul_u32_u24_e32 v59, 0x10001, v16
	v_and_b32_e32 v16, 0xffff, v19
	v_pk_fma_f16 v44, v20, v56, v44
	s_delay_alu instid0(VALU_DEP_3) | instskip(NEXT) | instid1(VALU_DEP_3)
	v_pk_fma_f16 v22, v20, v59, v22
	v_mul_u32_u24_e32 v60, 0x10001, v16
	ds_load_b128 v[16:19], v117 offset:1536
	v_pk_fma_f16 v23, v20, v60, v23
	s_wait_dscnt 0x0
	v_lshrrev_b32_e32 v61, 16, v16
	v_lshrrev_b32_e32 v62, 16, v17
	;; [unrolled: 1-line block ×4, first 2 shown]
	v_and_b32_e32 v16, 0xffff, v16
	v_and_b32_e32 v17, 0xffff, v17
	;; [unrolled: 1-line block ×4, first 2 shown]
	v_mul_u32_u24_e32 v61, 0x10001, v61
	v_mul_u32_u24_e32 v16, 0x10001, v16
	;; [unrolled: 1-line block ×6, first 2 shown]
	v_pk_fma_f16 v45, v20, v16, v45
	v_pk_fma_f16 v47, v20, v17, v47
	;; [unrolled: 1-line block ×4, first 2 shown]
	ds_load_b128 v[16:19], v117 offset:528
	v_mul_u32_u24_e32 v63, 0x10001, v63
	v_mul_u32_u24_e32 v130, 0x10001, v130
	v_pk_fma_f16 v46, v20, v61, v46
	v_pk_fma_f16 v48, v20, v62, v48
	s_delay_alu instid0(VALU_DEP_4) | instskip(NEXT) | instid1(VALU_DEP_4)
	v_pk_fma_f16 v50, v20, v63, v50
	v_pk_fma_f16 v20, v20, v130, v52
	s_wait_dscnt 0x0
	v_lshrrev_b32_e32 v52, 16, v16
	v_and_b32_e32 v16, 0xffff, v16
	v_lshrrev_b32_e32 v53, 16, v17
	v_lshrrev_b32_e32 v54, 16, v18
	;; [unrolled: 1-line block ×3, first 2 shown]
	v_mul_u32_u24_e32 v52, 0x10001, v52
	v_mul_u32_u24_e32 v56, 0x10001, v16
	v_and_b32_e32 v16, 0xffff, v17
	v_mul_u32_u24_e32 v53, 0x10001, v53
	v_mul_u32_u24_e32 v54, 0x10001, v54
	;; [unrolled: 1-line block ×3, first 2 shown]
	v_pk_fma_f16 v39, v21, v56, v39
	v_mul_u32_u24_e32 v57, 0x10001, v16
	v_and_b32_e32 v16, 0xffff, v18
	v_pk_fma_f16 v40, v21, v52, v40
	v_pk_fma_f16 v42, v21, v53, v42
	v_pk_fma_f16 v43, v21, v54, v43
	v_pk_fma_f16 v41, v21, v57, v41
	v_mul_u32_u24_e32 v58, 0x10001, v16
	v_and_b32_e32 v16, 0xffff, v19
	v_pk_fma_f16 v44, v21, v55, v44
	s_delay_alu instid0(VALU_DEP_3) | instskip(NEXT) | instid1(VALU_DEP_3)
	v_pk_fma_f16 v22, v21, v58, v22
	v_mul_u32_u24_e32 v59, 0x10001, v16
	ds_load_b128 v[16:19], v117 offset:1552
	v_pk_fma_f16 v23, v21, v59, v23
	s_wait_dscnt 0x0
	v_lshrrev_b32_e32 v60, 16, v16
	v_lshrrev_b32_e32 v61, 16, v17
	;; [unrolled: 1-line block ×4, first 2 shown]
	v_and_b32_e32 v16, 0xffff, v16
	v_and_b32_e32 v17, 0xffff, v17
	v_and_b32_e32 v18, 0xffff, v18
	v_and_b32_e32 v19, 0xffff, v19
	v_mul_u32_u24_e32 v60, 0x10001, v60
	v_mul_u32_u24_e32 v16, 0x10001, v16
	;; [unrolled: 1-line block ×8, first 2 shown]
	v_pk_fma_f16 v45, v21, v16, v45
	v_pk_fma_f16 v46, v21, v60, v46
	;; [unrolled: 1-line block ×8, first 2 shown]
	ds_load_2addr_b32 v[20:21], v126 offset0:64 offset1:96
	ds_load_b128 v[16:19], v117 offset:544
	s_wait_dscnt 0x0
	v_lshrrev_b32_e32 v53, 16, v16
	v_and_b32_e32 v16, 0xffff, v16
	v_lshrrev_b32_e32 v54, 16, v17
	v_lshrrev_b32_e32 v55, 16, v18
	;; [unrolled: 1-line block ×3, first 2 shown]
	v_mul_u32_u24_e32 v53, 0x10001, v53
	v_mul_u32_u24_e32 v57, 0x10001, v16
	v_and_b32_e32 v16, 0xffff, v17
	v_mul_u32_u24_e32 v54, 0x10001, v54
	v_mul_u32_u24_e32 v55, 0x10001, v55
	;; [unrolled: 1-line block ×3, first 2 shown]
	v_pk_fma_f16 v39, v20, v57, v39
	v_mul_u32_u24_e32 v58, 0x10001, v16
	v_and_b32_e32 v16, 0xffff, v18
	v_pk_fma_f16 v40, v20, v53, v40
	v_pk_fma_f16 v42, v20, v54, v42
	v_pk_fma_f16 v43, v20, v55, v43
	v_pk_fma_f16 v41, v20, v58, v41
	v_mul_u32_u24_e32 v59, 0x10001, v16
	v_and_b32_e32 v16, 0xffff, v19
	v_pk_fma_f16 v44, v20, v56, v44
	s_delay_alu instid0(VALU_DEP_3) | instskip(NEXT) | instid1(VALU_DEP_3)
	v_pk_fma_f16 v22, v20, v59, v22
	v_mul_u32_u24_e32 v60, 0x10001, v16
	ds_load_b128 v[16:19], v117 offset:1568
	v_pk_fma_f16 v23, v20, v60, v23
	s_wait_dscnt 0x0
	v_lshrrev_b32_e32 v61, 16, v16
	v_lshrrev_b32_e32 v62, 16, v17
	;; [unrolled: 1-line block ×4, first 2 shown]
	v_and_b32_e32 v16, 0xffff, v16
	v_and_b32_e32 v17, 0xffff, v17
	;; [unrolled: 1-line block ×4, first 2 shown]
	v_mul_u32_u24_e32 v61, 0x10001, v61
	v_mul_u32_u24_e32 v16, 0x10001, v16
	;; [unrolled: 1-line block ×6, first 2 shown]
	v_pk_fma_f16 v45, v20, v16, v45
	v_pk_fma_f16 v47, v20, v17, v47
	;; [unrolled: 1-line block ×4, first 2 shown]
	ds_load_b128 v[16:19], v117 offset:560
	v_mul_u32_u24_e32 v63, 0x10001, v63
	v_mul_u32_u24_e32 v130, 0x10001, v130
	v_pk_fma_f16 v46, v20, v61, v46
	v_pk_fma_f16 v48, v20, v62, v48
	s_delay_alu instid0(VALU_DEP_4) | instskip(NEXT) | instid1(VALU_DEP_4)
	v_pk_fma_f16 v50, v20, v63, v50
	v_pk_fma_f16 v20, v20, v130, v52
	s_wait_dscnt 0x0
	v_lshrrev_b32_e32 v52, 16, v16
	v_and_b32_e32 v16, 0xffff, v16
	v_lshrrev_b32_e32 v53, 16, v17
	v_lshrrev_b32_e32 v54, 16, v18
	;; [unrolled: 1-line block ×3, first 2 shown]
	v_mul_u32_u24_e32 v52, 0x10001, v52
	v_mul_u32_u24_e32 v56, 0x10001, v16
	v_and_b32_e32 v16, 0xffff, v17
	v_mul_u32_u24_e32 v53, 0x10001, v53
	v_mul_u32_u24_e32 v54, 0x10001, v54
	;; [unrolled: 1-line block ×3, first 2 shown]
	v_pk_fma_f16 v39, v21, v56, v39
	v_mul_u32_u24_e32 v57, 0x10001, v16
	v_and_b32_e32 v16, 0xffff, v18
	v_pk_fma_f16 v40, v21, v52, v40
	v_pk_fma_f16 v42, v21, v53, v42
	;; [unrolled: 1-line block ×4, first 2 shown]
	v_mul_u32_u24_e32 v58, 0x10001, v16
	v_and_b32_e32 v16, 0xffff, v19
	v_pk_fma_f16 v44, v21, v55, v44
	s_delay_alu instid0(VALU_DEP_3) | instskip(NEXT) | instid1(VALU_DEP_3)
	v_pk_fma_f16 v22, v21, v58, v22
	v_mul_u32_u24_e32 v59, 0x10001, v16
	ds_load_b128 v[16:19], v117 offset:1584
	v_pk_fma_f16 v23, v21, v59, v23
	s_wait_dscnt 0x0
	v_lshrrev_b32_e32 v60, 16, v16
	v_lshrrev_b32_e32 v61, 16, v17
	;; [unrolled: 1-line block ×4, first 2 shown]
	v_and_b32_e32 v16, 0xffff, v16
	v_and_b32_e32 v17, 0xffff, v17
	;; [unrolled: 1-line block ×4, first 2 shown]
	v_mul_u32_u24_e32 v60, 0x10001, v60
	v_mul_u32_u24_e32 v16, 0x10001, v16
	;; [unrolled: 1-line block ×8, first 2 shown]
	v_pk_fma_f16 v45, v21, v16, v45
	v_pk_fma_f16 v46, v21, v60, v46
	;; [unrolled: 1-line block ×8, first 2 shown]
	ds_load_2addr_b32 v[20:21], v126 offset0:128 offset1:160
	ds_load_b128 v[16:19], v117 offset:576
	s_wait_dscnt 0x0
	v_lshrrev_b32_e32 v53, 16, v16
	v_and_b32_e32 v16, 0xffff, v16
	v_lshrrev_b32_e32 v54, 16, v17
	v_lshrrev_b32_e32 v55, 16, v18
	;; [unrolled: 1-line block ×3, first 2 shown]
	v_mul_u32_u24_e32 v53, 0x10001, v53
	v_mul_u32_u24_e32 v57, 0x10001, v16
	v_and_b32_e32 v16, 0xffff, v17
	v_mul_u32_u24_e32 v54, 0x10001, v54
	v_mul_u32_u24_e32 v55, 0x10001, v55
	;; [unrolled: 1-line block ×3, first 2 shown]
	v_pk_fma_f16 v39, v20, v57, v39
	v_mul_u32_u24_e32 v58, 0x10001, v16
	v_and_b32_e32 v16, 0xffff, v18
	v_pk_fma_f16 v40, v20, v53, v40
	v_pk_fma_f16 v42, v20, v54, v42
	;; [unrolled: 1-line block ×4, first 2 shown]
	v_mul_u32_u24_e32 v59, 0x10001, v16
	v_and_b32_e32 v16, 0xffff, v19
	v_pk_fma_f16 v44, v20, v56, v44
	s_delay_alu instid0(VALU_DEP_3) | instskip(NEXT) | instid1(VALU_DEP_3)
	v_pk_fma_f16 v22, v20, v59, v22
	v_mul_u32_u24_e32 v60, 0x10001, v16
	ds_load_b128 v[16:19], v117 offset:1600
	v_pk_fma_f16 v23, v20, v60, v23
	s_wait_dscnt 0x0
	v_lshrrev_b32_e32 v61, 16, v16
	v_lshrrev_b32_e32 v62, 16, v17
	;; [unrolled: 1-line block ×4, first 2 shown]
	v_and_b32_e32 v16, 0xffff, v16
	v_and_b32_e32 v17, 0xffff, v17
	;; [unrolled: 1-line block ×4, first 2 shown]
	v_mul_u32_u24_e32 v61, 0x10001, v61
	v_mul_u32_u24_e32 v16, 0x10001, v16
	;; [unrolled: 1-line block ×6, first 2 shown]
	v_pk_fma_f16 v45, v20, v16, v45
	v_pk_fma_f16 v47, v20, v17, v47
	v_pk_fma_f16 v49, v20, v18, v49
	v_pk_fma_f16 v51, v20, v19, v51
	ds_load_b128 v[16:19], v117 offset:592
	v_mul_u32_u24_e32 v63, 0x10001, v63
	v_mul_u32_u24_e32 v130, 0x10001, v130
	v_pk_fma_f16 v46, v20, v61, v46
	v_pk_fma_f16 v48, v20, v62, v48
	s_delay_alu instid0(VALU_DEP_4) | instskip(NEXT) | instid1(VALU_DEP_4)
	v_pk_fma_f16 v50, v20, v63, v50
	v_pk_fma_f16 v20, v20, v130, v52
	s_wait_dscnt 0x0
	v_lshrrev_b32_e32 v52, 16, v16
	v_and_b32_e32 v16, 0xffff, v16
	v_lshrrev_b32_e32 v53, 16, v17
	v_lshrrev_b32_e32 v54, 16, v18
	;; [unrolled: 1-line block ×3, first 2 shown]
	v_mul_u32_u24_e32 v52, 0x10001, v52
	v_mul_u32_u24_e32 v56, 0x10001, v16
	v_and_b32_e32 v16, 0xffff, v17
	v_mul_u32_u24_e32 v53, 0x10001, v53
	v_mul_u32_u24_e32 v54, 0x10001, v54
	;; [unrolled: 1-line block ×3, first 2 shown]
	v_pk_fma_f16 v39, v21, v56, v39
	v_mul_u32_u24_e32 v57, 0x10001, v16
	v_and_b32_e32 v16, 0xffff, v18
	v_pk_fma_f16 v40, v21, v52, v40
	v_pk_fma_f16 v42, v21, v53, v42
	;; [unrolled: 1-line block ×4, first 2 shown]
	v_mul_u32_u24_e32 v58, 0x10001, v16
	v_and_b32_e32 v16, 0xffff, v19
	v_pk_fma_f16 v44, v21, v55, v44
	s_delay_alu instid0(VALU_DEP_3) | instskip(NEXT) | instid1(VALU_DEP_3)
	v_pk_fma_f16 v22, v21, v58, v22
	v_mul_u32_u24_e32 v59, 0x10001, v16
	ds_load_b128 v[16:19], v117 offset:1616
	v_pk_fma_f16 v23, v21, v59, v23
	s_wait_dscnt 0x0
	v_lshrrev_b32_e32 v60, 16, v16
	v_lshrrev_b32_e32 v61, 16, v17
	;; [unrolled: 1-line block ×4, first 2 shown]
	v_and_b32_e32 v16, 0xffff, v16
	v_and_b32_e32 v17, 0xffff, v17
	;; [unrolled: 1-line block ×4, first 2 shown]
	v_mul_u32_u24_e32 v60, 0x10001, v60
	v_mul_u32_u24_e32 v16, 0x10001, v16
	;; [unrolled: 1-line block ×8, first 2 shown]
	v_pk_fma_f16 v45, v21, v16, v45
	v_pk_fma_f16 v46, v21, v60, v46
	;; [unrolled: 1-line block ×8, first 2 shown]
	ds_load_2addr_b32 v[20:21], v126 offset0:192 offset1:224
	ds_load_b128 v[16:19], v117 offset:608
	s_wait_dscnt 0x0
	v_lshrrev_b32_e32 v53, 16, v16
	v_and_b32_e32 v16, 0xffff, v16
	v_lshrrev_b32_e32 v54, 16, v17
	v_lshrrev_b32_e32 v55, 16, v18
	;; [unrolled: 1-line block ×3, first 2 shown]
	v_mul_u32_u24_e32 v53, 0x10001, v53
	v_mul_u32_u24_e32 v57, 0x10001, v16
	v_and_b32_e32 v16, 0xffff, v17
	v_mul_u32_u24_e32 v54, 0x10001, v54
	v_mul_u32_u24_e32 v55, 0x10001, v55
	;; [unrolled: 1-line block ×3, first 2 shown]
	v_pk_fma_f16 v39, v20, v57, v39
	v_mul_u32_u24_e32 v58, 0x10001, v16
	v_and_b32_e32 v16, 0xffff, v18
	v_pk_fma_f16 v40, v20, v53, v40
	v_pk_fma_f16 v42, v20, v54, v42
	;; [unrolled: 1-line block ×4, first 2 shown]
	v_mul_u32_u24_e32 v59, 0x10001, v16
	v_and_b32_e32 v16, 0xffff, v19
	v_pk_fma_f16 v44, v20, v56, v44
	s_delay_alu instid0(VALU_DEP_3) | instskip(NEXT) | instid1(VALU_DEP_3)
	v_pk_fma_f16 v22, v20, v59, v22
	v_mul_u32_u24_e32 v60, 0x10001, v16
	ds_load_b128 v[16:19], v117 offset:1632
	v_pk_fma_f16 v23, v20, v60, v23
	s_wait_dscnt 0x0
	v_lshrrev_b32_e32 v61, 16, v16
	v_lshrrev_b32_e32 v62, 16, v17
	;; [unrolled: 1-line block ×4, first 2 shown]
	v_and_b32_e32 v16, 0xffff, v16
	v_and_b32_e32 v17, 0xffff, v17
	v_and_b32_e32 v18, 0xffff, v18
	v_and_b32_e32 v19, 0xffff, v19
	v_mul_u32_u24_e32 v61, 0x10001, v61
	v_mul_u32_u24_e32 v16, 0x10001, v16
	;; [unrolled: 1-line block ×6, first 2 shown]
	v_pk_fma_f16 v45, v20, v16, v45
	v_pk_fma_f16 v47, v20, v17, v47
	;; [unrolled: 1-line block ×4, first 2 shown]
	ds_load_b128 v[16:19], v117 offset:624
	v_mul_u32_u24_e32 v63, 0x10001, v63
	v_mul_u32_u24_e32 v130, 0x10001, v130
	v_pk_fma_f16 v46, v20, v61, v46
	v_pk_fma_f16 v48, v20, v62, v48
	s_delay_alu instid0(VALU_DEP_4) | instskip(NEXT) | instid1(VALU_DEP_4)
	v_pk_fma_f16 v50, v20, v63, v50
	v_pk_fma_f16 v20, v20, v130, v52
	s_wait_dscnt 0x0
	v_lshrrev_b32_e32 v52, 16, v16
	v_and_b32_e32 v16, 0xffff, v16
	v_lshrrev_b32_e32 v53, 16, v17
	v_lshrrev_b32_e32 v54, 16, v18
	;; [unrolled: 1-line block ×3, first 2 shown]
	v_mul_u32_u24_e32 v52, 0x10001, v52
	v_mul_u32_u24_e32 v56, 0x10001, v16
	v_and_b32_e32 v16, 0xffff, v17
	v_mul_u32_u24_e32 v53, 0x10001, v53
	v_mul_u32_u24_e32 v54, 0x10001, v54
	;; [unrolled: 1-line block ×3, first 2 shown]
	v_pk_fma_f16 v39, v21, v56, v39
	v_mul_u32_u24_e32 v57, 0x10001, v16
	v_and_b32_e32 v16, 0xffff, v18
	v_pk_fma_f16 v40, v21, v52, v40
	v_pk_fma_f16 v42, v21, v53, v42
	;; [unrolled: 1-line block ×4, first 2 shown]
	v_mul_u32_u24_e32 v58, 0x10001, v16
	v_and_b32_e32 v16, 0xffff, v19
	v_pk_fma_f16 v44, v21, v55, v44
	s_delay_alu instid0(VALU_DEP_3) | instskip(NEXT) | instid1(VALU_DEP_3)
	v_pk_fma_f16 v22, v21, v58, v22
	v_mul_u32_u24_e32 v59, 0x10001, v16
	ds_load_b128 v[16:19], v117 offset:1648
	v_pk_fma_f16 v23, v21, v59, v23
	s_wait_dscnt 0x0
	v_lshrrev_b32_e32 v60, 16, v16
	v_lshrrev_b32_e32 v61, 16, v17
	;; [unrolled: 1-line block ×4, first 2 shown]
	v_and_b32_e32 v16, 0xffff, v16
	v_and_b32_e32 v17, 0xffff, v17
	;; [unrolled: 1-line block ×4, first 2 shown]
	v_mul_u32_u24_e32 v60, 0x10001, v60
	v_mul_u32_u24_e32 v16, 0x10001, v16
	;; [unrolled: 1-line block ×8, first 2 shown]
	v_pk_fma_f16 v45, v21, v16, v45
	v_pk_fma_f16 v46, v21, v60, v46
	;; [unrolled: 1-line block ×8, first 2 shown]
	ds_load_2addr_b32 v[20:21], v127 offset1:32
	ds_load_b128 v[16:19], v117 offset:640
	s_wait_dscnt 0x0
	v_lshrrev_b32_e32 v53, 16, v16
	v_and_b32_e32 v16, 0xffff, v16
	v_lshrrev_b32_e32 v54, 16, v17
	v_lshrrev_b32_e32 v55, 16, v18
	;; [unrolled: 1-line block ×3, first 2 shown]
	v_mul_u32_u24_e32 v53, 0x10001, v53
	v_mul_u32_u24_e32 v57, 0x10001, v16
	v_and_b32_e32 v16, 0xffff, v17
	v_mul_u32_u24_e32 v54, 0x10001, v54
	v_mul_u32_u24_e32 v55, 0x10001, v55
	;; [unrolled: 1-line block ×3, first 2 shown]
	v_pk_fma_f16 v39, v20, v57, v39
	v_mul_u32_u24_e32 v58, 0x10001, v16
	v_and_b32_e32 v16, 0xffff, v18
	v_pk_fma_f16 v40, v20, v53, v40
	v_pk_fma_f16 v42, v20, v54, v42
	;; [unrolled: 1-line block ×4, first 2 shown]
	v_mul_u32_u24_e32 v59, 0x10001, v16
	v_and_b32_e32 v16, 0xffff, v19
	v_pk_fma_f16 v44, v20, v56, v44
	s_delay_alu instid0(VALU_DEP_3) | instskip(NEXT) | instid1(VALU_DEP_3)
	v_pk_fma_f16 v22, v20, v59, v22
	v_mul_u32_u24_e32 v60, 0x10001, v16
	ds_load_b128 v[16:19], v117 offset:1664
	v_pk_fma_f16 v23, v20, v60, v23
	s_wait_dscnt 0x0
	v_lshrrev_b32_e32 v61, 16, v16
	v_lshrrev_b32_e32 v62, 16, v17
	;; [unrolled: 1-line block ×4, first 2 shown]
	v_and_b32_e32 v16, 0xffff, v16
	v_and_b32_e32 v17, 0xffff, v17
	;; [unrolled: 1-line block ×4, first 2 shown]
	v_mul_u32_u24_e32 v61, 0x10001, v61
	v_mul_u32_u24_e32 v16, 0x10001, v16
	;; [unrolled: 1-line block ×6, first 2 shown]
	v_pk_fma_f16 v45, v20, v16, v45
	v_pk_fma_f16 v47, v20, v17, v47
	;; [unrolled: 1-line block ×4, first 2 shown]
	ds_load_b128 v[16:19], v117 offset:656
	v_mul_u32_u24_e32 v63, 0x10001, v63
	v_mul_u32_u24_e32 v130, 0x10001, v130
	v_pk_fma_f16 v46, v20, v61, v46
	v_pk_fma_f16 v48, v20, v62, v48
	s_delay_alu instid0(VALU_DEP_4) | instskip(NEXT) | instid1(VALU_DEP_4)
	v_pk_fma_f16 v50, v20, v63, v50
	v_pk_fma_f16 v20, v20, v130, v52
	s_wait_dscnt 0x0
	v_lshrrev_b32_e32 v52, 16, v16
	v_and_b32_e32 v16, 0xffff, v16
	v_lshrrev_b32_e32 v53, 16, v17
	v_lshrrev_b32_e32 v54, 16, v18
	;; [unrolled: 1-line block ×3, first 2 shown]
	v_mul_u32_u24_e32 v52, 0x10001, v52
	v_mul_u32_u24_e32 v56, 0x10001, v16
	v_and_b32_e32 v16, 0xffff, v17
	v_mul_u32_u24_e32 v53, 0x10001, v53
	v_mul_u32_u24_e32 v54, 0x10001, v54
	;; [unrolled: 1-line block ×3, first 2 shown]
	v_pk_fma_f16 v39, v21, v56, v39
	v_mul_u32_u24_e32 v57, 0x10001, v16
	v_and_b32_e32 v16, 0xffff, v18
	v_pk_fma_f16 v40, v21, v52, v40
	v_pk_fma_f16 v42, v21, v53, v42
	;; [unrolled: 1-line block ×4, first 2 shown]
	v_mul_u32_u24_e32 v58, 0x10001, v16
	v_and_b32_e32 v16, 0xffff, v19
	v_pk_fma_f16 v44, v21, v55, v44
	s_delay_alu instid0(VALU_DEP_3) | instskip(NEXT) | instid1(VALU_DEP_3)
	v_pk_fma_f16 v22, v21, v58, v22
	v_mul_u32_u24_e32 v59, 0x10001, v16
	ds_load_b128 v[16:19], v117 offset:1680
	v_pk_fma_f16 v23, v21, v59, v23
	s_wait_dscnt 0x0
	v_lshrrev_b32_e32 v60, 16, v16
	v_lshrrev_b32_e32 v61, 16, v17
	;; [unrolled: 1-line block ×4, first 2 shown]
	v_and_b32_e32 v16, 0xffff, v16
	v_and_b32_e32 v17, 0xffff, v17
	;; [unrolled: 1-line block ×4, first 2 shown]
	v_mul_u32_u24_e32 v60, 0x10001, v60
	v_mul_u32_u24_e32 v16, 0x10001, v16
	v_mul_u32_u24_e32 v17, 0x10001, v17
	v_mul_u32_u24_e32 v61, 0x10001, v61
	v_mul_u32_u24_e32 v18, 0x10001, v18
	v_mul_u32_u24_e32 v62, 0x10001, v62
	v_mul_u32_u24_e32 v19, 0x10001, v19
	v_mul_u32_u24_e32 v63, 0x10001, v63
	v_pk_fma_f16 v45, v21, v16, v45
	v_pk_fma_f16 v46, v21, v60, v46
	;; [unrolled: 1-line block ×8, first 2 shown]
	ds_load_2addr_b32 v[20:21], v127 offset0:64 offset1:96
	ds_load_b128 v[16:19], v117 offset:672
	s_wait_dscnt 0x0
	v_lshrrev_b32_e32 v53, 16, v16
	v_and_b32_e32 v16, 0xffff, v16
	v_lshrrev_b32_e32 v54, 16, v17
	v_lshrrev_b32_e32 v55, 16, v18
	;; [unrolled: 1-line block ×3, first 2 shown]
	v_mul_u32_u24_e32 v53, 0x10001, v53
	v_mul_u32_u24_e32 v57, 0x10001, v16
	v_and_b32_e32 v16, 0xffff, v17
	v_mul_u32_u24_e32 v54, 0x10001, v54
	v_mul_u32_u24_e32 v55, 0x10001, v55
	;; [unrolled: 1-line block ×3, first 2 shown]
	v_pk_fma_f16 v39, v20, v57, v39
	v_mul_u32_u24_e32 v58, 0x10001, v16
	v_and_b32_e32 v16, 0xffff, v18
	v_pk_fma_f16 v40, v20, v53, v40
	v_pk_fma_f16 v42, v20, v54, v42
	;; [unrolled: 1-line block ×4, first 2 shown]
	v_mul_u32_u24_e32 v59, 0x10001, v16
	v_and_b32_e32 v16, 0xffff, v19
	v_pk_fma_f16 v44, v20, v56, v44
	s_delay_alu instid0(VALU_DEP_3) | instskip(NEXT) | instid1(VALU_DEP_3)
	v_pk_fma_f16 v22, v20, v59, v22
	v_mul_u32_u24_e32 v60, 0x10001, v16
	ds_load_b128 v[16:19], v117 offset:1696
	v_pk_fma_f16 v23, v20, v60, v23
	s_wait_dscnt 0x0
	v_lshrrev_b32_e32 v61, 16, v16
	v_lshrrev_b32_e32 v62, 16, v17
	;; [unrolled: 1-line block ×4, first 2 shown]
	v_and_b32_e32 v16, 0xffff, v16
	v_and_b32_e32 v17, 0xffff, v17
	;; [unrolled: 1-line block ×4, first 2 shown]
	v_mul_u32_u24_e32 v61, 0x10001, v61
	v_mul_u32_u24_e32 v16, 0x10001, v16
	;; [unrolled: 1-line block ×6, first 2 shown]
	v_pk_fma_f16 v45, v20, v16, v45
	v_pk_fma_f16 v47, v20, v17, v47
	;; [unrolled: 1-line block ×4, first 2 shown]
	ds_load_b128 v[16:19], v117 offset:688
	v_mul_u32_u24_e32 v63, 0x10001, v63
	v_mul_u32_u24_e32 v130, 0x10001, v130
	v_pk_fma_f16 v46, v20, v61, v46
	v_pk_fma_f16 v48, v20, v62, v48
	s_delay_alu instid0(VALU_DEP_4) | instskip(NEXT) | instid1(VALU_DEP_4)
	v_pk_fma_f16 v50, v20, v63, v50
	v_pk_fma_f16 v20, v20, v130, v52
	s_wait_dscnt 0x0
	v_lshrrev_b32_e32 v52, 16, v16
	v_and_b32_e32 v16, 0xffff, v16
	v_lshrrev_b32_e32 v53, 16, v17
	v_lshrrev_b32_e32 v54, 16, v18
	v_lshrrev_b32_e32 v55, 16, v19
	v_mul_u32_u24_e32 v52, 0x10001, v52
	v_mul_u32_u24_e32 v56, 0x10001, v16
	v_and_b32_e32 v16, 0xffff, v17
	v_mul_u32_u24_e32 v53, 0x10001, v53
	v_mul_u32_u24_e32 v54, 0x10001, v54
	;; [unrolled: 1-line block ×3, first 2 shown]
	v_pk_fma_f16 v39, v21, v56, v39
	v_mul_u32_u24_e32 v57, 0x10001, v16
	v_and_b32_e32 v16, 0xffff, v18
	v_pk_fma_f16 v40, v21, v52, v40
	v_pk_fma_f16 v42, v21, v53, v42
	v_pk_fma_f16 v43, v21, v54, v43
	v_pk_fma_f16 v41, v21, v57, v41
	v_mul_u32_u24_e32 v58, 0x10001, v16
	v_and_b32_e32 v16, 0xffff, v19
	v_pk_fma_f16 v44, v21, v55, v44
	s_delay_alu instid0(VALU_DEP_3) | instskip(NEXT) | instid1(VALU_DEP_3)
	v_pk_fma_f16 v22, v21, v58, v22
	v_mul_u32_u24_e32 v59, 0x10001, v16
	ds_load_b128 v[16:19], v117 offset:1712
	v_pk_fma_f16 v23, v21, v59, v23
	s_wait_dscnt 0x0
	v_lshrrev_b32_e32 v60, 16, v16
	v_lshrrev_b32_e32 v61, 16, v17
	;; [unrolled: 1-line block ×4, first 2 shown]
	v_and_b32_e32 v16, 0xffff, v16
	v_and_b32_e32 v17, 0xffff, v17
	;; [unrolled: 1-line block ×4, first 2 shown]
	v_mul_u32_u24_e32 v60, 0x10001, v60
	v_mul_u32_u24_e32 v16, 0x10001, v16
	;; [unrolled: 1-line block ×8, first 2 shown]
	v_pk_fma_f16 v45, v21, v16, v45
	v_pk_fma_f16 v46, v21, v60, v46
	;; [unrolled: 1-line block ×8, first 2 shown]
	ds_load_2addr_b32 v[20:21], v127 offset0:128 offset1:160
	ds_load_b128 v[16:19], v117 offset:704
	s_wait_dscnt 0x0
	v_lshrrev_b32_e32 v53, 16, v16
	v_and_b32_e32 v16, 0xffff, v16
	v_lshrrev_b32_e32 v54, 16, v17
	v_lshrrev_b32_e32 v55, 16, v18
	;; [unrolled: 1-line block ×3, first 2 shown]
	v_mul_u32_u24_e32 v53, 0x10001, v53
	v_mul_u32_u24_e32 v57, 0x10001, v16
	v_and_b32_e32 v16, 0xffff, v17
	v_mul_u32_u24_e32 v54, 0x10001, v54
	v_mul_u32_u24_e32 v55, 0x10001, v55
	v_mul_u32_u24_e32 v56, 0x10001, v56
	v_pk_fma_f16 v39, v20, v57, v39
	v_mul_u32_u24_e32 v58, 0x10001, v16
	v_and_b32_e32 v16, 0xffff, v18
	v_pk_fma_f16 v40, v20, v53, v40
	v_pk_fma_f16 v42, v20, v54, v42
	;; [unrolled: 1-line block ×4, first 2 shown]
	v_mul_u32_u24_e32 v59, 0x10001, v16
	v_and_b32_e32 v16, 0xffff, v19
	v_pk_fma_f16 v44, v20, v56, v44
	s_delay_alu instid0(VALU_DEP_3) | instskip(NEXT) | instid1(VALU_DEP_3)
	v_pk_fma_f16 v22, v20, v59, v22
	v_mul_u32_u24_e32 v60, 0x10001, v16
	ds_load_b128 v[16:19], v117 offset:1728
	v_pk_fma_f16 v23, v20, v60, v23
	s_wait_dscnt 0x0
	v_lshrrev_b32_e32 v61, 16, v16
	v_lshrrev_b32_e32 v62, 16, v17
	;; [unrolled: 1-line block ×4, first 2 shown]
	v_and_b32_e32 v16, 0xffff, v16
	v_and_b32_e32 v17, 0xffff, v17
	;; [unrolled: 1-line block ×4, first 2 shown]
	v_mul_u32_u24_e32 v61, 0x10001, v61
	v_mul_u32_u24_e32 v16, 0x10001, v16
	;; [unrolled: 1-line block ×6, first 2 shown]
	v_pk_fma_f16 v45, v20, v16, v45
	v_pk_fma_f16 v47, v20, v17, v47
	;; [unrolled: 1-line block ×4, first 2 shown]
	ds_load_b128 v[16:19], v117 offset:720
	v_mul_u32_u24_e32 v63, 0x10001, v63
	v_mul_u32_u24_e32 v130, 0x10001, v130
	v_pk_fma_f16 v46, v20, v61, v46
	v_pk_fma_f16 v48, v20, v62, v48
	s_delay_alu instid0(VALU_DEP_4) | instskip(NEXT) | instid1(VALU_DEP_4)
	v_pk_fma_f16 v50, v20, v63, v50
	v_pk_fma_f16 v20, v20, v130, v52
	s_wait_dscnt 0x0
	v_lshrrev_b32_e32 v52, 16, v16
	v_and_b32_e32 v16, 0xffff, v16
	v_lshrrev_b32_e32 v53, 16, v17
	v_lshrrev_b32_e32 v54, 16, v18
	v_lshrrev_b32_e32 v55, 16, v19
	v_mul_u32_u24_e32 v52, 0x10001, v52
	v_mul_u32_u24_e32 v56, 0x10001, v16
	v_and_b32_e32 v16, 0xffff, v17
	v_mul_u32_u24_e32 v53, 0x10001, v53
	v_mul_u32_u24_e32 v54, 0x10001, v54
	v_pk_fma_f16 v40, v21, v52, v40
	v_mul_u32_u24_e32 v55, 0x10001, v55
	v_mul_u32_u24_e32 v57, 0x10001, v16
	v_and_b32_e32 v16, 0xffff, v18
	v_pk_fma_f16 v42, v21, v53, v42
	v_pk_fma_f16 v39, v21, v56, v39
	;; [unrolled: 1-line block ×4, first 2 shown]
	v_mul_u32_u24_e32 v58, 0x10001, v16
	v_and_b32_e32 v16, 0xffff, v19
	v_pk_fma_f16 v44, v21, v55, v44
	s_delay_alu instid0(VALU_DEP_3) | instskip(NEXT) | instid1(VALU_DEP_3)
	v_pk_fma_f16 v22, v21, v58, v22
	v_mul_u32_u24_e32 v59, 0x10001, v16
	ds_load_b128 v[16:19], v117 offset:1744
	v_pk_fma_f16 v23, v21, v59, v23
	s_wait_dscnt 0x0
	v_lshrrev_b32_e32 v60, 16, v16
	v_lshrrev_b32_e32 v61, 16, v17
	;; [unrolled: 1-line block ×4, first 2 shown]
	v_and_b32_e32 v16, 0xffff, v16
	v_and_b32_e32 v17, 0xffff, v17
	;; [unrolled: 1-line block ×4, first 2 shown]
	v_mul_u32_u24_e32 v61, 0x10001, v61
	v_mul_u32_u24_e32 v16, 0x10001, v16
	;; [unrolled: 1-line block ×5, first 2 shown]
	v_pk_fma_f16 v53, v21, v61, v48
	v_pk_fma_f16 v45, v21, v16, v45
	v_pk_fma_f16 v52, v21, v17, v47
	v_pk_fma_f16 v49, v21, v18, v49
	v_pk_fma_f16 v51, v21, v19, v51
	ds_load_2addr_b32 v[47:48], v127 offset0:192 offset1:224
	ds_load_b128 v[16:19], v117 offset:736
	v_mul_u32_u24_e32 v60, 0x10001, v60
	v_mul_u32_u24_e32 v62, 0x10001, v62
	;; [unrolled: 1-line block ×3, first 2 shown]
	s_delay_alu instid0(VALU_DEP_3) | instskip(NEXT) | instid1(VALU_DEP_3)
	v_pk_fma_f16 v46, v21, v60, v46
	v_pk_fma_f16 v50, v21, v62, v50
	s_delay_alu instid0(VALU_DEP_3)
	v_pk_fma_f16 v20, v21, v63, v20
	s_wait_dscnt 0x0
	v_lshrrev_b32_e32 v21, 16, v16
	v_and_b32_e32 v16, 0xffff, v16
	v_lshrrev_b32_e32 v54, 16, v17
	v_lshrrev_b32_e32 v55, 16, v18
	;; [unrolled: 1-line block ×3, first 2 shown]
	v_mul_u32_u24_e32 v21, 0x10001, v21
	v_mul_u32_u24_e32 v57, 0x10001, v16
	v_and_b32_e32 v16, 0xffff, v17
	v_mul_u32_u24_e32 v54, 0x10001, v54
	v_mul_u32_u24_e32 v55, 0x10001, v55
	v_mul_u32_u24_e32 v56, 0x10001, v56
	v_pk_fma_f16 v21, v47, v21, v40
	v_mul_u32_u24_e32 v58, 0x10001, v16
	v_and_b32_e32 v16, 0xffff, v18
	v_pk_fma_f16 v39, v47, v57, v39
	v_pk_fma_f16 v44, v47, v56, v44
	s_delay_alu instid0(VALU_DEP_4) | instskip(NEXT) | instid1(VALU_DEP_4)
	v_pk_fma_f16 v40, v47, v58, v41
	v_mul_u32_u24_e32 v59, 0x10001, v16
	v_and_b32_e32 v16, 0xffff, v19
	v_pk_fma_f16 v41, v47, v54, v42
	v_pk_fma_f16 v42, v47, v55, v43
	s_delay_alu instid0(VALU_DEP_4) | instskip(NEXT) | instid1(VALU_DEP_4)
	v_pk_fma_f16 v22, v47, v59, v22
	v_mul_u32_u24_e32 v60, 0x10001, v16
	ds_load_b128 v[16:19], v117 offset:1760
	v_pk_fma_f16 v43, v47, v60, v23
	s_wait_dscnt 0x0
	v_lshrrev_b32_e32 v61, 16, v16
	v_lshrrev_b32_e32 v62, 16, v17
	;; [unrolled: 1-line block ×4, first 2 shown]
	v_and_b32_e32 v16, 0xffff, v16
	v_and_b32_e32 v17, 0xffff, v17
	;; [unrolled: 1-line block ×4, first 2 shown]
	v_mul_u32_u24_e32 v61, 0x10001, v61
	v_mul_u32_u24_e32 v16, 0x10001, v16
	v_mul_u32_u24_e32 v17, 0x10001, v17
	v_mul_u32_u24_e32 v18, 0x10001, v18
	v_mul_u32_u24_e32 v19, 0x10001, v19
	v_mul_u32_u24_e32 v62, 0x10001, v62
	v_pk_fma_f16 v45, v47, v16, v45
	v_pk_fma_f16 v52, v47, v17, v52
	;; [unrolled: 1-line block ×4, first 2 shown]
	ds_load_b128 v[16:19], v117 offset:752
	v_mul_u32_u24_e32 v63, 0x10001, v63
	v_mul_u32_u24_e32 v130, 0x10001, v130
	v_pk_fma_f16 v46, v47, v61, v46
	v_pk_fma_f16 v53, v47, v62, v53
	s_delay_alu instid0(VALU_DEP_4) | instskip(NEXT) | instid1(VALU_DEP_4)
	v_pk_fma_f16 v50, v47, v63, v50
	v_pk_fma_f16 v20, v47, v130, v20
	s_wait_dscnt 0x0
	v_lshrrev_b32_e32 v23, 16, v16
	v_and_b32_e32 v16, 0xffff, v16
	v_lshrrev_b32_e32 v47, 16, v17
	v_lshrrev_b32_e32 v54, 16, v18
	;; [unrolled: 1-line block ×3, first 2 shown]
	v_mul_u32_u24_e32 v23, 0x10001, v23
	v_mul_u32_u24_e32 v56, 0x10001, v16
	v_and_b32_e32 v16, 0xffff, v17
	v_mul_u32_u24_e32 v47, 0x10001, v47
	v_mul_u32_u24_e32 v54, 0x10001, v54
	;; [unrolled: 1-line block ×3, first 2 shown]
	s_delay_alu instid0(VALU_DEP_4) | instskip(SKIP_1) | instid1(VALU_DEP_1)
	v_mul_u32_u24_e32 v57, 0x10001, v16
	v_and_b32_e32 v16, 0xffff, v18
	v_mul_u32_u24_e32 v58, 0x10001, v16
	v_and_b32_e32 v16, 0xffff, v19
	s_delay_alu instid0(VALU_DEP_2) | instskip(NEXT) | instid1(VALU_DEP_2)
	v_pk_fma_f16 v22, v48, v58, v22
	v_mul_u32_u24_e32 v59, 0x10001, v16
	ds_load_b128 v[16:19], v117 offset:1776
	s_wait_dscnt 0x0
	v_lshrrev_b32_e32 v60, 16, v16
	v_and_b32_e32 v16, 0xffff, v16
	v_lshrrev_b32_e32 v61, 16, v17
	v_lshrrev_b32_e32 v62, 16, v18
	;; [unrolled: 1-line block ×3, first 2 shown]
	v_mul_u32_u24_e32 v60, 0x10001, v60
	v_mul_u32_u24_e32 v130, 0x10001, v16
	v_and_b32_e32 v16, 0xffff, v17
	v_mul_u32_u24_e32 v61, 0x10001, v61
	v_mul_u32_u24_e32 v62, 0x10001, v62
	;; [unrolled: 1-line block ×3, first 2 shown]
	v_pk_fma_f16 v17, v48, v23, v21
	v_mul_u32_u24_e32 v131, 0x10001, v16
	v_and_b32_e32 v16, 0xffff, v18
	v_pk_fma_f16 v18, v48, v57, v40
	v_pk_fma_f16 v21, v48, v47, v41
	;; [unrolled: 1-line block ×4, first 2 shown]
	v_mul_u32_u24_e32 v132, 0x10001, v16
	v_and_b32_e32 v16, 0xffff, v19
	v_pk_fma_f16 v41, v48, v130, v45
	v_pk_fma_f16 v42, v48, v60, v46
	v_pk_fma_f16 v44, v48, v61, v53
	v_pk_fma_f16 v45, v48, v132, v49
	v_mul_u32_u24_e32 v19, 0x10001, v16
	v_pk_fma_f16 v16, v48, v56, v39
	v_pk_fma_f16 v39, v48, v59, v43
	;; [unrolled: 1-line block ×6, first 2 shown]
	ds_load_2addr_b32 v[19:20], v128 offset1:32
	ds_load_b128 v[52:55], v117 offset:768
	s_wait_dscnt 0x0
	v_lshrrev_b32_e32 v56, 16, v53
	v_lshrrev_b32_e32 v57, 16, v54
	;; [unrolled: 1-line block ×4, first 2 shown]
	v_and_b32_e32 v49, 0xffff, v52
	v_and_b32_e32 v51, 0xffff, v53
	v_mul_u32_u24_e32 v52, 0x10001, v56
	v_and_b32_e32 v53, 0xffff, v54
	v_mul_u32_u24_e32 v54, 0x10001, v57
	v_mul_u32_u24_e32 v56, 0x10001, v58
	ds_load_b128 v[57:60], v117 offset:1792
	v_and_b32_e32 v55, 0xffff, v55
	v_mul_u32_u24_e32 v49, 0x10001, v49
	v_mul_u32_u24_e32 v50, 0x10001, v50
	;; [unrolled: 1-line block ×5, first 2 shown]
	v_pk_fma_f16 v49, v19, v49, v16
	v_pk_fma_f16 v50, v19, v50, v17
	;; [unrolled: 1-line block ×8, first 2 shown]
	s_wait_dscnt 0x0
	v_lshrrev_b32_e32 v61, 16, v57
	v_lshrrev_b32_e32 v62, 16, v58
	v_lshrrev_b32_e32 v63, 16, v59
	v_lshrrev_b32_e32 v130, 16, v60
	v_and_b32_e32 v57, 0xffff, v57
	v_and_b32_e32 v58, 0xffff, v58
	v_and_b32_e32 v59, 0xffff, v59
	v_and_b32_e32 v60, 0xffff, v60
	v_mul_u32_u24_e32 v61, 0x10001, v61
	v_mul_u32_u24_e32 v57, 0x10001, v57
	;; [unrolled: 1-line block ×8, first 2 shown]
	v_pk_fma_f16 v41, v19, v57, v41
	v_pk_fma_f16 v42, v19, v61, v42
	;; [unrolled: 1-line block ×8, first 2 shown]
	ds_load_b128 v[16:19], v117 offset:784
	s_wait_dscnt 0x0
	v_lshrrev_b32_e32 v53, 16, v16
	v_and_b32_e32 v16, 0xffff, v16
	v_lshrrev_b32_e32 v55, 16, v17
	v_lshrrev_b32_e32 v57, 16, v18
	;; [unrolled: 1-line block ×3, first 2 shown]
	v_mul_u32_u24_e32 v53, 0x10001, v53
	v_mul_u32_u24_e32 v52, 0x10001, v16
	v_and_b32_e32 v16, 0xffff, v17
	v_mul_u32_u24_e32 v55, 0x10001, v55
	v_mul_u32_u24_e32 v57, 0x10001, v57
	;; [unrolled: 1-line block ×3, first 2 shown]
	v_pk_fma_f16 v49, v20, v52, v49
	v_mul_u32_u24_e32 v54, 0x10001, v16
	v_and_b32_e32 v16, 0xffff, v18
	v_pk_fma_f16 v50, v20, v53, v50
	v_pk_fma_f16 v52, v20, v55, v21
	;; [unrolled: 1-line block ×4, first 2 shown]
	v_mul_u32_u24_e32 v56, 0x10001, v16
	v_and_b32_e32 v16, 0xffff, v19
	v_pk_fma_f16 v40, v20, v59, v40
	s_delay_alu instid0(VALU_DEP_3) | instskip(NEXT) | instid1(VALU_DEP_3)
	v_pk_fma_f16 v22, v20, v56, v22
	v_mul_u32_u24_e32 v58, 0x10001, v16
	ds_load_b128 v[16:19], v117 offset:1808
	v_pk_fma_f16 v39, v20, v58, v39
	s_wait_dscnt 0x0
	v_lshrrev_b32_e32 v60, 16, v16
	v_lshrrev_b32_e32 v61, 16, v17
	;; [unrolled: 1-line block ×4, first 2 shown]
	v_and_b32_e32 v16, 0xffff, v16
	v_and_b32_e32 v17, 0xffff, v17
	v_and_b32_e32 v18, 0xffff, v18
	v_and_b32_e32 v19, 0xffff, v19
	v_mul_u32_u24_e32 v60, 0x10001, v60
	v_mul_u32_u24_e32 v16, 0x10001, v16
	;; [unrolled: 1-line block ×8, first 2 shown]
	v_pk_fma_f16 v41, v20, v16, v41
	v_pk_fma_f16 v42, v20, v60, v42
	;; [unrolled: 1-line block ×8, first 2 shown]
	ds_load_2addr_b32 v[20:21], v128 offset0:64 offset1:96
	ds_load_b128 v[16:19], v117 offset:800
	s_wait_dscnt 0x0
	v_lshrrev_b32_e32 v53, 16, v16
	v_and_b32_e32 v16, 0xffff, v16
	v_lshrrev_b32_e32 v54, 16, v17
	v_lshrrev_b32_e32 v55, 16, v18
	;; [unrolled: 1-line block ×3, first 2 shown]
	v_mul_u32_u24_e32 v53, 0x10001, v53
	v_mul_u32_u24_e32 v57, 0x10001, v16
	v_and_b32_e32 v16, 0xffff, v17
	v_mul_u32_u24_e32 v54, 0x10001, v54
	v_mul_u32_u24_e32 v55, 0x10001, v55
	;; [unrolled: 1-line block ×3, first 2 shown]
	v_pk_fma_f16 v49, v20, v57, v49
	v_mul_u32_u24_e32 v58, 0x10001, v16
	v_and_b32_e32 v16, 0xffff, v18
	v_pk_fma_f16 v50, v20, v53, v50
	v_pk_fma_f16 v52, v20, v54, v52
	;; [unrolled: 1-line block ×4, first 2 shown]
	v_mul_u32_u24_e32 v59, 0x10001, v16
	v_and_b32_e32 v16, 0xffff, v19
	v_pk_fma_f16 v40, v20, v56, v40
	s_delay_alu instid0(VALU_DEP_3) | instskip(NEXT) | instid1(VALU_DEP_3)
	v_pk_fma_f16 v22, v20, v59, v22
	v_mul_u32_u24_e32 v60, 0x10001, v16
	ds_load_b128 v[16:19], v117 offset:1824
	v_pk_fma_f16 v39, v20, v60, v39
	s_wait_dscnt 0x0
	v_lshrrev_b32_e32 v61, 16, v16
	v_lshrrev_b32_e32 v62, 16, v17
	;; [unrolled: 1-line block ×4, first 2 shown]
	v_and_b32_e32 v16, 0xffff, v16
	v_and_b32_e32 v17, 0xffff, v17
	;; [unrolled: 1-line block ×4, first 2 shown]
	v_mul_u32_u24_e32 v61, 0x10001, v61
	v_mul_u32_u24_e32 v16, 0x10001, v16
	;; [unrolled: 1-line block ×6, first 2 shown]
	v_pk_fma_f16 v41, v20, v16, v41
	v_pk_fma_f16 v43, v20, v17, v43
	;; [unrolled: 1-line block ×4, first 2 shown]
	ds_load_b128 v[16:19], v117 offset:816
	v_mul_u32_u24_e32 v63, 0x10001, v63
	v_mul_u32_u24_e32 v130, 0x10001, v130
	v_pk_fma_f16 v42, v20, v61, v42
	v_pk_fma_f16 v44, v20, v62, v44
	s_delay_alu instid0(VALU_DEP_4) | instskip(NEXT) | instid1(VALU_DEP_4)
	v_pk_fma_f16 v46, v20, v63, v46
	v_pk_fma_f16 v20, v20, v130, v48
	s_wait_dscnt 0x0
	v_lshrrev_b32_e32 v48, 16, v16
	v_and_b32_e32 v16, 0xffff, v16
	v_lshrrev_b32_e32 v53, 16, v17
	v_lshrrev_b32_e32 v54, 16, v18
	;; [unrolled: 1-line block ×3, first 2 shown]
	v_mul_u32_u24_e32 v48, 0x10001, v48
	v_mul_u32_u24_e32 v56, 0x10001, v16
	v_and_b32_e32 v16, 0xffff, v17
	v_mul_u32_u24_e32 v53, 0x10001, v53
	v_mul_u32_u24_e32 v54, 0x10001, v54
	;; [unrolled: 1-line block ×3, first 2 shown]
	v_pk_fma_f16 v49, v21, v56, v49
	v_mul_u32_u24_e32 v57, 0x10001, v16
	v_and_b32_e32 v16, 0xffff, v18
	v_pk_fma_f16 v48, v21, v48, v50
	v_pk_fma_f16 v23, v21, v54, v23
	;; [unrolled: 1-line block ×4, first 2 shown]
	v_mul_u32_u24_e32 v58, 0x10001, v16
	v_and_b32_e32 v16, 0xffff, v19
	v_pk_fma_f16 v51, v21, v53, v52
	s_delay_alu instid0(VALU_DEP_3) | instskip(NEXT) | instid1(VALU_DEP_3)
	v_pk_fma_f16 v22, v21, v58, v22
	v_mul_u32_u24_e32 v59, 0x10001, v16
	ds_load_b128 v[16:19], v117 offset:1840
	v_pk_fma_f16 v39, v21, v59, v39
	s_wait_dscnt 0x0
	v_lshrrev_b32_e32 v60, 16, v16
	v_lshrrev_b32_e32 v61, 16, v17
	;; [unrolled: 1-line block ×4, first 2 shown]
	v_and_b32_e32 v16, 0xffff, v16
	v_and_b32_e32 v17, 0xffff, v17
	;; [unrolled: 1-line block ×4, first 2 shown]
	v_mul_u32_u24_e32 v60, 0x10001, v60
	v_mul_u32_u24_e32 v16, 0x10001, v16
	;; [unrolled: 1-line block ×8, first 2 shown]
	v_pk_fma_f16 v41, v21, v16, v41
	v_pk_fma_f16 v42, v21, v60, v42
	;; [unrolled: 1-line block ×8, first 2 shown]
	ds_load_2addr_b32 v[20:21], v128 offset0:128 offset1:160
	ds_load_b128 v[16:19], v117 offset:832
	s_wait_dscnt 0x0
	v_lshrrev_b32_e32 v53, 16, v16
	v_and_b32_e32 v16, 0xffff, v16
	v_lshrrev_b32_e32 v54, 16, v17
	v_lshrrev_b32_e32 v55, 16, v18
	;; [unrolled: 1-line block ×3, first 2 shown]
	v_mul_u32_u24_e32 v53, 0x10001, v53
	v_mul_u32_u24_e32 v57, 0x10001, v16
	v_and_b32_e32 v16, 0xffff, v17
	v_mul_u32_u24_e32 v54, 0x10001, v54
	v_mul_u32_u24_e32 v55, 0x10001, v55
	v_mul_u32_u24_e32 v56, 0x10001, v56
	v_pk_fma_f16 v49, v20, v57, v49
	v_mul_u32_u24_e32 v58, 0x10001, v16
	v_and_b32_e32 v16, 0xffff, v18
	v_pk_fma_f16 v48, v20, v53, v48
	v_pk_fma_f16 v51, v20, v54, v51
	;; [unrolled: 1-line block ×4, first 2 shown]
	v_mul_u32_u24_e32 v59, 0x10001, v16
	v_and_b32_e32 v16, 0xffff, v19
	v_pk_fma_f16 v40, v20, v56, v40
	s_delay_alu instid0(VALU_DEP_3) | instskip(NEXT) | instid1(VALU_DEP_3)
	v_pk_fma_f16 v22, v20, v59, v22
	v_mul_u32_u24_e32 v60, 0x10001, v16
	ds_load_b128 v[16:19], v117 offset:1856
	v_pk_fma_f16 v39, v20, v60, v39
	s_wait_dscnt 0x0
	v_lshrrev_b32_e32 v61, 16, v16
	v_lshrrev_b32_e32 v62, 16, v17
	;; [unrolled: 1-line block ×4, first 2 shown]
	v_and_b32_e32 v16, 0xffff, v16
	v_and_b32_e32 v17, 0xffff, v17
	;; [unrolled: 1-line block ×4, first 2 shown]
	v_mul_u32_u24_e32 v61, 0x10001, v61
	v_mul_u32_u24_e32 v16, 0x10001, v16
	v_mul_u32_u24_e32 v17, 0x10001, v17
	v_mul_u32_u24_e32 v18, 0x10001, v18
	v_mul_u32_u24_e32 v19, 0x10001, v19
	v_mul_u32_u24_e32 v62, 0x10001, v62
	v_pk_fma_f16 v41, v20, v16, v41
	v_pk_fma_f16 v43, v20, v17, v43
	;; [unrolled: 1-line block ×4, first 2 shown]
	ds_load_b128 v[16:19], v117 offset:848
	v_mul_u32_u24_e32 v63, 0x10001, v63
	v_mul_u32_u24_e32 v130, 0x10001, v130
	v_pk_fma_f16 v42, v20, v61, v42
	v_pk_fma_f16 v44, v20, v62, v44
	s_delay_alu instid0(VALU_DEP_4) | instskip(NEXT) | instid1(VALU_DEP_4)
	v_pk_fma_f16 v46, v20, v63, v46
	v_pk_fma_f16 v20, v20, v130, v52
	s_wait_dscnt 0x0
	v_lshrrev_b32_e32 v52, 16, v16
	v_and_b32_e32 v16, 0xffff, v16
	v_lshrrev_b32_e32 v53, 16, v17
	v_lshrrev_b32_e32 v54, 16, v18
	;; [unrolled: 1-line block ×3, first 2 shown]
	v_mul_u32_u24_e32 v52, 0x10001, v52
	v_mul_u32_u24_e32 v56, 0x10001, v16
	v_and_b32_e32 v16, 0xffff, v17
	v_mul_u32_u24_e32 v53, 0x10001, v53
	v_mul_u32_u24_e32 v54, 0x10001, v54
	;; [unrolled: 1-line block ×3, first 2 shown]
	v_pk_fma_f16 v49, v21, v56, v49
	v_mul_u32_u24_e32 v57, 0x10001, v16
	v_and_b32_e32 v16, 0xffff, v18
	v_pk_fma_f16 v48, v21, v52, v48
	v_pk_fma_f16 v51, v21, v53, v51
	;; [unrolled: 1-line block ×4, first 2 shown]
	v_mul_u32_u24_e32 v58, 0x10001, v16
	v_and_b32_e32 v16, 0xffff, v19
	v_pk_fma_f16 v40, v21, v55, v40
	s_delay_alu instid0(VALU_DEP_3) | instskip(NEXT) | instid1(VALU_DEP_3)
	v_pk_fma_f16 v22, v21, v58, v22
	v_mul_u32_u24_e32 v59, 0x10001, v16
	ds_load_b128 v[16:19], v117 offset:1872
	v_pk_fma_f16 v39, v21, v59, v39
	s_wait_dscnt 0x0
	v_lshrrev_b32_e32 v60, 16, v16
	v_lshrrev_b32_e32 v61, 16, v17
	;; [unrolled: 1-line block ×4, first 2 shown]
	v_and_b32_e32 v16, 0xffff, v16
	v_and_b32_e32 v17, 0xffff, v17
	v_and_b32_e32 v18, 0xffff, v18
	v_and_b32_e32 v19, 0xffff, v19
	v_mul_u32_u24_e32 v60, 0x10001, v60
	v_mul_u32_u24_e32 v16, 0x10001, v16
	;; [unrolled: 1-line block ×8, first 2 shown]
	v_pk_fma_f16 v41, v21, v16, v41
	v_pk_fma_f16 v42, v21, v60, v42
	;; [unrolled: 1-line block ×8, first 2 shown]
	ds_load_2addr_b32 v[20:21], v128 offset0:192 offset1:224
	ds_load_b128 v[16:19], v117 offset:864
	s_wait_dscnt 0x0
	v_lshrrev_b32_e32 v53, 16, v16
	v_and_b32_e32 v16, 0xffff, v16
	v_lshrrev_b32_e32 v54, 16, v17
	v_lshrrev_b32_e32 v55, 16, v18
	;; [unrolled: 1-line block ×3, first 2 shown]
	v_mul_u32_u24_e32 v53, 0x10001, v53
	v_mul_u32_u24_e32 v57, 0x10001, v16
	v_and_b32_e32 v16, 0xffff, v17
	v_mul_u32_u24_e32 v54, 0x10001, v54
	v_mul_u32_u24_e32 v55, 0x10001, v55
	v_mul_u32_u24_e32 v56, 0x10001, v56
	v_pk_fma_f16 v49, v20, v57, v49
	v_mul_u32_u24_e32 v58, 0x10001, v16
	v_and_b32_e32 v16, 0xffff, v18
	v_pk_fma_f16 v48, v20, v53, v48
	v_pk_fma_f16 v51, v20, v54, v51
	;; [unrolled: 1-line block ×4, first 2 shown]
	v_mul_u32_u24_e32 v59, 0x10001, v16
	v_and_b32_e32 v16, 0xffff, v19
	v_pk_fma_f16 v40, v20, v56, v40
	s_delay_alu instid0(VALU_DEP_3) | instskip(NEXT) | instid1(VALU_DEP_3)
	v_pk_fma_f16 v22, v20, v59, v22
	v_mul_u32_u24_e32 v60, 0x10001, v16
	ds_load_b128 v[16:19], v117 offset:1888
	v_pk_fma_f16 v39, v20, v60, v39
	s_wait_dscnt 0x0
	v_lshrrev_b32_e32 v61, 16, v16
	v_lshrrev_b32_e32 v62, 16, v17
	;; [unrolled: 1-line block ×4, first 2 shown]
	v_and_b32_e32 v16, 0xffff, v16
	v_and_b32_e32 v17, 0xffff, v17
	;; [unrolled: 1-line block ×4, first 2 shown]
	v_mul_u32_u24_e32 v61, 0x10001, v61
	v_mul_u32_u24_e32 v16, 0x10001, v16
	;; [unrolled: 1-line block ×6, first 2 shown]
	v_pk_fma_f16 v41, v20, v16, v41
	v_pk_fma_f16 v43, v20, v17, v43
	;; [unrolled: 1-line block ×4, first 2 shown]
	ds_load_b128 v[16:19], v117 offset:880
	v_mul_u32_u24_e32 v63, 0x10001, v63
	v_mul_u32_u24_e32 v130, 0x10001, v130
	v_pk_fma_f16 v42, v20, v61, v42
	v_pk_fma_f16 v44, v20, v62, v44
	s_delay_alu instid0(VALU_DEP_4) | instskip(NEXT) | instid1(VALU_DEP_4)
	v_pk_fma_f16 v46, v20, v63, v46
	v_pk_fma_f16 v20, v20, v130, v52
	s_wait_dscnt 0x0
	v_lshrrev_b32_e32 v52, 16, v16
	v_and_b32_e32 v16, 0xffff, v16
	v_lshrrev_b32_e32 v53, 16, v17
	v_lshrrev_b32_e32 v54, 16, v18
	;; [unrolled: 1-line block ×3, first 2 shown]
	v_mul_u32_u24_e32 v52, 0x10001, v52
	v_mul_u32_u24_e32 v56, 0x10001, v16
	v_and_b32_e32 v16, 0xffff, v17
	v_mul_u32_u24_e32 v53, 0x10001, v53
	v_mul_u32_u24_e32 v54, 0x10001, v54
	;; [unrolled: 1-line block ×3, first 2 shown]
	v_pk_fma_f16 v49, v21, v56, v49
	v_mul_u32_u24_e32 v57, 0x10001, v16
	v_and_b32_e32 v16, 0xffff, v18
	v_pk_fma_f16 v48, v21, v52, v48
	v_pk_fma_f16 v51, v21, v53, v51
	;; [unrolled: 1-line block ×4, first 2 shown]
	v_mul_u32_u24_e32 v58, 0x10001, v16
	v_and_b32_e32 v16, 0xffff, v19
	v_pk_fma_f16 v40, v21, v55, v40
	s_delay_alu instid0(VALU_DEP_3) | instskip(NEXT) | instid1(VALU_DEP_3)
	v_pk_fma_f16 v22, v21, v58, v22
	v_mul_u32_u24_e32 v59, 0x10001, v16
	ds_load_b128 v[16:19], v117 offset:1904
	v_pk_fma_f16 v39, v21, v59, v39
	s_wait_dscnt 0x0
	v_lshrrev_b32_e32 v60, 16, v16
	v_lshrrev_b32_e32 v61, 16, v17
	v_lshrrev_b32_e32 v62, 16, v18
	v_lshrrev_b32_e32 v63, 16, v19
	v_and_b32_e32 v16, 0xffff, v16
	v_and_b32_e32 v17, 0xffff, v17
	;; [unrolled: 1-line block ×4, first 2 shown]
	v_mul_u32_u24_e32 v60, 0x10001, v60
	v_mul_u32_u24_e32 v16, 0x10001, v16
	;; [unrolled: 1-line block ×8, first 2 shown]
	v_pk_fma_f16 v41, v21, v16, v41
	v_pk_fma_f16 v42, v21, v60, v42
	v_pk_fma_f16 v43, v21, v17, v43
	v_pk_fma_f16 v44, v21, v61, v44
	v_pk_fma_f16 v45, v21, v18, v45
	v_pk_fma_f16 v46, v21, v62, v46
	v_pk_fma_f16 v47, v21, v19, v47
	v_pk_fma_f16 v52, v21, v63, v20
	ds_load_2addr_b32 v[20:21], v129 offset1:32
	ds_load_b128 v[16:19], v117 offset:896
	s_wait_dscnt 0x0
	v_lshrrev_b32_e32 v53, 16, v16
	v_and_b32_e32 v16, 0xffff, v16
	v_lshrrev_b32_e32 v54, 16, v17
	v_lshrrev_b32_e32 v55, 16, v18
	v_lshrrev_b32_e32 v56, 16, v19
	v_mul_u32_u24_e32 v53, 0x10001, v53
	v_mul_u32_u24_e32 v57, 0x10001, v16
	v_and_b32_e32 v16, 0xffff, v17
	v_mul_u32_u24_e32 v54, 0x10001, v54
	v_mul_u32_u24_e32 v55, 0x10001, v55
	;; [unrolled: 1-line block ×3, first 2 shown]
	v_pk_fma_f16 v49, v20, v57, v49
	v_mul_u32_u24_e32 v58, 0x10001, v16
	v_and_b32_e32 v16, 0xffff, v18
	v_pk_fma_f16 v48, v20, v53, v48
	v_pk_fma_f16 v51, v20, v54, v51
	;; [unrolled: 1-line block ×4, first 2 shown]
	v_mul_u32_u24_e32 v59, 0x10001, v16
	v_and_b32_e32 v16, 0xffff, v19
	v_pk_fma_f16 v40, v20, v56, v40
	s_delay_alu instid0(VALU_DEP_3) | instskip(NEXT) | instid1(VALU_DEP_3)
	v_pk_fma_f16 v22, v20, v59, v22
	v_mul_u32_u24_e32 v60, 0x10001, v16
	ds_load_b128 v[16:19], v117 offset:1920
	v_pk_fma_f16 v39, v20, v60, v39
	s_wait_dscnt 0x0
	v_lshrrev_b32_e32 v61, 16, v16
	v_lshrrev_b32_e32 v62, 16, v17
	;; [unrolled: 1-line block ×4, first 2 shown]
	v_and_b32_e32 v16, 0xffff, v16
	v_and_b32_e32 v17, 0xffff, v17
	;; [unrolled: 1-line block ×4, first 2 shown]
	v_mul_u32_u24_e32 v61, 0x10001, v61
	v_mul_u32_u24_e32 v16, 0x10001, v16
	;; [unrolled: 1-line block ×6, first 2 shown]
	v_pk_fma_f16 v41, v20, v16, v41
	v_pk_fma_f16 v43, v20, v17, v43
	;; [unrolled: 1-line block ×4, first 2 shown]
	ds_load_b128 v[16:19], v117 offset:912
	v_mul_u32_u24_e32 v63, 0x10001, v63
	v_mul_u32_u24_e32 v130, 0x10001, v130
	v_pk_fma_f16 v42, v20, v61, v42
	v_pk_fma_f16 v44, v20, v62, v44
	s_delay_alu instid0(VALU_DEP_4) | instskip(NEXT) | instid1(VALU_DEP_4)
	v_pk_fma_f16 v46, v20, v63, v46
	v_pk_fma_f16 v20, v20, v130, v52
	s_wait_dscnt 0x0
	v_lshrrev_b32_e32 v52, 16, v16
	v_and_b32_e32 v16, 0xffff, v16
	v_lshrrev_b32_e32 v53, 16, v17
	v_lshrrev_b32_e32 v54, 16, v18
	v_lshrrev_b32_e32 v55, 16, v19
	v_mul_u32_u24_e32 v52, 0x10001, v52
	v_mul_u32_u24_e32 v56, 0x10001, v16
	v_and_b32_e32 v16, 0xffff, v17
	v_mul_u32_u24_e32 v53, 0x10001, v53
	v_mul_u32_u24_e32 v54, 0x10001, v54
	;; [unrolled: 1-line block ×3, first 2 shown]
	v_pk_fma_f16 v49, v21, v56, v49
	v_mul_u32_u24_e32 v57, 0x10001, v16
	v_and_b32_e32 v16, 0xffff, v18
	v_pk_fma_f16 v48, v21, v52, v48
	v_pk_fma_f16 v51, v21, v53, v51
	;; [unrolled: 1-line block ×4, first 2 shown]
	v_mul_u32_u24_e32 v58, 0x10001, v16
	v_and_b32_e32 v16, 0xffff, v19
	v_pk_fma_f16 v40, v21, v55, v40
	s_delay_alu instid0(VALU_DEP_3) | instskip(NEXT) | instid1(VALU_DEP_3)
	v_pk_fma_f16 v22, v21, v58, v22
	v_mul_u32_u24_e32 v59, 0x10001, v16
	ds_load_b128 v[16:19], v117 offset:1936
	v_pk_fma_f16 v39, v21, v59, v39
	s_wait_dscnt 0x0
	v_lshrrev_b32_e32 v60, 16, v16
	v_lshrrev_b32_e32 v61, 16, v17
	;; [unrolled: 1-line block ×4, first 2 shown]
	v_and_b32_e32 v16, 0xffff, v16
	v_and_b32_e32 v17, 0xffff, v17
	;; [unrolled: 1-line block ×4, first 2 shown]
	v_mul_u32_u24_e32 v60, 0x10001, v60
	v_mul_u32_u24_e32 v16, 0x10001, v16
	;; [unrolled: 1-line block ×8, first 2 shown]
	v_pk_fma_f16 v41, v21, v16, v41
	v_pk_fma_f16 v42, v21, v60, v42
	;; [unrolled: 1-line block ×8, first 2 shown]
	ds_load_2addr_b32 v[20:21], v129 offset0:64 offset1:96
	ds_load_b128 v[16:19], v117 offset:928
	s_wait_dscnt 0x0
	v_lshrrev_b32_e32 v53, 16, v16
	v_and_b32_e32 v16, 0xffff, v16
	v_lshrrev_b32_e32 v54, 16, v17
	v_lshrrev_b32_e32 v55, 16, v18
	v_lshrrev_b32_e32 v56, 16, v19
	v_mul_u32_u24_e32 v53, 0x10001, v53
	v_mul_u32_u24_e32 v57, 0x10001, v16
	v_and_b32_e32 v16, 0xffff, v17
	v_mul_u32_u24_e32 v54, 0x10001, v54
	v_mul_u32_u24_e32 v55, 0x10001, v55
	;; [unrolled: 1-line block ×3, first 2 shown]
	v_pk_fma_f16 v49, v20, v57, v49
	v_mul_u32_u24_e32 v58, 0x10001, v16
	v_and_b32_e32 v16, 0xffff, v18
	v_pk_fma_f16 v48, v20, v53, v48
	v_pk_fma_f16 v51, v20, v54, v51
	;; [unrolled: 1-line block ×4, first 2 shown]
	v_mul_u32_u24_e32 v59, 0x10001, v16
	v_and_b32_e32 v16, 0xffff, v19
	v_pk_fma_f16 v40, v20, v56, v40
	s_delay_alu instid0(VALU_DEP_3) | instskip(NEXT) | instid1(VALU_DEP_3)
	v_pk_fma_f16 v22, v20, v59, v22
	v_mul_u32_u24_e32 v60, 0x10001, v16
	ds_load_b128 v[16:19], v117 offset:1952
	v_pk_fma_f16 v39, v20, v60, v39
	s_wait_dscnt 0x0
	v_lshrrev_b32_e32 v61, 16, v16
	v_lshrrev_b32_e32 v62, 16, v17
	;; [unrolled: 1-line block ×4, first 2 shown]
	v_and_b32_e32 v16, 0xffff, v16
	v_and_b32_e32 v17, 0xffff, v17
	;; [unrolled: 1-line block ×4, first 2 shown]
	v_mul_u32_u24_e32 v61, 0x10001, v61
	v_mul_u32_u24_e32 v16, 0x10001, v16
	;; [unrolled: 1-line block ×6, first 2 shown]
	v_pk_fma_f16 v41, v20, v16, v41
	v_pk_fma_f16 v43, v20, v17, v43
	v_pk_fma_f16 v45, v20, v18, v45
	v_pk_fma_f16 v47, v20, v19, v47
	ds_load_b128 v[16:19], v117 offset:944
	v_mul_u32_u24_e32 v63, 0x10001, v63
	v_mul_u32_u24_e32 v130, 0x10001, v130
	v_pk_fma_f16 v42, v20, v61, v42
	v_pk_fma_f16 v44, v20, v62, v44
	s_delay_alu instid0(VALU_DEP_4) | instskip(NEXT) | instid1(VALU_DEP_4)
	v_pk_fma_f16 v46, v20, v63, v46
	v_pk_fma_f16 v20, v20, v130, v52
	s_wait_dscnt 0x0
	v_lshrrev_b32_e32 v52, 16, v16
	v_and_b32_e32 v16, 0xffff, v16
	v_lshrrev_b32_e32 v53, 16, v17
	v_lshrrev_b32_e32 v54, 16, v18
	;; [unrolled: 1-line block ×3, first 2 shown]
	v_mul_u32_u24_e32 v52, 0x10001, v52
	v_mul_u32_u24_e32 v56, 0x10001, v16
	v_and_b32_e32 v16, 0xffff, v17
	v_mul_u32_u24_e32 v53, 0x10001, v53
	v_mul_u32_u24_e32 v54, 0x10001, v54
	;; [unrolled: 1-line block ×3, first 2 shown]
	v_pk_fma_f16 v49, v21, v56, v49
	v_mul_u32_u24_e32 v57, 0x10001, v16
	v_and_b32_e32 v16, 0xffff, v18
	v_pk_fma_f16 v48, v21, v52, v48
	v_pk_fma_f16 v51, v21, v53, v51
	;; [unrolled: 1-line block ×4, first 2 shown]
	v_mul_u32_u24_e32 v58, 0x10001, v16
	v_and_b32_e32 v16, 0xffff, v19
	v_pk_fma_f16 v40, v21, v55, v40
	s_delay_alu instid0(VALU_DEP_3) | instskip(NEXT) | instid1(VALU_DEP_3)
	v_pk_fma_f16 v22, v21, v58, v22
	v_mul_u32_u24_e32 v59, 0x10001, v16
	ds_load_b128 v[16:19], v117 offset:1968
	v_pk_fma_f16 v39, v21, v59, v39
	s_wait_dscnt 0x0
	v_lshrrev_b32_e32 v60, 16, v16
	v_lshrrev_b32_e32 v61, 16, v17
	;; [unrolled: 1-line block ×4, first 2 shown]
	v_and_b32_e32 v16, 0xffff, v16
	v_and_b32_e32 v17, 0xffff, v17
	;; [unrolled: 1-line block ×4, first 2 shown]
	v_mul_u32_u24_e32 v60, 0x10001, v60
	v_mul_u32_u24_e32 v16, 0x10001, v16
	;; [unrolled: 1-line block ×8, first 2 shown]
	v_pk_fma_f16 v41, v21, v16, v41
	v_pk_fma_f16 v42, v21, v60, v42
	;; [unrolled: 1-line block ×8, first 2 shown]
	ds_load_2addr_b32 v[20:21], v129 offset0:128 offset1:160
	ds_load_b128 v[16:19], v117 offset:960
	s_wait_dscnt 0x0
	v_lshrrev_b32_e32 v53, 16, v16
	v_and_b32_e32 v16, 0xffff, v16
	v_lshrrev_b32_e32 v54, 16, v17
	v_lshrrev_b32_e32 v55, 16, v18
	;; [unrolled: 1-line block ×3, first 2 shown]
	v_mul_u32_u24_e32 v53, 0x10001, v53
	v_mul_u32_u24_e32 v57, 0x10001, v16
	v_and_b32_e32 v16, 0xffff, v17
	v_mul_u32_u24_e32 v54, 0x10001, v54
	v_mul_u32_u24_e32 v55, 0x10001, v55
	;; [unrolled: 1-line block ×3, first 2 shown]
	v_pk_fma_f16 v49, v20, v57, v49
	v_mul_u32_u24_e32 v58, 0x10001, v16
	v_and_b32_e32 v16, 0xffff, v18
	v_pk_fma_f16 v48, v20, v53, v48
	v_pk_fma_f16 v51, v20, v54, v51
	;; [unrolled: 1-line block ×4, first 2 shown]
	v_mul_u32_u24_e32 v59, 0x10001, v16
	v_and_b32_e32 v16, 0xffff, v19
	v_pk_fma_f16 v40, v20, v56, v40
	s_delay_alu instid0(VALU_DEP_3) | instskip(NEXT) | instid1(VALU_DEP_3)
	v_pk_fma_f16 v22, v20, v59, v22
	v_mul_u32_u24_e32 v60, 0x10001, v16
	ds_load_b128 v[16:19], v117 offset:1984
	v_pk_fma_f16 v39, v20, v60, v39
	s_wait_dscnt 0x0
	v_lshrrev_b32_e32 v61, 16, v16
	v_lshrrev_b32_e32 v62, 16, v17
	;; [unrolled: 1-line block ×4, first 2 shown]
	v_and_b32_e32 v16, 0xffff, v16
	v_and_b32_e32 v17, 0xffff, v17
	;; [unrolled: 1-line block ×4, first 2 shown]
	v_mul_u32_u24_e32 v61, 0x10001, v61
	v_mul_u32_u24_e32 v16, 0x10001, v16
	;; [unrolled: 1-line block ×6, first 2 shown]
	v_pk_fma_f16 v41, v20, v16, v41
	v_pk_fma_f16 v43, v20, v17, v43
	;; [unrolled: 1-line block ×4, first 2 shown]
	ds_load_b128 v[16:19], v117 offset:976
	v_mul_u32_u24_e32 v63, 0x10001, v63
	v_mul_u32_u24_e32 v130, 0x10001, v130
	v_pk_fma_f16 v42, v20, v61, v42
	v_pk_fma_f16 v44, v20, v62, v44
	s_delay_alu instid0(VALU_DEP_4) | instskip(NEXT) | instid1(VALU_DEP_4)
	v_pk_fma_f16 v46, v20, v63, v46
	v_pk_fma_f16 v20, v20, v130, v52
	s_wait_dscnt 0x0
	v_lshrrev_b32_e32 v52, 16, v16
	v_and_b32_e32 v16, 0xffff, v16
	v_lshrrev_b32_e32 v53, 16, v17
	v_lshrrev_b32_e32 v54, 16, v18
	;; [unrolled: 1-line block ×3, first 2 shown]
	v_mul_u32_u24_e32 v52, 0x10001, v52
	v_mul_u32_u24_e32 v56, 0x10001, v16
	v_and_b32_e32 v16, 0xffff, v17
	v_mul_u32_u24_e32 v53, 0x10001, v53
	v_mul_u32_u24_e32 v54, 0x10001, v54
	;; [unrolled: 1-line block ×3, first 2 shown]
	v_pk_fma_f16 v49, v21, v56, v49
	v_mul_u32_u24_e32 v57, 0x10001, v16
	v_and_b32_e32 v16, 0xffff, v18
	v_pk_fma_f16 v48, v21, v52, v48
	v_pk_fma_f16 v51, v21, v53, v51
	;; [unrolled: 1-line block ×4, first 2 shown]
	v_mul_u32_u24_e32 v58, 0x10001, v16
	v_and_b32_e32 v16, 0xffff, v19
	v_pk_fma_f16 v40, v21, v55, v40
	s_delay_alu instid0(VALU_DEP_3) | instskip(NEXT) | instid1(VALU_DEP_3)
	v_pk_fma_f16 v22, v21, v58, v22
	v_mul_u32_u24_e32 v59, 0x10001, v16
	ds_load_b128 v[16:19], v117 offset:2000
	v_pk_fma_f16 v39, v21, v59, v39
	s_wait_dscnt 0x0
	v_lshrrev_b32_e32 v60, 16, v16
	v_lshrrev_b32_e32 v61, 16, v17
	;; [unrolled: 1-line block ×4, first 2 shown]
	v_and_b32_e32 v16, 0xffff, v16
	v_and_b32_e32 v17, 0xffff, v17
	;; [unrolled: 1-line block ×4, first 2 shown]
	v_mul_u32_u24_e32 v60, 0x10001, v60
	v_mul_u32_u24_e32 v16, 0x10001, v16
	;; [unrolled: 1-line block ×8, first 2 shown]
	v_pk_fma_f16 v52, v21, v16, v41
	v_pk_fma_f16 v53, v21, v60, v42
	;; [unrolled: 1-line block ×8, first 2 shown]
	ds_load_2addr_b32 v[16:17], v129 offset0:192 offset1:224
	ds_load_b128 v[18:21], v117 offset:992
	s_wait_dscnt 0x0
	v_lshrrev_b32_e32 v41, 16, v18
	v_and_b32_e32 v18, 0xffff, v18
	v_lshrrev_b32_e32 v42, 16, v19
	v_lshrrev_b32_e32 v43, 16, v20
	;; [unrolled: 1-line block ×3, first 2 shown]
	v_mul_u32_u24_e32 v41, 0x10001, v41
	v_mul_u32_u24_e32 v45, 0x10001, v18
	v_and_b32_e32 v18, 0xffff, v19
	v_mul_u32_u24_e32 v62, 0x10001, v43
	v_mul_u32_u24_e32 v130, 0x10001, v44
	;; [unrolled: 1-line block ×3, first 2 shown]
	s_delay_alu instid0(VALU_DEP_4) | instskip(SKIP_1) | instid1(VALU_DEP_4)
	v_mul_u32_u24_e32 v60, 0x10001, v18
	v_and_b32_e32 v18, 0xffff, v20
	v_pk_fma_f16 v40, v16, v130, v40
	s_delay_alu instid0(VALU_DEP_2) | instskip(SKIP_1) | instid1(VALU_DEP_1)
	v_mul_u32_u24_e32 v61, 0x10001, v18
	v_and_b32_e32 v18, 0xffff, v21
	v_mul_u32_u24_e32 v63, 0x10001, v18
	ds_load_b128 v[18:21], v117 offset:2016
	s_wait_dscnt 0x0
	v_lshrrev_b32_e32 v43, 16, v18
	v_lshrrev_b32_e32 v44, 16, v19
	v_and_b32_e32 v18, 0xffff, v18
	v_and_b32_e32 v19, 0xffff, v19
	v_lshrrev_b32_e32 v46, 16, v20
	v_lshrrev_b32_e32 v47, 16, v21
	v_mul_u32_u24_e32 v131, 0x10001, v43
	v_mul_u32_u24_e32 v18, 0x10001, v18
	;; [unrolled: 1-line block ×3, first 2 shown]
	v_and_b32_e32 v20, 0xffff, v20
	v_and_b32_e32 v21, 0xffff, v21
	v_mul_u32_u24_e32 v132, 0x10001, v44
	v_mul_u32_u24_e32 v133, 0x10001, v46
	;; [unrolled: 1-line block ×5, first 2 shown]
	v_pk_fma_f16 v46, v16, v41, v48
	v_pk_fma_f16 v44, v16, v42, v51
	;; [unrolled: 1-line block ×8, first 2 shown]
	ds_load_b128 v[51:54], v117 offset:1008
	v_pk_fma_f16 v47, v16, v45, v49
	v_pk_fma_f16 v45, v16, v60, v50
	;; [unrolled: 1-line block ×7, first 2 shown]
	ds_load_b128 v[59:62], v117 offset:2032
	s_wait_loadcnt_dscnt 0x0
	s_barrier_signal -1
	s_barrier_wait -1
	global_inv scope:SCOPE_SE
	s_load_b32 s3, s[20:21], 0x4
	v_lshrrev_b32_e32 v48, 16, v51
	v_lshrrev_b32_e32 v50, 16, v52
	;; [unrolled: 1-line block ×4, first 2 shown]
	v_and_b32_e32 v49, 0xffff, v51
	v_and_b32_e32 v51, 0xffff, v52
	;; [unrolled: 1-line block ×4, first 2 shown]
	v_lshrrev_b32_e32 v58, 16, v60
	v_lshrrev_b32_e32 v63, 16, v61
	;; [unrolled: 1-line block ×3, first 2 shown]
	v_mul_u32_u24_e32 v53, 0x10001, v52
	v_mul_u32_u24_e32 v52, 0x10001, v55
	;; [unrolled: 1-line block ×4, first 2 shown]
	v_lshrrev_b32_e32 v56, 16, v59
	v_and_b32_e32 v57, 0xffff, v59
	v_and_b32_e32 v59, 0xffff, v60
	;; [unrolled: 1-line block ×4, first 2 shown]
	v_mul_u32_u24_e32 v49, 0x10001, v49
	v_mul_u32_u24_e32 v48, 0x10001, v48
	;; [unrolled: 1-line block ×12, first 2 shown]
	s_wait_kmcnt 0x0
	s_lshl_b32 s3, s3, 6
	v_pk_fma_f16 v145, v17, v49, v47
	v_pk_fma_f16 v144, v17, v48, v46
	;; [unrolled: 1-line block ×16, first 2 shown]
	s_wait_alu 0xfffe
	s_add_co_i32 s10, s3, s10
	s_wait_alu 0xfffe
	s_cmp_ge_i32 s10, s30
	s_cbranch_scc0 .LBB0_9
; %bb.10:
	v_dual_mov_b32 v16, v99 :: v_dual_lshlrev_b32 v61, 1, v96
.LBB0_11:
	v_cmp_lt_i32_e32 vcc_lo, v105, v101
	s_cmp_lg_u64 s[12:13], 0
	s_cselect_b32 s3, -1, 0
	s_cmp_eq_u32 s4, 0
	s_wait_alu 0xfffd
	v_cndmask_b32_e32 v17, v16, v105, vcc_lo
	v_cmp_lt_i32_e32 vcc_lo, v106, v101
	s_cselect_b32 s5, -1, 0
	s_wait_alu 0xfffe
	s_and_b32 s3, s5, s3
	s_wait_alu 0xfffd
	v_cndmask_b32_e32 v18, v16, v106, vcc_lo
	v_cmp_lt_i32_e32 vcc_lo, v103, v101
	s_delay_alu instid0(VALU_DEP_2)
	v_lshlrev_b32_e32 v18, 2, v18
	v_lshlrev_b32_e32 v17, 2, v17
	s_wait_alu 0xfffd
	v_cndmask_b32_e32 v19, v16, v103, vcc_lo
	v_cmp_lt_i32_e32 vcc_lo, v104, v101
	ds_bpermute_b32 v22, v17, v25
	ds_bpermute_b32 v21, v17, v24
	;; [unrolled: 1-line block ×5, first 2 shown]
	s_wait_alu 0xfffd
	v_cndmask_b32_e32 v20, v16, v104, vcc_lo
	v_cmp_lt_i32_e32 vcc_lo, v102, v101
	ds_bpermute_b32 v40, v17, v28
	ds_bpermute_b32 v43, v17, v31
	;; [unrolled: 1-line block ×4, first 2 shown]
	s_wait_alu 0xfffd
	v_cndmask_b32_e32 v16, v16, v102, vcc_lo
	ds_bpermute_b32 v45, v17, v33
	ds_bpermute_b32 v46, v17, v34
	;; [unrolled: 1-line block ×5, first 2 shown]
	v_lshlrev_b32_e32 v20, 2, v20
	v_lshlrev_b32_e32 v19, 2, v19
	s_wait_alu 0xfffe
	s_and_b32 vcc_lo, exec_lo, s3
	s_wait_dscnt 0xc
	v_dual_add_f32 v22, v25, v22 :: v_dual_add_f32 v21, v24, v21
	s_wait_dscnt 0xb
	v_dual_add_f32 v23, v26, v23 :: v_dual_lshlrev_b32 v16, 2, v16
	s_wait_dscnt 0xa
	v_add_f32_e32 v27, v27, v39
	ds_bpermute_b32 v26, v18, v22
	ds_bpermute_b32 v24, v17, v38
	;; [unrolled: 1-line block ×5, first 2 shown]
	s_wait_dscnt 0xc
	v_dual_add_f32 v30, v30, v42 :: v_dual_add_f32 v31, v31, v43
	s_wait_dscnt 0xb
	v_dual_add_f32 v28, v28, v40 :: v_dual_add_f32 v29, v29, v41
	ds_bpermute_b32 v40, v18, v27
	ds_bpermute_b32 v43, v18, v30
	s_wait_dscnt 0xb
	v_dual_add_f32 v32, v32, v44 :: v_dual_add_f32 v33, v33, v45
	ds_bpermute_b32 v41, v18, v28
	s_wait_dscnt 0xa
	v_dual_add_f32 v34, v34, v46 :: v_dual_add_f32 v35, v35, v47
	s_wait_dscnt 0x9
	v_add_f32_e32 v36, v36, v48
	ds_bpermute_b32 v42, v18, v29
	ds_bpermute_b32 v44, v18, v31
	;; [unrolled: 1-line block ×3, first 2 shown]
	s_wait_dscnt 0xa
	v_dual_add_f32 v22, v22, v26 :: v_dual_add_f32 v37, v37, v49
	s_wait_dscnt 0x7
	v_dual_add_f32 v24, v38, v24 :: v_dual_add_f32 v21, v21, v25
	s_wait_dscnt 0x6
	v_add_f32_e32 v23, v23, v39
	ds_bpermute_b32 v47, v19, v22
	v_add_f32_e32 v17, v100, v17
	ds_bpermute_b32 v46, v18, v33
	ds_bpermute_b32 v25, v18, v34
	;; [unrolled: 1-line block ×5, first 2 shown]
	s_wait_dscnt 0x9
	v_dual_add_f32 v27, v27, v40 :: v_dual_add_f32 v28, v28, v41
	ds_bpermute_b32 v40, v18, v37
	ds_bpermute_b32 v49, v18, v24
	v_add_f32_e32 v30, v30, v43
	ds_bpermute_b32 v18, v18, v17
	ds_bpermute_b32 v41, v19, v27
	;; [unrolled: 1-line block ×3, first 2 shown]
	s_wait_dscnt 0xb
	v_dual_add_f32 v29, v29, v42 :: v_dual_add_f32 v32, v32, v45
	v_add_f32_e32 v31, v31, v44
	ds_bpermute_b32 v42, v19, v30
	s_wait_dscnt 0xa
	v_dual_add_f32 v22, v22, v47 :: v_dual_add_f32 v33, v33, v46
	s_wait_dscnt 0x8
	v_dual_add_f32 v25, v34, v25 :: v_dual_add_f32 v26, v35, v26
	s_wait_dscnt 0x7
	v_add_f32_e32 v21, v21, v39
	ds_bpermute_b32 v34, v19, v28
	ds_bpermute_b32 v35, v19, v29
	;; [unrolled: 1-line block ×3, first 2 shown]
	s_wait_dscnt 0x8
	v_add_f32_e32 v37, v37, v40
	ds_bpermute_b32 v40, v19, v32
	s_wait_dscnt 0x7
	v_dual_add_f32 v36, v36, v48 :: v_dual_add_f32 v17, v17, v18
	ds_bpermute_b32 v18, v19, v31
	s_wait_dscnt 0x7
	v_add_f32_e32 v27, v27, v41
	ds_bpermute_b32 v41, v19, v33
	s_wait_dscnt 0x7
	v_dual_add_f32 v23, v23, v38 :: v_dual_add_f32 v24, v24, v49
	ds_bpermute_b32 v38, v20, v21
	ds_bpermute_b32 v45, v19, v25
	;; [unrolled: 1-line block ×5, first 2 shown]
	s_wait_dscnt 0xb
	v_add_f32_e32 v30, v30, v42
	ds_bpermute_b32 v44, v20, v27
	s_wait_dscnt 0xb
	v_add_f32_e32 v28, v28, v34
	ds_bpermute_b32 v48, v19, v37
	s_wait_dscnt 0xb
	v_add_f32_e32 v29, v29, v35
	s_wait_dscnt 0xa
	v_add_f32_e32 v22, v22, v39
	ds_bpermute_b32 v43, v20, v23
	s_wait_dscnt 0xa
	v_add_f32_e32 v32, v32, v40
	ds_bpermute_b32 v19, v19, v17
	;; [unrolled: 3-line block ×3, first 2 shown]
	ds_bpermute_b32 v42, v20, v30
	s_wait_dscnt 0xb
	v_add_f32_e32 v33, v33, v41
	ds_bpermute_b32 v41, v20, v32
	ds_bpermute_b32 v40, v20, v18
	s_wait_dscnt 0xc
	v_add_f32_e32 v21, v21, v38
	s_wait_dscnt 0x9
	v_dual_add_f32 v25, v25, v45 :: v_dual_add_f32 v36, v36, v47
	s_wait_dscnt 0x8
	v_add_f32_e32 v24, v24, v49
	s_wait_dscnt 0x7
	v_dual_add_f32 v26, v26, v46 :: v_dual_add_f32 v27, v27, v44
	ds_bpermute_b32 v39, v20, v29
	ds_bpermute_b32 v46, v20, v36
	s_wait_dscnt 0x8
	v_add_f32_e32 v37, v37, v48
	ds_bpermute_b32 v45, v20, v26
	ds_bpermute_b32 v38, v16, v22
	s_wait_dscnt 0x9
	v_add_f32_e32 v23, v23, v43
	ds_bpermute_b32 v35, v16, v21
	s_wait_dscnt 0x8
	v_dual_add_f32 v17, v17, v19 :: v_dual_add_f32 v28, v28, v34
	ds_bpermute_b32 v43, v20, v33
	ds_bpermute_b32 v34, v20, v24
	s_wait_dscnt 0x9
	v_add_f32_e32 v30, v30, v42
	ds_bpermute_b32 v44, v20, v25
	s_wait_dscnt 0x8
	v_add_f32_e32 v18, v18, v40
	v_add_f32_e32 v32, v32, v41
	ds_bpermute_b32 v19, v20, v37
	ds_bpermute_b32 v20, v20, v17
	;; [unrolled: 1-line block ×4, first 2 shown]
	s_wait_dscnt 0xa
	v_dual_add_f32 v29, v29, v39 :: v_dual_add_f32 v36, v36, v46
	ds_bpermute_b32 v39, v16, v27
	s_wait_dscnt 0xa
	v_add_f32_e32 v26, v26, v45
	ds_bpermute_b32 v47, v16, v30
	ds_bpermute_b32 v42, v16, v29
	;; [unrolled: 1-line block ×3, first 2 shown]
	s_wait_dscnt 0xc
	v_add_f32_e32 v58, v22, v38
	ds_bpermute_b32 v51, v16, v26
	s_wait_dscnt 0xc
	v_add_f32_e32 v60, v21, v35
	s_wait_dscnt 0xa
	v_dual_add_f32 v33, v33, v43 :: v_dual_add_f32 v24, v24, v34
	ds_bpermute_b32 v43, v16, v32
	s_wait_dscnt 0xa
	v_add_f32_e32 v25, v25, v44
	ds_bpermute_b32 v45, v16, v33
	s_wait_dscnt 0xa
	v_add_f32_e32 v19, v37, v19
	s_wait_dscnt 0x8
	v_dual_add_f32 v17, v17, v20 :: v_dual_add_f32 v56, v23, v31
	ds_bpermute_b32 v49, v16, v25
	ds_bpermute_b32 v37, v16, v36
	;; [unrolled: 1-line block ×5, first 2 shown]
	s_wait_dscnt 0xb
	v_add_f32_e32 v54, v27, v39
	v_add_f32_e32 v52, v28, v40
	s_wait_dscnt 0x9
	v_add_f32_e32 v50, v29, v42
	v_add_f32_e32 v48, v30, v47
	s_wait_dscnt 0x8
	v_add_f32_e32 v46, v18, v41
	s_wait_dscnt 0x7
	;; [unrolled: 2-line block ×9, first 2 shown]
	v_add_f32_e32 v34, v17, v16
	s_wait_alu 0xfffe
	s_cbranch_vccz .LBB0_13
; %bb.12:
	s_ashr_i32 s3, s2, 31
	v_dual_mov_b32 v16, 0 :: v_dual_max_num_f32 v17, v1, v1
	s_wait_alu 0xfffe
	s_lshl_b64 s[6:7], s[2:3], 2
	v_dual_max_num_f32 v18, v2, v2 :: v_dual_max_num_f32 v21, v5, v5
	s_add_nc_u64 s[6:7], s[12:13], s[6:7]
	s_clause 0x1
	global_load_b128 v[62:65], v16, s[6:7]
	global_load_b128 v[30:33], v16, s[6:7] offset:16
	v_dual_max_num_f32 v16, v0, v0 :: v_dual_max_num_f32 v19, v3, v3
	v_dual_max_num_f32 v20, v4, v4 :: v_dual_max_num_f32 v23, v7, v7
	;; [unrolled: 1-line block ×4, first 2 shown]
	s_wait_loadcnt 0x1
	v_dual_max_num_f32 v26, v10, v10 :: v_dual_max_num_f32 v41, v63, v63
	s_wait_loadcnt 0x0
	v_max_num_f32_e32 v47, v30, v30
	v_max_num_f32_e32 v39, v62, v62
	;; [unrolled: 1-line block ×4, first 2 shown]
	s_delay_alu instid0(VALU_DEP_4) | instskip(NEXT) | instid1(VALU_DEP_4)
	v_dual_max_num_f32 v20, v20, v47 :: v_dual_max_num_f32 v45, v65, v65
	v_max_num_f32_e32 v16, v16, v39
	s_delay_alu instid0(VALU_DEP_4) | instskip(NEXT) | instid1(VALU_DEP_4)
	v_max_num_f32_e32 v22, v22, v37
	v_dual_max_num_f32 v35, v33, v33 :: v_dual_max_num_f32 v26, v26, v43
	v_dual_max_num_f32 v18, v18, v43 :: v_dual_max_num_f32 v17, v17, v41
	;; [unrolled: 1-line block ×3, first 2 shown]
	s_delay_alu instid0(VALU_DEP_3) | instskip(SKIP_4) | instid1(VALU_DEP_4)
	v_sub_f32_e32 v10, v10, v26
	v_sub_f32_e32 v39, v62, v16
	v_dual_max_num_f32 v49, v31, v31 :: v_dual_sub_f32 v0, v0, v16
	v_sub_f32_e32 v2, v2, v18
	v_dual_sub_f32 v59, v62, v24 :: v_dual_sub_f32 v62, v63, v25
	v_dual_max_num_f32 v27, v27, v45 :: v_dual_mul_f32 v66, 0x3fb8aa3b, v39
	v_sub_f32_e32 v41, v63, v17
	v_dual_max_num_f32 v19, v19, v45 :: v_dual_sub_f32 v4, v4, v20
	v_dual_max_num_f32 v21, v21, v49 :: v_dual_sub_f32 v6, v6, v22
	;; [unrolled: 1-line block ×3, first 2 shown]
	v_sub_f32_e32 v43, v64, v18
	v_rndne_f32_e32 v111, v66
	v_dual_sub_f32 v63, v64, v26 :: v_dual_sub_f32 v64, v65, v27
	v_mul_f32_e32 v68, 0x3fb8aa3b, v41
	s_delay_alu instid0(VALU_DEP_4) | instskip(SKIP_2) | instid1(VALU_DEP_4)
	v_dual_sub_f32 v1, v1, v17 :: v_dual_mul_f32 v70, 0x3fb8aa3b, v43
	v_dual_sub_f32 v53, v31, v21 :: v_dual_mul_f32 v100, 0x3fb8aa3b, v8
	v_sub_f32_e32 v45, v65, v19
	v_rndne_f32_e32 v115, v68
	s_delay_alu instid0(VALU_DEP_3) | instskip(NEXT) | instid1(VALU_DEP_3)
	v_dual_mul_f32 v65, 0x3fb8aa3b, v0 :: v_dual_mul_f32 v76, 0x3fb8aa3b, v53
	v_dual_sub_f32 v3, v3, v19 :: v_dual_mul_f32 v72, 0x3fb8aa3b, v45
	v_fma_f32 v110, 0x3fb8aa3b, v39, -v66
	v_sub_f32_e32 v9, v9, v25
	v_fma_f32 v114, 0x3fb8aa3b, v41, -v68
	v_rndne_f32_e32 v119, v70
	v_dual_mul_f32 v67, 0x3fb8aa3b, v1 :: v_dual_sub_f32 v68, v68, v115
	v_fma_f32 v108, 0x3fb8aa3b, v0, -v65
	v_sub_f32_e32 v57, v33, v23
	v_rndne_f32_e32 v109, v65
	v_fma_f32 v118, 0x3fb8aa3b, v43, -v70
	v_rndne_f32_e32 v123, v72
	v_mul_f32_e32 v69, 0x3fb8aa3b, v2
	v_fmac_f32_e32 v108, 0x32a5705f, v0
	v_dual_fmac_f32 v110, 0x32a5705f, v39 :: v_dual_sub_f32 v55, v32, v22
	v_dual_mul_f32 v102, 0x3fb8aa3b, v9 :: v_dual_sub_f32 v51, v30, v20
	v_dual_sub_f32 v66, v66, v111 :: v_dual_mul_f32 v99, 0x3fb8aa3b, v57
	v_sub_f32_e32 v70, v70, v119
	v_fma_f32 v112, 0x3fb8aa3b, v1, -v67
	v_sub_f32_e32 v11, v11, v27
	v_dual_sub_f32 v7, v7, v23 :: v_dual_mul_f32 v104, 0x3fb8aa3b, v10
	v_dual_mul_f32 v78, 0x3fb8aa3b, v55 :: v_dual_sub_f32 v5, v5, v21
	v_mul_f32_e32 v74, 0x3fb8aa3b, v51
	v_fma_f32 v122, 0x3fb8aa3b, v45, -v72
	v_rndne_f32_e32 v157, v100
	v_mul_f32_e32 v71, 0x3fb8aa3b, v3
	v_fmac_f32_e32 v112, 0x32a5705f, v1
	v_mul_f32_e32 v106, 0x3fb8aa3b, v11
	v_sub_f32_e32 v72, v72, v123
	v_fma_f32 v116, 0x3fb8aa3b, v2, -v69
	v_dual_sub_f32 v65, v65, v109 :: v_dual_add_f32 v66, v66, v110
	v_fma_f32 v154, 0x3fb8aa3b, v57, -v99
	v_rndne_f32_e32 v113, v67
	v_rndne_f32_e32 v117, v69
	;; [unrolled: 1-line block ×3, first 2 shown]
	v_mul_f32_e32 v73, 0x3fb8aa3b, v4
	v_fma_f32 v156, 0x3fb8aa3b, v8, -v100
	v_rndne_f32_e32 v165, v104
	v_mul_f32_e32 v101, 0x3fb8aa3b, v59
	v_rndne_f32_e32 v169, v106
	v_mul_f32_e32 v103, 0x3fb8aa3b, v62
	v_fmac_f32_e32 v116, 0x32a5705f, v2
	v_dual_fmac_f32 v154, 0x32a5705f, v57 :: v_dual_add_f32 v65, v65, v108
	v_sub_f32_e32 v100, v100, v157
	v_fma_f32 v120, 0x3fb8aa3b, v3, -v71
	v_rndne_f32_e32 v121, v71
	v_fma_f32 v126, 0x3fb8aa3b, v51, -v74
	v_fma_f32 v164, 0x3fb8aa3b, v10, -v104
	;; [unrolled: 1-line block ×3, first 2 shown]
	v_dual_sub_f32 v67, v67, v113 :: v_dual_fmac_f32 v118, 0x32a5705f, v43
	v_dual_sub_f32 v69, v69, v117 :: v_dual_fmac_f32 v120, 0x32a5705f, v3
	v_sub_f32_e32 v74, v74, v127
	v_fma_f32 v124, 0x3fb8aa3b, v4, -v73
	v_sub_f32_e32 v71, v71, v121
	v_sub_f32_e32 v104, v104, v165
	v_fma_f32 v158, 0x3fb8aa3b, v59, -v101
	v_sub_f32_e32 v106, v106, v169
	v_fma_f32 v162, 0x3fb8aa3b, v62, -v103
	v_exp_f32_e32 v65, v65
	v_rndne_f32_e32 v125, v73
	v_rndne_f32_e32 v155, v99
	v_cvt_i32_f32_e32 v109, v109
	v_fmac_f32_e32 v114, 0x32a5705f, v41
	v_fmac_f32_e32 v124, 0x32a5705f, v4
	v_dual_fmac_f32 v158, 0x32a5705f, v59 :: v_dual_add_f32 v67, v67, v112
	v_dual_fmac_f32 v162, 0x32a5705f, v62 :: v_dual_add_f32 v71, v71, v120
	v_exp_f32_e32 v66, v66
	v_rndne_f32_e32 v147, v76
	v_mul_f32_e32 v75, 0x3fb8aa3b, v5
	v_fma_f32 v160, 0x3fb8aa3b, v9, -v102
	v_cvt_i32_f32_e32 v111, v111
	v_dual_sub_f32 v73, v73, v125 :: v_dual_fmac_f32 v126, 0x32a5705f, v51
	v_sub_f32_e32 v99, v99, v155
	v_dual_mul_f32 v105, 0x3fb8aa3b, v63 :: v_dual_add_f32 v68, v68, v114
	v_exp_f32_e32 v67, v67
	v_exp_f32_e32 v71, v71
	v_ldexp_f32 v65, v65, v109
	v_cmp_ngt_f32_e32 vcc_lo, 0xc2ce8ed0, v0
	v_fma_f32 v146, 0x3fb8aa3b, v53, -v76
	v_rndne_f32_e32 v151, v78
	v_mul_f32_e32 v77, 0x3fb8aa3b, v6
	v_cvt_i32_f32_e32 v113, v113
	v_cvt_i32_f32_e32 v121, v121
	v_sub_f32_e32 v76, v76, v147
	v_fma_f32 v128, 0x3fb8aa3b, v5, -v75
	v_rndne_f32_e32 v129, v75
	v_dual_fmac_f32 v160, 0x32a5705f, v9 :: v_dual_add_f32 v69, v69, v116
	v_dual_fmac_f32 v164, 0x32a5705f, v10 :: v_dual_add_f32 v73, v73, v124
	s_wait_alu 0xfffd
	v_dual_add_f32 v74, v74, v126 :: v_dual_cndmask_b32 v65, 0, v65
	v_exp_f32_e32 v68, v68
	v_ldexp_f32 v66, v66, v111
	v_cmp_ngt_f32_e32 vcc_lo, 0xc2ce8ed0, v39
	v_dual_mul_f32 v107, 0x3fb8aa3b, v64 :: v_dual_add_f32 v70, v70, v118
	v_fma_f32 v150, 0x3fb8aa3b, v55, -v78
	v_rndne_f32_e32 v161, v102
	v_mul_f32_e32 v79, 0x3fb8aa3b, v7
	v_rndne_f32_e32 v163, v103
	v_fma_f32 v166, 0x3fb8aa3b, v63, -v105
	v_rndne_f32_e32 v167, v105
	v_cvt_i32_f32_e32 v115, v115
	s_delay_alu instid0(VALU_DEP_4) | instskip(NEXT) | instid1(VALU_DEP_3)
	v_dual_fmac_f32 v128, 0x32a5705f, v5 :: v_dual_sub_f32 v103, v103, v163
	v_dual_fmac_f32 v146, 0x32a5705f, v53 :: v_dual_sub_f32 v105, v105, v167
	v_sub_f32_e32 v78, v78, v151
	v_fma_f32 v148, 0x3fb8aa3b, v6, -v77
	v_sub_f32_e32 v75, v75, v129
	v_exp_f32_e32 v69, v69
	v_exp_f32_e32 v73, v73
	v_ldexp_f32 v67, v67, v113
	v_ldexp_f32 v71, v71, v121
	s_wait_alu 0xfffd
	v_cndmask_b32_e32 v66, 0, v66, vcc_lo
	v_cmp_ngt_f32_e32 vcc_lo, 0xc2ce8ed0, v1
	v_rndne_f32_e32 v149, v77
	v_rndne_f32_e32 v159, v101
	v_cvt_i32_f32_e32 v117, v117
	v_fmac_f32_e32 v122, 0x32a5705f, v45
	v_cvt_i32_f32_e32 v125, v125
	v_fmac_f32_e32 v148, 0x32a5705f, v6
	v_sub_f32_e32 v102, v102, v161
	v_fma_f32 v152, 0x3fb8aa3b, v7, -v79
	v_rndne_f32_e32 v153, v79
	v_dual_fmac_f32 v166, 0x32a5705f, v63 :: v_dual_add_f32 v75, v75, v128
	s_wait_alu 0xfffd
	v_dual_add_f32 v76, v76, v146 :: v_dual_cndmask_b32 v67, 0, v67
	v_exp_f32_e32 v70, v70
	v_ldexp_f32 v68, v68, v115
	v_cmp_ngt_f32_e32 vcc_lo, 0xc2ce8ed0, v41
	v_cvt_i32_f32_e32 v119, v119
	v_dual_sub_f32 v77, v77, v149 :: v_dual_fmac_f32 v150, 0x32a5705f, v55
	v_dual_fmac_f32 v152, 0x32a5705f, v7 :: v_dual_sub_f32 v79, v79, v153
	v_dual_sub_f32 v101, v101, v159 :: v_dual_add_f32 v72, v72, v122
	v_exp_f32_e32 v75, v75
	v_ldexp_f32 v69, v69, v117
	v_ldexp_f32 v73, v73, v125
	s_wait_alu 0xfffd
	v_cndmask_b32_e32 v68, 0, v68, vcc_lo
	v_cmp_ngt_f32_e32 vcc_lo, 0xc2ce8ed0, v2
	v_cvt_i32_f32_e32 v129, v129
	v_dual_fmac_f32 v168, 0x32a5705f, v11 :: v_dual_add_f32 v77, v77, v148
	s_wait_alu 0xfffd
	v_dual_add_f32 v78, v78, v150 :: v_dual_cndmask_b32 v69, 0, v69
	v_add_f32_e32 v79, v79, v152
	v_exp_f32_e32 v72, v72
	v_ldexp_f32 v70, v70, v119
	v_cmp_ngt_f32_e32 vcc_lo, 0xc2ce8ed0, v43
	v_cvt_i32_f32_e32 v123, v123
	v_exp_f32_e32 v77, v77
	v_ldexp_f32 v75, v75, v129
	v_cvt_i32_f32_e32 v149, v149
	s_wait_alu 0xfffd
	v_cndmask_b32_e32 v70, 0, v70, vcc_lo
	v_cmp_ngt_f32_e32 vcc_lo, 0xc2ce8ed0, v3
	v_exp_f32_e32 v74, v74
	v_ldexp_f32 v72, v72, v123
	v_cvt_i32_f32_e32 v127, v127
	v_exp_f32_e32 v79, v79
	s_wait_alu 0xfffd
	v_cndmask_b32_e32 v71, 0, v71, vcc_lo
	v_cmp_ngt_f32_e32 vcc_lo, 0xc2ce8ed0, v45
	v_ldexp_f32 v77, v77, v149
	v_cvt_i32_f32_e32 v153, v153
	v_dual_fmac_f32 v156, 0x32a5705f, v8 :: v_dual_add_f32 v99, v99, v154
	s_wait_alu 0xfffd
	v_cndmask_b32_e32 v72, 0, v72, vcc_lo
	v_cmp_ngt_f32_e32 vcc_lo, 0xc2ce8ed0, v4
	v_exp_f32_e32 v76, v76
	v_ldexp_f32 v74, v74, v127
	v_cvt_i32_f32_e32 v147, v147
	v_exp_f32_e32 v99, v99
	s_wait_alu 0xfffd
	v_cndmask_b32_e32 v73, 0, v73, vcc_lo
	v_cmp_ngt_f32_e32 vcc_lo, 0xc2ce8ed0, v51
	v_ldexp_f32 v79, v79, v153
	v_cvt_i32_f32_e32 v155, v155
	v_dual_add_f32 v100, v100, v156 :: v_dual_add_f32 v101, v101, v158
	s_wait_alu 0xfffd
	v_cndmask_b32_e32 v74, 0, v74, vcc_lo
	v_cmp_ngt_f32_e32 vcc_lo, 0xc2ce8ed0, v5
	v_exp_f32_e32 v78, v78
	v_ldexp_f32 v76, v76, v147
	v_cvt_i32_f32_e32 v151, v151
	v_exp_f32_e32 v101, v101
	s_wait_alu 0xfffd
	v_cndmask_b32_e32 v75, 0, v75, vcc_lo
	v_cmp_ngt_f32_e32 vcc_lo, 0xc2ce8ed0, v53
	v_ldexp_f32 v99, v99, v155
	v_cvt_i32_f32_e32 v159, v159
	v_dual_add_f32 v102, v102, v160 :: v_dual_add_f32 v103, v103, v162
	s_wait_alu 0xfffd
	v_cndmask_b32_e32 v76, 0, v76, vcc_lo
	v_cmp_ngt_f32_e32 vcc_lo, 0xc2ce8ed0, v6
	v_ldexp_f32 v78, v78, v151
	v_exp_f32_e32 v100, v100
	v_ldexp_f32 v101, v101, v159
	v_cvt_i32_f32_e32 v157, v157
	s_wait_alu 0xfffd
	v_cndmask_b32_e32 v77, 0, v77, vcc_lo
	v_cmp_ngt_f32_e32 vcc_lo, 0xc2ce8ed0, v55
	v_exp_f32_e32 v103, v103
	v_cvt_i32_f32_e32 v163, v163
	v_dual_add_f32 v104, v104, v164 :: v_dual_add_f32 v105, v105, v166
	s_wait_alu 0xfffd
	v_cndmask_b32_e32 v78, 0, v78, vcc_lo
	v_cmp_ngt_f32_e32 vcc_lo, 0xc2ce8ed0, v7
	v_exp_f32_e32 v102, v102
	v_ldexp_f32 v100, v100, v157
	v_cvt_i32_f32_e32 v161, v161
	v_exp_f32_e32 v105, v105
	s_wait_alu 0xfffd
	v_cndmask_b32_e32 v79, 0, v79, vcc_lo
	v_cmp_ngt_f32_e32 vcc_lo, 0xc2ce8ed0, v57
	v_ldexp_f32 v103, v103, v163
	v_cvt_i32_f32_e32 v167, v167
	v_exp_f32_e32 v104, v104
	v_cvt_i32_f32_e32 v165, v165
	s_wait_alu 0xfffd
	v_cndmask_b32_e32 v99, 0, v99, vcc_lo
	v_cmp_ngt_f32_e32 vcc_lo, 0xc2ce8ed0, v8
	v_ldexp_f32 v102, v102, v161
	v_ldexp_f32 v105, v105, v167
	s_wait_alu 0xfffd
	v_cndmask_b32_e32 v100, 0, v100, vcc_lo
	v_cmp_ngt_f32_e32 vcc_lo, 0xc2ce8ed0, v59
	v_ldexp_f32 v104, v104, v165
	s_wait_alu 0xfffd
	v_cndmask_b32_e32 v101, 0, v101, vcc_lo
	v_cmp_ngt_f32_e32 vcc_lo, 0xc2ce8ed0, v9
	s_wait_alu 0xfffd
	v_cndmask_b32_e32 v102, 0, v102, vcc_lo
	v_cmp_ngt_f32_e32 vcc_lo, 0xc2ce8ed0, v62
	;; [unrolled: 3-line block ×4, first 2 shown]
	s_wait_alu 0xfffd
	v_cndmask_b32_e32 v105, 0, v105, vcc_lo
	v_cmp_nlt_f32_e32 vcc_lo, 0x42b17218, v0
	s_wait_alu 0xfffd
	v_cndmask_b32_e32 v0, 0x7f800000, v65, vcc_lo
	v_cmp_nlt_f32_e32 vcc_lo, 0x42b17218, v39
	;; [unrolled: 3-line block ×9, first 2 shown]
	s_wait_alu 0xfffd
	s_delay_alu instid0(VALU_DEP_2) | instskip(SKIP_3) | instid1(VALU_DEP_3)
	v_dual_fmac_f32 v45, v54, v3 :: v_dual_cndmask_b32 v4, 0x7f800000, v73
	v_cmp_nlt_f32_e32 vcc_lo, 0x42b17218, v51
	v_cvt_f16_f32_e32 v3, v3
	s_wait_alu 0xfffd
	v_dual_mov_b32 v54, v45 :: v_dual_cndmask_b32 v51, 0x7f800000, v74
	v_cmp_nlt_f32_e32 vcc_lo, 0x42b17218, v5
	s_delay_alu instid0(VALU_DEP_2)
	v_fmac_f32_e32 v51, v52, v4
	s_wait_alu 0xfffd
	v_cndmask_b32_e32 v5, 0x7f800000, v75, vcc_lo
	v_cmp_nlt_f32_e32 vcc_lo, 0x42b17218, v53
	v_cvt_f16_f32_e32 v4, v4
	s_wait_alu 0xfffd
	v_dual_mov_b32 v52, v51 :: v_dual_cndmask_b32 v53, 0x7f800000, v76
	v_cmp_nlt_f32_e32 vcc_lo, 0x42b17218, v6
	s_delay_alu instid0(VALU_DEP_2) | instskip(SKIP_3) | instid1(VALU_DEP_3)
	v_dual_fmac_f32 v53, v50, v5 :: v_dual_and_b32 v4, 0xffff, v4
	s_wait_alu 0xfffd
	v_cndmask_b32_e32 v6, 0x7f800000, v77, vcc_lo
	v_cmp_nlt_f32_e32 vcc_lo, 0x42b17218, v55
	v_mul_u32_u24_e32 v4, 0x10001, v4
	v_cvt_f16_f32_e32 v5, v5
	s_wait_alu 0xfffd
	v_dual_mov_b32 v50, v53 :: v_dual_cndmask_b32 v55, 0x7f800000, v78
	v_cmp_nlt_f32_e32 vcc_lo, 0x42b17218, v7
	v_pk_mul_f16 v141, v141, v4
	v_dual_max_num_f32 v4, v12, v12 :: v_dual_and_b32 v5, 0xffff, v5
	s_delay_alu instid0(VALU_DEP_4)
	v_fmac_f32_e32 v55, v48, v6
	s_wait_alu 0xfffd
	v_cndmask_b32_e32 v7, 0x7f800000, v79, vcc_lo
	v_cmp_nlt_f32_e32 vcc_lo, 0x42b17218, v57
	v_cvt_f16_f32_e32 v6, v6
	v_mul_u32_u24_e32 v5, 0x10001, v5
	s_wait_alu 0xfffd
	v_dual_mov_b32 v48, v55 :: v_dual_cndmask_b32 v57, 0x7f800000, v99
	v_cmp_nlt_f32_e32 vcc_lo, 0x42b17218, v8
	v_and_b32_e32 v6, 0xffff, v6
	v_pk_mul_f16 v140, v140, v5
	s_wait_alu 0xfffd
	v_dual_fmac_f32 v57, v46, v7 :: v_dual_cndmask_b32 v8, 0x7f800000, v100
	v_cmp_nlt_f32_e32 vcc_lo, 0x42b17218, v59
	v_cvt_f16_f32_e32 v7, v7
	s_wait_alu 0xfffd
	s_delay_alu instid0(VALU_DEP_3) | instskip(SKIP_1) | instid1(VALU_DEP_3)
	v_dual_mov_b32 v46, v57 :: v_dual_cndmask_b32 v59, 0x7f800000, v101
	v_cmp_nlt_f32_e32 vcc_lo, 0x42b17218, v9
	v_and_b32_e32 v7, 0xffff, v7
	s_delay_alu instid0(VALU_DEP_3)
	v_fmac_f32_e32 v59, v44, v8
	s_wait_alu 0xfffd
	v_cndmask_b32_e32 v9, 0x7f800000, v102, vcc_lo
	v_cmp_nlt_f32_e32 vcc_lo, 0x42b17218, v62
	v_cvt_f16_f32_e32 v8, v8
	v_mul_u32_u24_e32 v7, 0x10001, v7
	s_wait_alu 0xfffd
	v_cndmask_b32_e32 v62, 0x7f800000, v103, vcc_lo
	v_cmp_nlt_f32_e32 vcc_lo, 0x42b17218, v10
	v_and_b32_e32 v8, 0xffff, v8
	v_pk_mul_f16 v138, v138, v7
	s_delay_alu instid0(VALU_DEP_4)
	v_fmac_f32_e32 v62, v28, v9
	v_dual_max_num_f32 v28, v4, v47 :: v_dual_fmac_f32 v41, v58, v1
	v_cvt_f16_f32_e32 v1, v1
	s_wait_alu 0xfffd
	v_cndmask_b32_e32 v10, 0x7f800000, v104, vcc_lo
	v_cmp_nlt_f32_e32 vcc_lo, 0x42b17218, v63
	v_cvt_i32_f32_e32 v4, v169
	v_mul_u32_u24_e32 v8, 0x10001, v8
	v_and_b32_e32 v1, 0xffff, v1
	v_cvt_f16_f32_e32 v9, v9
	s_wait_alu 0xfffd
	v_cndmask_b32_e32 v47, 0x7f800000, v105, vcc_lo
	v_cmp_ngt_f32_e32 vcc_lo, 0xc2ce8ed0, v11
	v_pk_mul_f16 v137, v137, v8
	v_mul_u32_u24_e32 v1, 0x10001, v1
	v_dual_max_num_f32 v8, v13, v13 :: v_dual_fmac_f32 v43, v56, v2
	v_fmac_f32_e32 v39, v60, v0
	v_cvt_f16_f32_e32 v0, v0
	s_delay_alu instid0(VALU_DEP_4)
	v_pk_mul_f16 v144, v144, v1
	v_add_f32_e32 v1, v106, v168
	v_cvt_f16_f32_e32 v2, v2
	v_fmac_f32_e32 v47, v29, v10
	v_max_num_f32_e32 v29, v8, v49
	v_and_b32_e32 v9, 0xffff, v9
	v_exp_f32_e32 v1, v1
	v_and_b32_e32 v2, 0xffff, v2
	v_mul_u32_u24_e32 v6, 0x10001, v6
	v_mov_b32_e32 v58, v41
	v_mul_u32_u24_e32 v9, 0x10001, v9
	v_mov_b32_e32 v60, v39
	v_mul_u32_u24_e32 v2, 0x10001, v2
	v_pk_mul_f16 v139, v139, v6
	v_mov_b32_e32 v56, v43
	v_pk_mul_f16 v136, v136, v9
	v_ldexp_f32 v1, v1, v4
	v_and_b32_e32 v3, 0xffff, v3
	v_pk_mul_f16 v143, v143, v2
	v_fma_f32 v2, 0x3fb8aa3b, v64, -v107
	v_mov_b32_e32 v44, v59
	s_delay_alu instid0(VALU_DEP_4) | instskip(NEXT) | instid1(VALU_DEP_3)
	v_mul_u32_u24_e32 v3, 0x10001, v3
	v_fmac_f32_e32 v2, 0x32a5705f, v64
	s_delay_alu instid0(VALU_DEP_2) | instskip(SKIP_1) | instid1(VALU_DEP_1)
	v_pk_mul_f16 v142, v142, v3
	v_rndne_f32_e32 v3, v107
	v_dual_sub_f32 v5, v107, v3 :: v_dual_and_b32 v0, 0xffff, v0
	s_delay_alu instid0(VALU_DEP_1) | instskip(NEXT) | instid1(VALU_DEP_2)
	v_mul_u32_u24_e32 v0, 0x10001, v0
	v_add_f32_e32 v2, v5, v2
	s_delay_alu instid0(VALU_DEP_2) | instskip(SKIP_1) | instid1(VALU_DEP_3)
	v_pk_mul_f16 v145, v145, v0
	v_cvt_f16_f32_e32 v0, v10
	v_exp_f32_e32 v2, v2
	s_delay_alu instid0(VALU_DEP_1) | instskip(NEXT) | instid1(VALU_DEP_1)
	v_and_b32_e32 v0, 0xffff, v0
	v_mul_u32_u24_e32 v0, 0x10001, v0
	s_delay_alu instid0(VALU_DEP_1)
	v_pk_mul_f16 v135, v135, v0
	s_wait_alu 0xfffd
	v_cndmask_b32_e32 v0, 0, v1, vcc_lo
	v_cmp_nlt_f32_e32 vcc_lo, 0x42b17218, v11
	v_cvt_i32_f32_e32 v1, v3
	s_wait_alu 0xfffd
	s_delay_alu instid0(VALU_DEP_3) | instskip(NEXT) | instid1(VALU_DEP_2)
	v_cndmask_b32_e32 v0, 0x7f800000, v0, vcc_lo
	v_ldexp_f32 v1, v2, v1
	v_cmp_ngt_f32_e32 vcc_lo, 0xc2ce8ed0, v64
	s_delay_alu instid0(VALU_DEP_3)
	v_cvt_f16_f32_e32 v9, v0
	v_sub_f32_e32 v7, v30, v28
	s_wait_alu 0xfffd
	v_cndmask_b32_e32 v1, 0, v1, vcc_lo
	v_cmp_nlt_f32_e32 vcc_lo, 0x42b17218, v64
	v_dual_sub_f32 v5, v12, v28 :: v_dual_and_b32 v8, 0xffff, v9
	v_sub_f32_e32 v9, v13, v29
	s_wait_alu 0xfffd
	v_cndmask_b32_e32 v49, 0x7f800000, v1, vcc_lo
	s_delay_alu instid0(VALU_DEP_3) | instskip(NEXT) | instid1(VALU_DEP_2)
	v_mul_u32_u24_e32 v1, 0x10001, v8
	v_dual_mul_f32 v4, 0x3fb8aa3b, v5 :: v_dual_fmac_f32 v49, v42, v0
	s_delay_alu instid0(VALU_DEP_2) | instskip(NEXT) | instid1(VALU_DEP_2)
	v_pk_mul_f16 v134, v134, v1
	v_fma_f32 v3, 0x3fb8aa3b, v5, -v4
	v_rndne_f32_e32 v6, v4
	s_delay_alu instid0(VALU_DEP_4) | instskip(NEXT) | instid1(VALU_DEP_2)
	v_mov_b32_e32 v42, v49
	v_sub_f32_e32 v2, v4, v6
	v_mul_f32_e32 v4, 0x3fb8aa3b, v7
	v_fmac_f32_e32 v3, 0x32a5705f, v5
	v_cvt_i32_f32_e32 v6, v6
	v_cmp_ngt_f32_e32 vcc_lo, 0xc2ce8ed0, v5
	s_delay_alu instid0(VALU_DEP_4) | instskip(NEXT) | instid1(VALU_DEP_4)
	v_rndne_f32_e32 v10, v4
	v_add_f32_e32 v2, v2, v3
	v_fma_f32 v3, 0x3fb8aa3b, v7, -v4
	s_delay_alu instid0(VALU_DEP_3) | instskip(NEXT) | instid1(VALU_DEP_3)
	v_sub_f32_e32 v4, v4, v10
	v_exp_f32_e32 v2, v2
	s_delay_alu instid0(VALU_DEP_2) | instskip(SKIP_1) | instid1(VALU_DEP_2)
	v_fmac_f32_e32 v3, 0x32a5705f, v7
	v_cvt_i32_f32_e32 v8, v10
	v_dual_add_f32 v3, v4, v3 :: v_dual_mul_f32 v4, 0x3fb8aa3b, v9
	s_delay_alu instid0(TRANS32_DEP_1) | instskip(NEXT) | instid1(VALU_DEP_2)
	v_ldexp_f32 v0, v2, v6
	v_exp_f32_e32 v1, v3
	s_delay_alu instid0(VALU_DEP_2)
	v_fma_f32 v2, 0x3fb8aa3b, v9, -v4
	v_rndne_f32_e32 v3, v4
	v_sub_f32_e32 v6, v31, v29
	s_wait_alu 0xfffd
	v_cndmask_b32_e32 v0, 0, v0, vcc_lo
	v_cmp_nlt_f32_e32 vcc_lo, 0x42b17218, v5
	v_fmac_f32_e32 v2, 0x32a5705f, v9
	v_sub_f32_e32 v4, v4, v3
	v_cvt_i32_f32_e32 v3, v3
	s_wait_alu 0xfffd
	v_cndmask_b32_e32 v0, 0x7f800000, v0, vcc_lo
	v_ldexp_f32 v1, v1, v8
	v_add_f32_e32 v2, v4, v2
	v_cmp_ngt_f32_e32 vcc_lo, 0xc2ce8ed0, v7
	v_mul_f32_e32 v10, 0x3fb8aa3b, v6
	s_delay_alu instid0(VALU_DEP_3) | instskip(SKIP_2) | instid1(VALU_DEP_2)
	v_exp_f32_e32 v2, v2
	s_wait_alu 0xfffd
	v_cndmask_b32_e32 v1, 0, v1, vcc_lo
	v_fma_f32 v5, 0x3fb8aa3b, v6, -v10
	v_rndne_f32_e32 v8, v10
	v_cmp_nlt_f32_e32 vcc_lo, 0x42b17218, v7
	s_delay_alu instid0(VALU_DEP_2) | instskip(SKIP_2) | instid1(TRANS32_DEP_1)
	v_dual_fmac_f32 v5, 0x32a5705f, v6 :: v_dual_sub_f32 v4, v10, v8
	s_wait_alu 0xfffd
	v_cndmask_b32_e32 v63, 0x7f800000, v1, vcc_lo
	v_ldexp_f32 v2, v2, v3
	v_cmp_ngt_f32_e32 vcc_lo, 0xc2ce8ed0, v9
	v_add_f32_e32 v1, v4, v5
	v_cvt_f16_f32_e32 v10, v0
	v_max_num_f32_e32 v4, v14, v14
	s_wait_alu 0xfffd
	v_cndmask_b32_e32 v2, 0, v2, vcc_lo
	v_cmp_nlt_f32_e32 vcc_lo, 0x42b17218, v9
	v_fmac_f32_e32 v63, v40, v0
	v_exp_f32_e32 v0, v1
	v_max_num_f32_e32 v30, v4, v37
	v_cvt_i32_f32_e32 v4, v8
	v_and_b32_e32 v5, 0xffff, v10
	s_wait_alu 0xfffd
	v_cndmask_b32_e32 v2, 0x7f800000, v2, vcc_lo
	v_cmp_ngt_f32_e32 vcc_lo, 0xc2ce8ed0, v6
	v_mov_b32_e32 v40, v63
	v_mul_u32_u24_e32 v1, 0x10001, v5
	v_sub_f32_e32 v5, v14, v30
	v_ldexp_f32 v0, v0, v4
	s_delay_alu instid0(VALU_DEP_3) | instskip(SKIP_1) | instid1(VALU_DEP_2)
	v_pk_mul_f16 v133, v133, v1
	s_wait_alu 0xfffd
	v_cndmask_b32_e32 v0, 0, v0, vcc_lo
	v_cmp_nlt_f32_e32 vcc_lo, 0x42b17218, v6
	v_dual_sub_f32 v6, v32, v30 :: v_dual_max_num_f32 v3, v15, v15
	s_delay_alu instid0(VALU_DEP_1)
	v_dual_mul_f32 v10, 0x3fb8aa3b, v6 :: v_dual_max_num_f32 v31, v3, v35
	v_mul_f32_e32 v3, 0x3fb8aa3b, v5
	s_wait_alu 0xfffd
	v_cndmask_b32_e32 v35, 0x7f800000, v0, vcc_lo
	v_cmp_ngt_f32_e32 vcc_lo, 0xc2ce8ed0, v5
	v_fma_f32 v11, 0x3fb8aa3b, v6, -v10
	v_rndne_f32_e32 v12, v10
	v_fma_f32 v7, 0x3fb8aa3b, v5, -v3
	v_rndne_f32_e32 v8, v3
	s_delay_alu instid0(VALU_DEP_2) | instskip(NEXT) | instid1(VALU_DEP_2)
	v_dual_sub_f32 v10, v10, v12 :: v_dual_fmac_f32 v7, 0x32a5705f, v5
	v_sub_f32_e32 v0, v3, v8
	v_cvt_i32_f32_e32 v8, v8
	s_delay_alu instid0(VALU_DEP_2) | instskip(NEXT) | instid1(VALU_DEP_1)
	v_add_f32_e32 v0, v0, v7
	v_exp_f32_e32 v0, v0
	s_delay_alu instid0(TRANS32_DEP_1) | instskip(SKIP_1) | instid1(VALU_DEP_1)
	v_ldexp_f32 v0, v0, v8
	s_wait_alu 0xfffd
	v_dual_cndmask_b32 v0, 0, v0 :: v_dual_fmac_f32 v35, v38, v2
	v_cvt_f16_f32_e32 v2, v2
	s_delay_alu instid0(VALU_DEP_1) | instskip(SKIP_1) | instid1(VALU_DEP_2)
	v_and_b32_e32 v2, 0xffff, v2
	v_dual_sub_f32 v4, v15, v31 :: v_dual_fmac_f32 v11, 0x32a5705f, v6
	v_mul_u32_u24_e32 v2, 0x10001, v2
	s_delay_alu instid0(VALU_DEP_2) | instskip(SKIP_1) | instid1(VALU_DEP_3)
	v_dual_mul_f32 v9, 0x3fb8aa3b, v4 :: v_dual_add_f32 v8, v10, v11
	v_cmp_ngt_f32_e32 vcc_lo, 0xc2ce8ed0, v4
	v_pk_mul_f16 v132, v132, v2
	s_delay_alu instid0(VALU_DEP_3) | instskip(SKIP_1) | instid1(VALU_DEP_2)
	v_fma_f32 v1, 0x3fb8aa3b, v4, -v9
	v_rndne_f32_e32 v3, v9
	v_fmac_f32_e32 v1, 0x32a5705f, v4
	s_delay_alu instid0(VALU_DEP_2) | instskip(SKIP_2) | instid1(VALU_DEP_3)
	v_sub_f32_e32 v7, v9, v3
	v_sub_f32_e32 v9, v33, v31
	v_cvt_i32_f32_e32 v3, v3
	v_add_f32_e32 v1, v7, v1
	s_delay_alu instid0(VALU_DEP_3) | instskip(NEXT) | instid1(VALU_DEP_2)
	v_mul_f32_e32 v7, 0x3fb8aa3b, v9
	v_exp_f32_e32 v1, v1
	s_delay_alu instid0(VALU_DEP_1) | instskip(SKIP_1) | instid1(VALU_DEP_2)
	v_fma_f32 v13, 0x3fb8aa3b, v9, -v7
	v_rndne_f32_e32 v14, v7
	v_fmac_f32_e32 v13, 0x32a5705f, v9
	s_delay_alu instid0(VALU_DEP_2) | instskip(NEXT) | instid1(TRANS32_DEP_1)
	v_sub_f32_e32 v7, v7, v14
	v_ldexp_f32 v1, v1, v3
	s_delay_alu instid0(VALU_DEP_2)
	v_add_f32_e32 v3, v7, v13
	v_exp_f32_e32 v7, v8
	v_cvt_i32_f32_e32 v8, v14
	s_wait_alu 0xfffd
	v_cndmask_b32_e32 v1, 0, v1, vcc_lo
	v_cmp_nlt_f32_e32 vcc_lo, 0x42b17218, v5
	v_exp_f32_e32 v3, v3
	v_cvt_i32_f32_e32 v5, v12
	s_wait_alu 0xfffd
	v_cndmask_b32_e32 v0, 0x7f800000, v0, vcc_lo
	v_cmp_nlt_f32_e32 vcc_lo, 0x42b17218, v4
	s_delay_alu instid0(VALU_DEP_3) | instskip(SKIP_1) | instid1(VALU_DEP_4)
	v_ldexp_f32 v4, v7, v5
	v_mov_b32_e32 v38, v35
	v_cvt_f16_f32_e32 v5, v0
	s_wait_alu 0xfffd
	v_cndmask_b32_e32 v1, 0x7f800000, v1, vcc_lo
	v_cmp_ngt_f32_e32 vcc_lo, 0xc2ce8ed0, v6
	v_ldexp_f32 v3, v3, v8
	v_and_b32_e32 v5, 0xffff, v5
	s_delay_alu instid0(VALU_DEP_4) | instskip(SKIP_3) | instid1(VALU_DEP_3)
	v_cvt_f16_f32_e32 v7, v1
	s_wait_alu 0xfffd
	v_cndmask_b32_e32 v4, 0, v4, vcc_lo
	v_cmp_ngt_f32_e32 vcc_lo, 0xc2ce8ed0, v9
	v_and_b32_e32 v7, 0xffff, v7
	s_wait_alu 0xfffd
	v_cndmask_b32_e32 v3, 0, v3, vcc_lo
	v_cmp_nlt_f32_e32 vcc_lo, 0x42b17218, v6
	s_wait_alu 0xfffd
	v_cndmask_b32_e32 v32, 0x7f800000, v4, vcc_lo
	v_cmp_nlt_f32_e32 vcc_lo, 0x42b17218, v9
	v_mul_u32_u24_e32 v4, 0x10001, v5
	s_wait_alu 0xfffd
	s_delay_alu instid0(VALU_DEP_3) | instskip(SKIP_1) | instid1(VALU_DEP_3)
	v_dual_fmac_f32 v32, v36, v0 :: v_dual_cndmask_b32 v33, 0x7f800000, v3
	v_mul_u32_u24_e32 v3, 0x10001, v7
	v_pk_mul_f16 v131, v131, v4
	s_delay_alu instid0(VALU_DEP_3) | instskip(NEXT) | instid1(VALU_DEP_3)
	v_dual_mov_b32 v36, v32 :: v_dual_fmac_f32 v33, v34, v1
	v_pk_mul_f16 v130, v130, v3
	v_dual_mov_b32 v0, v16 :: v_dual_mov_b32 v1, v17
	v_dual_mov_b32 v2, v18 :: v_dual_mov_b32 v3, v19
	;; [unrolled: 1-line block ×6, first 2 shown]
	v_mov_b32_e32 v34, v33
	v_dual_mov_b32 v12, v28 :: v_dual_mov_b32 v13, v29
	v_dual_mov_b32 v14, v30 :: v_dual_mov_b32 v15, v31
	;; [unrolled: 1-line block ×3, first 2 shown]
.LBB0_13:
	s_mov_b32 s3, exec_lo
	v_cmpx_gt_i32_e64 s22, v98
	s_cbranch_execz .LBB0_86
; %bb.14:
	s_load_b32 s1, s[0:1], 0xd4
	v_mov_b32_e32 v18, 1.0
	s_wait_kmcnt 0x0
	s_cmp_lg_u32 s1, 1
	s_cselect_b32 s5, -1, 0
	s_cmp_eq_u32 s1, 1
	s_cselect_b32 s6, -1, 0
	s_wait_alu 0xfffe
	s_and_b32 vcc_lo, exec_lo, s5
	s_wait_alu 0xfffe
	s_cbranch_vccnz .LBB0_16
; %bb.15:
	v_div_scale_f32 v16, null, v60, v60, 1.0
	s_delay_alu instid0(VALU_DEP_1) | instskip(NEXT) | instid1(TRANS32_DEP_1)
	v_rcp_f32_e32 v17, v16
	v_fma_f32 v18, -v16, v17, 1.0
	s_delay_alu instid0(VALU_DEP_1) | instskip(SKIP_1) | instid1(VALU_DEP_1)
	v_fmac_f32_e32 v17, v18, v17
	v_div_scale_f32 v18, vcc_lo, 1.0, v60, 1.0
	v_mul_f32_e32 v19, v18, v17
	s_delay_alu instid0(VALU_DEP_1) | instskip(NEXT) | instid1(VALU_DEP_1)
	v_fma_f32 v20, -v16, v19, v18
	v_fmac_f32_e32 v19, v20, v17
	s_delay_alu instid0(VALU_DEP_1) | instskip(SKIP_1) | instid1(VALU_DEP_1)
	v_fma_f32 v16, -v16, v19, v18
	s_wait_alu 0xfffd
	v_div_fmas_f32 v16, v16, v17, v19
	s_delay_alu instid0(VALU_DEP_1)
	v_div_fixup_f32 v18, v16, v60, 1.0
.LBB0_16:
	s_mul_i32 s3, s28, s22
	v_cvt_f32_f16_e64 v22, v145
	s_wait_alu 0xfffe
	s_add_co_i32 s3, s3, s31
	v_cmp_eq_u32_e32 vcc_lo, 0, v96
	s_wait_alu 0xfffe
	v_dual_mov_b32 v21, 0 :: v_dual_add_nc_u32 v16, s3, v97
	s_delay_alu instid0(VALU_DEP_1) | instskip(NEXT) | instid1(VALU_DEP_1)
	v_mul_lo_u32 v19, v16, s23
	v_add_nc_u32_e32 v16, s2, v19
	s_delay_alu instid0(VALU_DEP_1) | instskip(SKIP_2) | instid1(VALU_DEP_1)
	v_mad_co_u64_u32 v[16:17], null, s1, v16, s[4:5]
	v_lshrrev_b32_e32 v17, 16, v145
	s_and_b32 s5, vcc_lo, s5
	v_cvt_f32_f16_e32 v23, v17
	s_delay_alu instid0(VALU_DEP_3) | instskip(SKIP_1) | instid1(VALU_DEP_3)
	v_lshl_add_u32 v20, v16, 6, v61
	v_mul_f32_e32 v17, v18, v22
	v_mul_f32_e32 v18, v18, v23
	s_delay_alu instid0(VALU_DEP_3) | instskip(NEXT) | instid1(VALU_DEP_1)
	v_lshlrev_b64_e32 v[20:21], 2, v[20:21]
	v_add_co_u32 v20, s0, s16, v20
	s_wait_alu 0xf1ff
	s_delay_alu instid0(VALU_DEP_2)
	v_add_co_ci_u32_e64 v21, null, s17, v21, s0
	global_store_b64 v[20:21], v[17:18], off
	s_wait_alu 0xfffe
	s_and_saveexec_b32 s0, s5
	s_cbranch_execz .LBB0_18
; %bb.17:
	v_ashrrev_i32_e32 v17, 31, v16
	v_mov_b32_e32 v59, v0
	s_delay_alu instid0(VALU_DEP_2) | instskip(NEXT) | instid1(VALU_DEP_1)
	v_lshlrev_b64_e32 v[16:17], 3, v[16:17]
	v_add_co_u32 v16, vcc_lo, s18, v16
	s_wait_alu 0xfffd
	s_delay_alu instid0(VALU_DEP_2)
	v_add_co_ci_u32_e64 v17, null, s19, v17, vcc_lo
	global_store_b64 v[16:17], v[59:60], off
.LBB0_18:
	s_wait_alu 0xfffe
	s_or_b32 exec_lo, exec_lo, s0
	v_cndmask_b32_e64 v18, 0, 1, s6
	v_mov_b32_e32 v0, 1.0
	s_and_not1_b32 vcc_lo, exec_lo, s6
	s_wait_alu 0xfffe
	s_cbranch_vccnz .LBB0_20
; %bb.19:
	v_div_scale_f32 v0, null, v58, v58, 1.0
	s_delay_alu instid0(VALU_DEP_1) | instskip(NEXT) | instid1(TRANS32_DEP_1)
	v_rcp_f32_e32 v16, v0
	v_fma_f32 v17, -v0, v16, 1.0
	s_delay_alu instid0(VALU_DEP_1) | instskip(SKIP_1) | instid1(VALU_DEP_1)
	v_fmac_f32_e32 v16, v17, v16
	v_div_scale_f32 v17, vcc_lo, 1.0, v58, 1.0
	v_mul_f32_e32 v20, v17, v16
	s_delay_alu instid0(VALU_DEP_1) | instskip(NEXT) | instid1(VALU_DEP_1)
	v_fma_f32 v21, -v0, v20, v17
	v_fmac_f32_e32 v20, v21, v16
	s_delay_alu instid0(VALU_DEP_1) | instskip(SKIP_1) | instid1(VALU_DEP_1)
	v_fma_f32 v0, -v0, v20, v17
	s_wait_alu 0xfffd
	v_div_fmas_f32 v0, v0, v16, v20
	s_delay_alu instid0(VALU_DEP_1)
	v_div_fixup_f32 v0, v0, v58, 1.0
.LBB0_20:
	s_add_co_i32 s20, s2, 1
	v_cvt_f32_f16_e64 v22, v144
	s_wait_alu 0xfffe
	v_dual_mov_b32 v21, 0 :: v_dual_add_nc_u32 v16, s20, v19
	s_delay_alu instid0(VALU_DEP_2) | instskip(NEXT) | instid1(VALU_DEP_2)
	v_mul_f32_e32 v22, v0, v22
	v_mad_co_u64_u32 v[16:17], null, s1, v16, s[4:5]
	v_lshrrev_b32_e32 v17, 16, v144
	s_delay_alu instid0(VALU_DEP_1) | instskip(NEXT) | instid1(VALU_DEP_3)
	v_cvt_f32_f16_e32 v17, v17
	v_lshl_add_u32 v20, v16, 6, v61
	s_delay_alu instid0(VALU_DEP_2) | instskip(NEXT) | instid1(VALU_DEP_2)
	v_mul_f32_e32 v23, v0, v17
	v_lshlrev_b64_e32 v[20:21], 2, v[20:21]
	s_delay_alu instid0(VALU_DEP_1) | instskip(SKIP_1) | instid1(VALU_DEP_2)
	v_add_co_u32 v20, vcc_lo, s16, v20
	s_wait_alu 0xfffd
	v_add_co_ci_u32_e64 v21, null, s17, v21, vcc_lo
	global_store_b64 v[20:21], v[22:23], off
	s_and_saveexec_b32 s0, s5
	s_cbranch_execz .LBB0_22
; %bb.21:
	v_ashrrev_i32_e32 v17, 31, v16
	v_mov_b32_e32 v57, v1
	s_delay_alu instid0(VALU_DEP_2) | instskip(NEXT) | instid1(VALU_DEP_1)
	v_lshlrev_b64_e32 v[16:17], 3, v[16:17]
	v_add_co_u32 v16, vcc_lo, s18, v16
	s_wait_alu 0xfffd
	s_delay_alu instid0(VALU_DEP_2)
	v_add_co_ci_u32_e64 v17, null, s19, v17, vcc_lo
	global_store_b64 v[16:17], v[57:58], off
.LBB0_22:
	s_wait_alu 0xfffe
	s_or_b32 exec_lo, exec_lo, s0
	v_cmp_ne_u32_e32 vcc_lo, 1, v18
	v_mov_b32_e32 v16, 1.0
	s_cbranch_vccnz .LBB0_24
; %bb.23:
	v_div_scale_f32 v0, null, v56, v56, 1.0
	s_delay_alu instid0(VALU_DEP_1) | instskip(NEXT) | instid1(TRANS32_DEP_1)
	v_rcp_f32_e32 v1, v0
	v_fma_f32 v16, -v0, v1, 1.0
	s_delay_alu instid0(VALU_DEP_1) | instskip(SKIP_1) | instid1(VALU_DEP_1)
	v_fmac_f32_e32 v1, v16, v1
	v_div_scale_f32 v16, vcc_lo, 1.0, v56, 1.0
	v_mul_f32_e32 v17, v16, v1
	s_delay_alu instid0(VALU_DEP_1) | instskip(NEXT) | instid1(VALU_DEP_1)
	v_fma_f32 v20, -v0, v17, v16
	v_fmac_f32_e32 v17, v20, v1
	s_delay_alu instid0(VALU_DEP_1) | instskip(SKIP_1) | instid1(VALU_DEP_1)
	v_fma_f32 v0, -v0, v17, v16
	s_wait_alu 0xfffd
	v_div_fmas_f32 v0, v0, v1, v17
	s_delay_alu instid0(VALU_DEP_1)
	v_div_fixup_f32 v16, v0, v56, 1.0
.LBB0_24:
	s_add_co_i32 s14, s2, 2
	v_cvt_f32_f16_e64 v17, v143
	s_wait_alu 0xfffe
	v_dual_mov_b32 v21, 0 :: v_dual_add_nc_u32 v0, s14, v19
	s_delay_alu instid0(VALU_DEP_2) | instskip(NEXT) | instid1(VALU_DEP_2)
	v_mul_f32_e32 v22, v16, v17
	v_mad_co_u64_u32 v[0:1], null, s1, v0, s[4:5]
	v_lshrrev_b32_e32 v1, 16, v143
	s_delay_alu instid0(VALU_DEP_1) | instskip(NEXT) | instid1(VALU_DEP_3)
	v_cvt_f32_f16_e32 v1, v1
	v_lshl_add_u32 v20, v0, 6, v61
	s_delay_alu instid0(VALU_DEP_2) | instskip(NEXT) | instid1(VALU_DEP_2)
	v_mul_f32_e32 v23, v16, v1
	v_lshlrev_b64_e32 v[20:21], 2, v[20:21]
	s_delay_alu instid0(VALU_DEP_1) | instskip(SKIP_1) | instid1(VALU_DEP_2)
	v_add_co_u32 v16, vcc_lo, s16, v20
	s_wait_alu 0xfffd
	v_add_co_ci_u32_e64 v17, null, s17, v21, vcc_lo
	global_store_b64 v[16:17], v[22:23], off
	s_and_saveexec_b32 s0, s5
	s_cbranch_execz .LBB0_26
; %bb.25:
	v_ashrrev_i32_e32 v1, 31, v0
	v_mov_b32_e32 v55, v2
	s_delay_alu instid0(VALU_DEP_2) | instskip(NEXT) | instid1(VALU_DEP_1)
	v_lshlrev_b64_e32 v[0:1], 3, v[0:1]
	v_add_co_u32 v0, vcc_lo, s18, v0
	s_wait_alu 0xfffd
	s_delay_alu instid0(VALU_DEP_2)
	v_add_co_ci_u32_e64 v1, null, s19, v1, vcc_lo
	global_store_b64 v[0:1], v[55:56], off
.LBB0_26:
	s_wait_alu 0xfffe
	s_or_b32 exec_lo, exec_lo, s0
	v_cmp_ne_u32_e32 vcc_lo, 1, v18
	v_mov_b32_e32 v2, 1.0
	s_cbranch_vccnz .LBB0_28
; %bb.27:
	v_div_scale_f32 v0, null, v54, v54, 1.0
	s_delay_alu instid0(VALU_DEP_1) | instskip(NEXT) | instid1(TRANS32_DEP_1)
	v_rcp_f32_e32 v1, v0
	v_fma_f32 v2, -v0, v1, 1.0
	s_delay_alu instid0(VALU_DEP_1) | instskip(SKIP_1) | instid1(VALU_DEP_1)
	v_fmac_f32_e32 v1, v2, v1
	v_div_scale_f32 v2, vcc_lo, 1.0, v54, 1.0
	v_mul_f32_e32 v16, v2, v1
	s_delay_alu instid0(VALU_DEP_1) | instskip(NEXT) | instid1(VALU_DEP_1)
	v_fma_f32 v17, -v0, v16, v2
	v_fmac_f32_e32 v16, v17, v1
	s_delay_alu instid0(VALU_DEP_1) | instskip(SKIP_1) | instid1(VALU_DEP_1)
	v_fma_f32 v0, -v0, v16, v2
	s_wait_alu 0xfffd
	v_div_fmas_f32 v0, v0, v1, v16
	s_delay_alu instid0(VALU_DEP_1)
	v_div_fixup_f32 v2, v0, v54, 1.0
.LBB0_28:
	s_add_co_i32 s12, s2, 3
	v_cvt_f32_f16_e64 v20, v142
	v_dual_mov_b32 v17, 0 :: v_dual_add_nc_u32 v0, s12, v19
	s_delay_alu instid0(VALU_DEP_1) | instskip(SKIP_1) | instid1(VALU_DEP_1)
	v_mad_co_u64_u32 v[0:1], null, s1, v0, s[4:5]
	v_lshrrev_b32_e32 v1, 16, v142
	v_cvt_f32_f16_e32 v21, v1
	s_delay_alu instid0(VALU_DEP_3) | instskip(SKIP_1) | instid1(VALU_DEP_3)
	v_lshl_add_u32 v16, v0, 6, v61
	v_mul_f32_e32 v1, v2, v20
	v_mul_f32_e32 v2, v2, v21
	s_delay_alu instid0(VALU_DEP_3) | instskip(NEXT) | instid1(VALU_DEP_1)
	v_lshlrev_b64_e32 v[16:17], 2, v[16:17]
	v_add_co_u32 v16, vcc_lo, s16, v16
	s_wait_alu 0xfffd
	s_delay_alu instid0(VALU_DEP_2)
	v_add_co_ci_u32_e64 v17, null, s17, v17, vcc_lo
	global_store_b64 v[16:17], v[1:2], off
	s_and_saveexec_b32 s0, s5
	s_cbranch_execz .LBB0_30
; %bb.29:
	v_ashrrev_i32_e32 v1, 31, v0
	v_mov_b32_e32 v53, v3
	s_delay_alu instid0(VALU_DEP_2) | instskip(NEXT) | instid1(VALU_DEP_1)
	v_lshlrev_b64_e32 v[0:1], 3, v[0:1]
	v_add_co_u32 v0, vcc_lo, s18, v0
	s_wait_alu 0xfffd
	s_delay_alu instid0(VALU_DEP_2)
	v_add_co_ci_u32_e64 v1, null, s19, v1, vcc_lo
	global_store_b64 v[0:1], v[53:54], off
.LBB0_30:
	s_wait_alu 0xfffe
	s_or_b32 exec_lo, exec_lo, s0
	v_cmp_ne_u32_e32 vcc_lo, 1, v18
	v_mov_b32_e32 v2, 1.0
	s_cbranch_vccnz .LBB0_32
; %bb.31:
	v_div_scale_f32 v0, null, v52, v52, 1.0
	s_delay_alu instid0(VALU_DEP_1) | instskip(NEXT) | instid1(TRANS32_DEP_1)
	v_rcp_f32_e32 v1, v0
	v_fma_f32 v2, -v0, v1, 1.0
	s_delay_alu instid0(VALU_DEP_1) | instskip(SKIP_1) | instid1(VALU_DEP_1)
	v_fmac_f32_e32 v1, v2, v1
	v_div_scale_f32 v2, vcc_lo, 1.0, v52, 1.0
	v_mul_f32_e32 v3, v2, v1
	s_delay_alu instid0(VALU_DEP_1) | instskip(NEXT) | instid1(VALU_DEP_1)
	v_fma_f32 v16, -v0, v3, v2
	v_fmac_f32_e32 v3, v16, v1
	s_delay_alu instid0(VALU_DEP_1) | instskip(SKIP_1) | instid1(VALU_DEP_1)
	v_fma_f32 v0, -v0, v3, v2
	s_wait_alu 0xfffd
	v_div_fmas_f32 v0, v0, v1, v3
	s_delay_alu instid0(VALU_DEP_1)
	v_div_fixup_f32 v2, v0, v52, 1.0
.LBB0_32:
	s_add_co_i32 s10, s2, 4
	v_cvt_f32_f16_e64 v3, v141
	s_wait_alu 0xfffe
	v_dual_mov_b32 v17, 0 :: v_dual_add_nc_u32 v0, s10, v19
	s_delay_alu instid0(VALU_DEP_1) | instskip(SKIP_1) | instid1(VALU_DEP_1)
	v_mad_co_u64_u32 v[0:1], null, s1, v0, s[4:5]
	v_lshrrev_b32_e32 v1, 16, v141
	v_cvt_f32_f16_e32 v20, v1
	s_delay_alu instid0(VALU_DEP_3) | instskip(SKIP_1) | instid1(VALU_DEP_3)
	v_lshl_add_u32 v16, v0, 6, v61
	v_mul_f32_e32 v1, v2, v3
	v_mul_f32_e32 v2, v2, v20
	s_delay_alu instid0(VALU_DEP_3) | instskip(NEXT) | instid1(VALU_DEP_1)
	v_lshlrev_b64_e32 v[16:17], 2, v[16:17]
	v_add_co_u32 v16, vcc_lo, s16, v16
	s_wait_alu 0xfffd
	s_delay_alu instid0(VALU_DEP_2)
	v_add_co_ci_u32_e64 v17, null, s17, v17, vcc_lo
	global_store_b64 v[16:17], v[1:2], off
	s_and_saveexec_b32 s0, s5
	s_cbranch_execz .LBB0_34
; %bb.33:
	v_ashrrev_i32_e32 v1, 31, v0
	v_mov_b32_e32 v51, v4
	s_delay_alu instid0(VALU_DEP_2) | instskip(NEXT) | instid1(VALU_DEP_1)
	v_lshlrev_b64_e32 v[0:1], 3, v[0:1]
	v_add_co_u32 v0, vcc_lo, s18, v0
	s_wait_alu 0xfffd
	s_delay_alu instid0(VALU_DEP_2)
	v_add_co_ci_u32_e64 v1, null, s19, v1, vcc_lo
	global_store_b64 v[0:1], v[51:52], off
.LBB0_34:
	s_wait_alu 0xfffe
	s_or_b32 exec_lo, exec_lo, s0
	v_cmp_ne_u32_e32 vcc_lo, 1, v18
	v_mov_b32_e32 v2, 1.0
	s_cbranch_vccnz .LBB0_36
; %bb.35:
	v_div_scale_f32 v0, null, v50, v50, 1.0
	s_delay_alu instid0(VALU_DEP_1) | instskip(NEXT) | instid1(TRANS32_DEP_1)
	v_rcp_f32_e32 v1, v0
	v_fma_f32 v2, -v0, v1, 1.0
	s_delay_alu instid0(VALU_DEP_1) | instskip(SKIP_1) | instid1(VALU_DEP_1)
	v_fmac_f32_e32 v1, v2, v1
	v_div_scale_f32 v2, vcc_lo, 1.0, v50, 1.0
	v_mul_f32_e32 v3, v2, v1
	s_delay_alu instid0(VALU_DEP_1) | instskip(NEXT) | instid1(VALU_DEP_1)
	v_fma_f32 v4, -v0, v3, v2
	v_fmac_f32_e32 v3, v4, v1
	s_delay_alu instid0(VALU_DEP_1) | instskip(SKIP_1) | instid1(VALU_DEP_1)
	v_fma_f32 v0, -v0, v3, v2
	s_wait_alu 0xfffd
	v_div_fmas_f32 v0, v0, v1, v3
	s_delay_alu instid0(VALU_DEP_1)
	v_div_fixup_f32 v2, v0, v50, 1.0
.LBB0_36:
	s_add_co_i32 s8, s2, 5
	v_cvt_f32_f16_e64 v16, v140
	v_add_nc_u32_e32 v0, s8, v19
	v_mov_b32_e32 v4, 0
	s_delay_alu instid0(VALU_DEP_2) | instskip(SKIP_1) | instid1(VALU_DEP_1)
	v_mad_co_u64_u32 v[0:1], null, s1, v0, s[4:5]
	v_lshrrev_b32_e32 v1, 16, v140
	v_cvt_f32_f16_e32 v17, v1
	s_delay_alu instid0(VALU_DEP_3) | instskip(SKIP_1) | instid1(VALU_DEP_3)
	v_lshl_add_u32 v3, v0, 6, v61
	v_mul_f32_e32 v1, v2, v16
	v_mul_f32_e32 v2, v2, v17
	s_delay_alu instid0(VALU_DEP_3) | instskip(NEXT) | instid1(VALU_DEP_1)
	v_lshlrev_b64_e32 v[3:4], 2, v[3:4]
	v_add_co_u32 v3, vcc_lo, s16, v3
	s_wait_alu 0xfffd
	s_delay_alu instid0(VALU_DEP_2)
	v_add_co_ci_u32_e64 v4, null, s17, v4, vcc_lo
	global_store_b64 v[3:4], v[1:2], off
	s_and_saveexec_b32 s0, s5
	s_cbranch_execz .LBB0_38
; %bb.37:
	v_ashrrev_i32_e32 v1, 31, v0
	v_mov_b32_e32 v49, v5
	s_delay_alu instid0(VALU_DEP_2) | instskip(NEXT) | instid1(VALU_DEP_1)
	v_lshlrev_b64_e32 v[0:1], 3, v[0:1]
	v_add_co_u32 v0, vcc_lo, s18, v0
	s_wait_alu 0xfffd
	s_delay_alu instid0(VALU_DEP_2)
	v_add_co_ci_u32_e64 v1, null, s19, v1, vcc_lo
	global_store_b64 v[0:1], v[49:50], off
.LBB0_38:
	s_wait_alu 0xfffe
	s_or_b32 exec_lo, exec_lo, s0
	v_cmp_ne_u32_e32 vcc_lo, 1, v18
	v_mov_b32_e32 v2, 1.0
	s_cbranch_vccnz .LBB0_40
; %bb.39:
	v_div_scale_f32 v0, null, v48, v48, 1.0
	s_delay_alu instid0(VALU_DEP_1) | instskip(NEXT) | instid1(TRANS32_DEP_1)
	v_rcp_f32_e32 v1, v0
	v_fma_f32 v2, -v0, v1, 1.0
	s_delay_alu instid0(VALU_DEP_1) | instskip(SKIP_1) | instid1(VALU_DEP_1)
	v_fmac_f32_e32 v1, v2, v1
	v_div_scale_f32 v2, vcc_lo, 1.0, v48, 1.0
	v_mul_f32_e32 v3, v2, v1
	s_delay_alu instid0(VALU_DEP_1) | instskip(NEXT) | instid1(VALU_DEP_1)
	v_fma_f32 v4, -v0, v3, v2
	v_fmac_f32_e32 v3, v4, v1
	s_delay_alu instid0(VALU_DEP_1) | instskip(SKIP_1) | instid1(VALU_DEP_1)
	v_fma_f32 v0, -v0, v3, v2
	s_wait_alu 0xfffd
	v_div_fmas_f32 v0, v0, v1, v3
	s_delay_alu instid0(VALU_DEP_1)
	v_div_fixup_f32 v2, v0, v48, 1.0
.LBB0_40:
	s_add_co_i32 s6, s2, 6
	v_cvt_f32_f16_e64 v5, v139
	s_wait_alu 0xfffe
	v_add_nc_u32_e32 v0, s6, v19
	v_mov_b32_e32 v4, 0
	s_delay_alu instid0(VALU_DEP_2) | instskip(SKIP_1) | instid1(VALU_DEP_1)
	v_mad_co_u64_u32 v[0:1], null, s1, v0, s[4:5]
	v_lshrrev_b32_e32 v1, 16, v139
	v_cvt_f32_f16_e32 v16, v1
	s_delay_alu instid0(VALU_DEP_3) | instskip(SKIP_1) | instid1(VALU_DEP_3)
	v_lshl_add_u32 v3, v0, 6, v61
	v_mul_f32_e32 v1, v2, v5
	v_mul_f32_e32 v2, v2, v16
	s_delay_alu instid0(VALU_DEP_3) | instskip(NEXT) | instid1(VALU_DEP_1)
	v_lshlrev_b64_e32 v[3:4], 2, v[3:4]
	v_add_co_u32 v3, vcc_lo, s16, v3
	s_wait_alu 0xfffd
	s_delay_alu instid0(VALU_DEP_2)
	v_add_co_ci_u32_e64 v4, null, s17, v4, vcc_lo
	global_store_b64 v[3:4], v[1:2], off
	s_and_saveexec_b32 s0, s5
	s_cbranch_execz .LBB0_42
; %bb.41:
	v_ashrrev_i32_e32 v1, 31, v0
	v_mov_b32_e32 v47, v6
	s_delay_alu instid0(VALU_DEP_2) | instskip(NEXT) | instid1(VALU_DEP_1)
	v_lshlrev_b64_e32 v[0:1], 3, v[0:1]
	v_add_co_u32 v0, vcc_lo, s18, v0
	s_wait_alu 0xfffd
	s_delay_alu instid0(VALU_DEP_2)
	v_add_co_ci_u32_e64 v1, null, s19, v1, vcc_lo
	global_store_b64 v[0:1], v[47:48], off
.LBB0_42:
	s_wait_alu 0xfffe
	s_or_b32 exec_lo, exec_lo, s0
	v_cmp_ne_u32_e32 vcc_lo, 1, v18
	v_mov_b32_e32 v2, 1.0
	s_cbranch_vccnz .LBB0_44
; %bb.43:
	v_div_scale_f32 v0, null, v46, v46, 1.0
	s_delay_alu instid0(VALU_DEP_1) | instskip(NEXT) | instid1(TRANS32_DEP_1)
	v_rcp_f32_e32 v1, v0
	v_fma_f32 v2, -v0, v1, 1.0
	s_delay_alu instid0(VALU_DEP_1) | instskip(SKIP_1) | instid1(VALU_DEP_1)
	v_fmac_f32_e32 v1, v2, v1
	v_div_scale_f32 v2, vcc_lo, 1.0, v46, 1.0
	v_mul_f32_e32 v3, v2, v1
	s_delay_alu instid0(VALU_DEP_1) | instskip(NEXT) | instid1(VALU_DEP_1)
	v_fma_f32 v4, -v0, v3, v2
	v_fmac_f32_e32 v3, v4, v1
	s_delay_alu instid0(VALU_DEP_1) | instskip(SKIP_1) | instid1(VALU_DEP_1)
	v_fma_f32 v0, -v0, v3, v2
	s_wait_alu 0xfffd
	v_div_fmas_f32 v0, v0, v1, v3
	s_delay_alu instid0(VALU_DEP_1)
	v_div_fixup_f32 v2, v0, v46, 1.0
.LBB0_44:
	s_add_co_i32 s0, s2, 7
	v_cvt_f32_f16_e64 v5, v138
	s_wait_alu 0xfffe
	v_add_nc_u32_e32 v0, s0, v19
	v_mov_b32_e32 v4, 0
	s_delay_alu instid0(VALU_DEP_2) | instskip(SKIP_1) | instid1(VALU_DEP_1)
	v_mad_co_u64_u32 v[0:1], null, s1, v0, s[4:5]
	v_lshrrev_b32_e32 v1, 16, v138
	v_cvt_f32_f16_e32 v6, v1
	s_delay_alu instid0(VALU_DEP_3) | instskip(SKIP_1) | instid1(VALU_DEP_3)
	v_lshl_add_u32 v3, v0, 6, v61
	v_mul_f32_e32 v1, v2, v5
	v_mul_f32_e32 v2, v2, v6
	s_delay_alu instid0(VALU_DEP_3) | instskip(NEXT) | instid1(VALU_DEP_1)
	v_lshlrev_b64_e32 v[3:4], 2, v[3:4]
	v_add_co_u32 v3, vcc_lo, s16, v3
	s_wait_alu 0xfffd
	s_delay_alu instid0(VALU_DEP_2)
	v_add_co_ci_u32_e64 v4, null, s17, v4, vcc_lo
	global_store_b64 v[3:4], v[1:2], off
	s_and_saveexec_b32 s7, s5
	s_cbranch_execz .LBB0_46
; %bb.45:
	v_ashrrev_i32_e32 v1, 31, v0
	v_mov_b32_e32 v45, v7
	s_delay_alu instid0(VALU_DEP_2) | instskip(NEXT) | instid1(VALU_DEP_1)
	v_lshlrev_b64_e32 v[0:1], 3, v[0:1]
	v_add_co_u32 v0, vcc_lo, s18, v0
	s_wait_alu 0xfffd
	s_delay_alu instid0(VALU_DEP_2)
	v_add_co_ci_u32_e64 v1, null, s19, v1, vcc_lo
	global_store_b64 v[0:1], v[45:46], off
.LBB0_46:
	s_wait_alu 0xfffe
	s_or_b32 exec_lo, exec_lo, s7
	v_cmp_gt_i32_e32 vcc_lo, s22, v95
	s_and_b32 exec_lo, exec_lo, vcc_lo
	s_cbranch_execz .LBB0_86
; %bb.47:
	v_cmp_ne_u32_e32 vcc_lo, 1, v18
	v_mov_b32_e32 v2, 1.0
	s_cbranch_vccnz .LBB0_49
; %bb.48:
	v_div_scale_f32 v0, null, v44, v44, 1.0
	s_delay_alu instid0(VALU_DEP_1) | instskip(NEXT) | instid1(TRANS32_DEP_1)
	v_rcp_f32_e32 v1, v0
	v_fma_f32 v2, -v0, v1, 1.0
	s_delay_alu instid0(VALU_DEP_1) | instskip(SKIP_1) | instid1(VALU_DEP_1)
	v_fmac_f32_e32 v1, v2, v1
	v_div_scale_f32 v2, vcc_lo, 1.0, v44, 1.0
	v_mul_f32_e32 v3, v2, v1
	s_delay_alu instid0(VALU_DEP_1) | instskip(NEXT) | instid1(VALU_DEP_1)
	v_fma_f32 v4, -v0, v3, v2
	v_fmac_f32_e32 v3, v4, v1
	s_delay_alu instid0(VALU_DEP_1) | instskip(SKIP_1) | instid1(VALU_DEP_1)
	v_fma_f32 v0, -v0, v3, v2
	s_wait_alu 0xfffd
	v_div_fmas_f32 v0, v0, v1, v3
	s_delay_alu instid0(VALU_DEP_1)
	v_div_fixup_f32 v2, v0, v44, 1.0
.LBB0_49:
	v_add_nc_u32_e32 v0, s3, v93
	v_cvt_f32_f16_e64 v5, v137
	v_mov_b32_e32 v4, 0
	s_delay_alu instid0(VALU_DEP_3) | instskip(NEXT) | instid1(VALU_DEP_1)
	v_mad_co_u64_u32 v[0:1], null, v0, s23, s[2:3]
	v_mad_co_u64_u32 v[0:1], null, s1, v0, s[4:5]
	v_lshrrev_b32_e32 v1, 16, v137
	s_delay_alu instid0(VALU_DEP_1) | instskip(NEXT) | instid1(VALU_DEP_3)
	v_cvt_f32_f16_e32 v6, v1
	v_lshl_add_u32 v3, v0, 6, v61
	v_mul_f32_e32 v1, v2, v5
	s_delay_alu instid0(VALU_DEP_3) | instskip(NEXT) | instid1(VALU_DEP_3)
	v_mul_f32_e32 v2, v2, v6
	v_lshlrev_b64_e32 v[3:4], 2, v[3:4]
	s_delay_alu instid0(VALU_DEP_1) | instskip(SKIP_1) | instid1(VALU_DEP_2)
	v_add_co_u32 v3, vcc_lo, s16, v3
	s_wait_alu 0xfffd
	v_add_co_ci_u32_e64 v4, null, s17, v4, vcc_lo
	global_store_b64 v[3:4], v[1:2], off
	s_and_saveexec_b32 s2, s5
	s_cbranch_execz .LBB0_51
; %bb.50:
	v_ashrrev_i32_e32 v1, 31, v0
	v_mov_b32_e32 v43, v8
	s_delay_alu instid0(VALU_DEP_2) | instskip(NEXT) | instid1(VALU_DEP_1)
	v_lshlrev_b64_e32 v[0:1], 3, v[0:1]
	v_add_co_u32 v0, vcc_lo, s18, v0
	s_wait_alu 0xfffd
	s_delay_alu instid0(VALU_DEP_2)
	v_add_co_ci_u32_e64 v1, null, s19, v1, vcc_lo
	global_store_b64 v[0:1], v[43:44], off
.LBB0_51:
	s_wait_alu 0xfffe
	s_or_b32 exec_lo, exec_lo, s2
	v_cmp_gt_i32_e32 vcc_lo, s22, v94
	s_and_b32 exec_lo, exec_lo, vcc_lo
	s_cbranch_execz .LBB0_86
; %bb.52:
	v_cmp_ne_u32_e32 vcc_lo, 1, v18
	v_mov_b32_e32 v2, 1.0
	s_cbranch_vccnz .LBB0_54
; %bb.53:
	v_div_scale_f32 v0, null, v28, v28, 1.0
	s_delay_alu instid0(VALU_DEP_1) | instskip(NEXT) | instid1(TRANS32_DEP_1)
	v_rcp_f32_e32 v1, v0
	v_fma_f32 v2, -v0, v1, 1.0
	s_delay_alu instid0(VALU_DEP_1) | instskip(SKIP_1) | instid1(VALU_DEP_1)
	v_fmac_f32_e32 v1, v2, v1
	v_div_scale_f32 v2, vcc_lo, 1.0, v28, 1.0
	v_mul_f32_e32 v3, v2, v1
	s_delay_alu instid0(VALU_DEP_1) | instskip(NEXT) | instid1(VALU_DEP_1)
	v_fma_f32 v4, -v0, v3, v2
	v_fmac_f32_e32 v3, v4, v1
	s_delay_alu instid0(VALU_DEP_1) | instskip(SKIP_1) | instid1(VALU_DEP_1)
	v_fma_f32 v0, -v0, v3, v2
	s_wait_alu 0xfffd
	v_div_fmas_f32 v0, v0, v1, v3
	s_delay_alu instid0(VALU_DEP_1)
	v_div_fixup_f32 v2, v0, v28, 1.0
.LBB0_54:
	v_cvt_f32_f16_e64 v5, v136
	v_add_nc_u32_e32 v0, s3, v92
	v_mov_b32_e32 v4, 0
	s_delay_alu instid0(VALU_DEP_2) | instskip(NEXT) | instid1(VALU_DEP_1)
	v_mad_co_u64_u32 v[0:1], null, v0, s23, s[20:21]
	v_mad_co_u64_u32 v[0:1], null, s1, v0, s[4:5]
	v_lshrrev_b32_e32 v1, 16, v136
	s_delay_alu instid0(VALU_DEP_1) | instskip(NEXT) | instid1(VALU_DEP_3)
	v_cvt_f32_f16_e32 v6, v1
	v_lshl_add_u32 v3, v0, 6, v61
	v_mul_f32_e32 v1, v2, v5
	s_delay_alu instid0(VALU_DEP_3) | instskip(NEXT) | instid1(VALU_DEP_3)
	v_mul_f32_e32 v2, v2, v6
	v_lshlrev_b64_e32 v[3:4], 2, v[3:4]
	s_delay_alu instid0(VALU_DEP_1) | instskip(SKIP_1) | instid1(VALU_DEP_2)
	v_add_co_u32 v3, vcc_lo, s16, v3
	s_wait_alu 0xfffd
	v_add_co_ci_u32_e64 v4, null, s17, v4, vcc_lo
	global_store_b64 v[3:4], v[1:2], off
	s_and_saveexec_b32 s2, s5
	s_cbranch_execz .LBB0_56
; %bb.55:
	v_ashrrev_i32_e32 v1, 31, v0
	v_mov_b32_e32 v27, v9
	s_delay_alu instid0(VALU_DEP_2) | instskip(NEXT) | instid1(VALU_DEP_1)
	v_lshlrev_b64_e32 v[0:1], 3, v[0:1]
	v_add_co_u32 v0, vcc_lo, s18, v0
	s_wait_alu 0xfffd
	s_delay_alu instid0(VALU_DEP_2)
	v_add_co_ci_u32_e64 v1, null, s19, v1, vcc_lo
	global_store_b64 v[0:1], v[27:28], off
.LBB0_56:
	s_wait_alu 0xfffe
	s_or_b32 exec_lo, exec_lo, s2
	v_cmp_gt_i32_e32 vcc_lo, s22, v91
	s_and_b32 exec_lo, exec_lo, vcc_lo
	s_cbranch_execz .LBB0_86
; %bb.57:
	v_cmp_ne_u32_e32 vcc_lo, 1, v18
	v_mov_b32_e32 v2, 1.0
	s_cbranch_vccnz .LBB0_59
; %bb.58:
	v_div_scale_f32 v0, null, v29, v29, 1.0
	s_delay_alu instid0(VALU_DEP_1) | instskip(NEXT) | instid1(TRANS32_DEP_1)
	v_rcp_f32_e32 v1, v0
	v_fma_f32 v2, -v0, v1, 1.0
	s_delay_alu instid0(VALU_DEP_1) | instskip(SKIP_1) | instid1(VALU_DEP_1)
	v_fmac_f32_e32 v1, v2, v1
	v_div_scale_f32 v2, vcc_lo, 1.0, v29, 1.0
	v_mul_f32_e32 v3, v2, v1
	s_delay_alu instid0(VALU_DEP_1) | instskip(NEXT) | instid1(VALU_DEP_1)
	v_fma_f32 v4, -v0, v3, v2
	v_fmac_f32_e32 v3, v4, v1
	s_delay_alu instid0(VALU_DEP_1) | instskip(SKIP_1) | instid1(VALU_DEP_1)
	v_fma_f32 v0, -v0, v3, v2
	s_wait_alu 0xfffd
	v_div_fmas_f32 v0, v0, v1, v3
	s_delay_alu instid0(VALU_DEP_1)
	v_div_fixup_f32 v2, v0, v29, 1.0
.LBB0_59:
	v_cvt_f32_f16_e64 v5, v135
	v_add_nc_u32_e32 v0, s3, v90
	v_mov_b32_e32 v4, 0
	s_delay_alu instid0(VALU_DEP_2) | instskip(NEXT) | instid1(VALU_DEP_1)
	;; [unrolled: 60-line block ×7, first 2 shown]
	v_mad_co_u64_u32 v[0:1], null, v0, s23, s[0:1]
	v_mad_co_u64_u32 v[0:1], null, s1, v0, s[4:5]
	v_lshrrev_b32_e32 v1, 16, v130
	s_delay_alu instid0(VALU_DEP_1) | instskip(NEXT) | instid1(VALU_DEP_3)
	v_cvt_f32_f16_e32 v6, v1
	v_lshl_add_u32 v3, v0, 6, v61
	v_mul_f32_e32 v1, v2, v5
	s_delay_alu instid0(VALU_DEP_3) | instskip(NEXT) | instid1(VALU_DEP_3)
	v_mul_f32_e32 v2, v2, v6
	v_lshlrev_b64_e32 v[3:4], 2, v[3:4]
	s_delay_alu instid0(VALU_DEP_1) | instskip(SKIP_1) | instid1(VALU_DEP_2)
	v_add_co_u32 v3, vcc_lo, s16, v3
	s_wait_alu 0xfffd
	v_add_co_ci_u32_e64 v4, null, s17, v4, vcc_lo
	global_store_b64 v[3:4], v[1:2], off
	s_and_b32 exec_lo, exec_lo, s5
	s_cbranch_execz .LBB0_86
; %bb.85:
	v_ashrrev_i32_e32 v1, 31, v0
	v_mov_b32_e32 v33, v15
	s_delay_alu instid0(VALU_DEP_2) | instskip(NEXT) | instid1(VALU_DEP_1)
	v_lshlrev_b64_e32 v[0:1], 3, v[0:1]
	v_add_co_u32 v0, vcc_lo, s18, v0
	s_wait_alu 0xfffd
	s_delay_alu instid0(VALU_DEP_2)
	v_add_co_ci_u32_e64 v1, null, s19, v1, vcc_lo
	global_store_b64 v[0:1], v[33:34], off
.LBB0_86:
	s_nop 0
	s_sendmsg sendmsg(MSG_DEALLOC_VGPRS)
	s_endpgm
	.section	.rodata,"a",@progbits
	.p2align	6, 0x0
	.amdhsa_kernel _ZL15flash_attn_tileILi64ELi64ELi8ELi8ELb0EEvPKcS1_S1_S1_S1_PKiPfP15HIP_vector_typeIfLj2EEffffjfiS5_IjLj3EEiiiiiiiiiiiliiliiiiil
		.amdhsa_group_segment_fixed_size 25600
		.amdhsa_private_segment_fixed_size 0
		.amdhsa_kernarg_size 464
		.amdhsa_user_sgpr_count 2
		.amdhsa_user_sgpr_dispatch_ptr 0
		.amdhsa_user_sgpr_queue_ptr 0
		.amdhsa_user_sgpr_kernarg_segment_ptr 1
		.amdhsa_user_sgpr_dispatch_id 0
		.amdhsa_user_sgpr_private_segment_size 0
		.amdhsa_wavefront_size32 1
		.amdhsa_uses_dynamic_stack 0
		.amdhsa_enable_private_segment 0
		.amdhsa_system_sgpr_workgroup_id_x 1
		.amdhsa_system_sgpr_workgroup_id_y 1
		.amdhsa_system_sgpr_workgroup_id_z 1
		.amdhsa_system_sgpr_workgroup_info 0
		.amdhsa_system_vgpr_workitem_id 1
		.amdhsa_next_free_vgpr 255
		.amdhsa_next_free_sgpr 54
		.amdhsa_reserve_vcc 1
		.amdhsa_float_round_mode_32 0
		.amdhsa_float_round_mode_16_64 0
		.amdhsa_float_denorm_mode_32 3
		.amdhsa_float_denorm_mode_16_64 3
		.amdhsa_fp16_overflow 0
		.amdhsa_workgroup_processor_mode 1
		.amdhsa_memory_ordered 1
		.amdhsa_forward_progress 1
		.amdhsa_inst_pref_size 255
		.amdhsa_round_robin_scheduling 0
		.amdhsa_exception_fp_ieee_invalid_op 0
		.amdhsa_exception_fp_denorm_src 0
		.amdhsa_exception_fp_ieee_div_zero 0
		.amdhsa_exception_fp_ieee_overflow 0
		.amdhsa_exception_fp_ieee_underflow 0
		.amdhsa_exception_fp_ieee_inexact 0
		.amdhsa_exception_int_div_zero 0
	.end_amdhsa_kernel
	.section	.text._ZL15flash_attn_tileILi64ELi64ELi8ELi8ELb0EEvPKcS1_S1_S1_S1_PKiPfP15HIP_vector_typeIfLj2EEffffjfiS5_IjLj3EEiiiiiiiiiiiliiliiiiil,"axG",@progbits,_ZL15flash_attn_tileILi64ELi64ELi8ELi8ELb0EEvPKcS1_S1_S1_S1_PKiPfP15HIP_vector_typeIfLj2EEffffjfiS5_IjLj3EEiiiiiiiiiiiliiliiiiil,comdat
.Lfunc_end0:
	.size	_ZL15flash_attn_tileILi64ELi64ELi8ELi8ELb0EEvPKcS1_S1_S1_S1_PKiPfP15HIP_vector_typeIfLj2EEffffjfiS5_IjLj3EEiiiiiiiiiiiliiliiiiil, .Lfunc_end0-_ZL15flash_attn_tileILi64ELi64ELi8ELi8ELb0EEvPKcS1_S1_S1_S1_PKiPfP15HIP_vector_typeIfLj2EEffffjfiS5_IjLj3EEiiiiiiiiiiiliiliiiiil
                                        ; -- End function
	.set _ZL15flash_attn_tileILi64ELi64ELi8ELi8ELb0EEvPKcS1_S1_S1_S1_PKiPfP15HIP_vector_typeIfLj2EEffffjfiS5_IjLj3EEiiiiiiiiiiiliiliiiiil.num_vgpr, 255
	.set _ZL15flash_attn_tileILi64ELi64ELi8ELi8ELb0EEvPKcS1_S1_S1_S1_PKiPfP15HIP_vector_typeIfLj2EEffffjfiS5_IjLj3EEiiiiiiiiiiiliiliiiiil.num_agpr, 0
	.set _ZL15flash_attn_tileILi64ELi64ELi8ELi8ELb0EEvPKcS1_S1_S1_S1_PKiPfP15HIP_vector_typeIfLj2EEffffjfiS5_IjLj3EEiiiiiiiiiiiliiliiiiil.numbered_sgpr, 54
	.set _ZL15flash_attn_tileILi64ELi64ELi8ELi8ELb0EEvPKcS1_S1_S1_S1_PKiPfP15HIP_vector_typeIfLj2EEffffjfiS5_IjLj3EEiiiiiiiiiiiliiliiiiil.num_named_barrier, 0
	.set _ZL15flash_attn_tileILi64ELi64ELi8ELi8ELb0EEvPKcS1_S1_S1_S1_PKiPfP15HIP_vector_typeIfLj2EEffffjfiS5_IjLj3EEiiiiiiiiiiiliiliiiiil.private_seg_size, 0
	.set _ZL15flash_attn_tileILi64ELi64ELi8ELi8ELb0EEvPKcS1_S1_S1_S1_PKiPfP15HIP_vector_typeIfLj2EEffffjfiS5_IjLj3EEiiiiiiiiiiiliiliiiiil.uses_vcc, 1
	.set _ZL15flash_attn_tileILi64ELi64ELi8ELi8ELb0EEvPKcS1_S1_S1_S1_PKiPfP15HIP_vector_typeIfLj2EEffffjfiS5_IjLj3EEiiiiiiiiiiiliiliiiiil.uses_flat_scratch, 0
	.set _ZL15flash_attn_tileILi64ELi64ELi8ELi8ELb0EEvPKcS1_S1_S1_S1_PKiPfP15HIP_vector_typeIfLj2EEffffjfiS5_IjLj3EEiiiiiiiiiiiliiliiiiil.has_dyn_sized_stack, 0
	.set _ZL15flash_attn_tileILi64ELi64ELi8ELi8ELb0EEvPKcS1_S1_S1_S1_PKiPfP15HIP_vector_typeIfLj2EEffffjfiS5_IjLj3EEiiiiiiiiiiiliiliiiiil.has_recursion, 0
	.set _ZL15flash_attn_tileILi64ELi64ELi8ELi8ELb0EEvPKcS1_S1_S1_S1_PKiPfP15HIP_vector_typeIfLj2EEffffjfiS5_IjLj3EEiiiiiiiiiiiliiliiiiil.has_indirect_call, 0
	.section	.AMDGPU.csdata,"",@progbits
; Kernel info:
; codeLenInByte = 50692
; TotalNumSgprs: 56
; NumVgprs: 255
; ScratchSize: 0
; MemoryBound: 0
; FloatMode: 240
; IeeeMode: 1
; LDSByteSize: 25600 bytes/workgroup (compile time only)
; SGPRBlocks: 0
; VGPRBlocks: 31
; NumSGPRsForWavesPerEU: 56
; NumVGPRsForWavesPerEU: 255
; Occupancy: 5
; WaveLimiterHint : 0
; COMPUTE_PGM_RSRC2:SCRATCH_EN: 0
; COMPUTE_PGM_RSRC2:USER_SGPR: 2
; COMPUTE_PGM_RSRC2:TRAP_HANDLER: 0
; COMPUTE_PGM_RSRC2:TGID_X_EN: 1
; COMPUTE_PGM_RSRC2:TGID_Y_EN: 1
; COMPUTE_PGM_RSRC2:TGID_Z_EN: 1
; COMPUTE_PGM_RSRC2:TIDIG_COMP_CNT: 1
	.section	.text._ZL25flash_attn_mask_to_KV_maxILi8EEvPK7__half2Piiii,"axG",@progbits,_ZL25flash_attn_mask_to_KV_maxILi8EEvPK7__half2Piiii,comdat
	.globl	_ZL25flash_attn_mask_to_KV_maxILi8EEvPK7__half2Piiii ; -- Begin function _ZL25flash_attn_mask_to_KV_maxILi8EEvPK7__half2Piiii
	.p2align	8
	.type	_ZL25flash_attn_mask_to_KV_maxILi8EEvPK7__half2Piiii,@function
_ZL25flash_attn_mask_to_KV_maxILi8EEvPK7__half2Piiii: ; @_ZL25flash_attn_mask_to_KV_maxILi8EEvPK7__half2Piiii
; %bb.0:
	s_load_b64 s[8:9], s[0:1], 0x0
	s_mov_b32 s2, exec_lo
	v_cmpx_gt_u32_e32 32, v0
; %bb.1:
	v_dual_mov_b32 v2, 1 :: v_dual_lshlrev_b32 v1, 2, v0
	ds_store_b32 v1, v2
; %bb.2:
	s_or_b32 exec_lo, exec_lo, s2
	s_clause 0x2
	s_load_b96 s[4:6], s[0:1], 0x10
	s_load_b64 s[2:3], s[0:1], 0x8
	s_load_b32 s1, s[0:1], 0x20
	v_dual_mov_b32 v2, 0 :: v_dual_and_b32 v1, 31, v0
	v_lshrrev_b32_e32 v5, 3, v0
	s_wait_dscnt 0x0
	s_barrier_signal -1
	s_delay_alu instid0(VALU_DEP_2)
	v_lshlrev_b32_e32 v6, 2, v1
	s_barrier_wait -1
	global_inv scope:SCOPE_SE
	s_wait_kmcnt 0x0
	s_mul_i32 s0, ttmp9, s5
	s_mul_i32 s6, s6, ttmp7
	s_lshl_b32 s0, s0, 3
	s_delay_alu instid0(SALU_CYCLE_1) | instskip(SKIP_2) | instid1(SALU_CYCLE_1)
	s_add_co_i32 s6, s6, s0
	v_cmp_eq_u32_e64 s0, 0, v1
	s_ashr_i32 s7, s6, 31
	s_lshl_b64 s[6:7], s[6:7], 2
	s_delay_alu instid0(SALU_CYCLE_1)
	s_add_nc_u64 s[6:7], s[8:9], s[6:7]
	s_lshl_b32 s8, s4, 8
	s_branch .LBB1_4
.LBB1_3:                                ;   in Loop: Header=BB1_4 Depth=1
	s_wait_alu 0xfffe
	s_or_b32 exec_lo, exec_lo, s9
	s_wait_dscnt 0x0
	s_barrier_signal -1
	s_barrier_wait -1
	global_inv scope:SCOPE_SE
	ds_load_b32 v1, v6
	s_wait_loadcnt_dscnt 0x0
	s_barrier_signal -1
	s_barrier_wait -1
	global_inv scope:SCOPE_SE
	v_cmp_ne_u32_e32 vcc_lo, 0, v1
	s_cmp_lg_u32 vcc_lo, exec_lo
	s_cselect_b32 s9, -1, 0
	s_wait_alu 0xfffe
	s_and_b32 vcc_lo, exec_lo, s9
	s_wait_alu 0xfffe
	s_cbranch_vccnz .LBB1_36
.LBB1_4:                                ; =>This Inner Loop Header: Depth=1
	s_mov_b32 s4, s8
	s_addk_co_i32 s8, 0xff00
	s_wait_alu 0xfffe
	s_cmp_lt_i32 s8, 0
	s_cbranch_scc1 .LBB1_35
; %bb.5:                                ;   in Loop: Header=BB1_4 Depth=1
	s_lshr_b32 s9, s8, 1
	s_wait_alu 0xfffe
	v_add_nc_u32_e32 v1, s9, v0
	s_delay_alu instid0(VALU_DEP_1) | instskip(NEXT) | instid1(VALU_DEP_1)
	v_lshlrev_b64_e32 v[3:4], 2, v[1:2]
	v_add_co_u32 v3, vcc_lo, s6, v3
	s_wait_alu 0xfffd
	s_delay_alu instid0(VALU_DEP_2) | instskip(SKIP_4) | instid1(VALU_DEP_2)
	v_add_co_ci_u32_e64 v4, null, s7, v4, vcc_lo
	global_load_b32 v3, v[3:4], off
	s_wait_loadcnt 0x0
	v_lshrrev_b32_e32 v4, 16, v3
	v_cmp_class_f16_e64 s9, v3, 0x204
	v_cmp_class_f16_e64 s10, v4, 0x204
	s_and_b32 s11, s9, s10
	s_mov_b32 s10, 0
	s_wait_alu 0xfffe
	s_and_saveexec_b32 s9, s11
	s_cbranch_execz .LBB1_33
; %bb.6:                                ;   in Loop: Header=BB1_4 Depth=1
	v_add_nc_u32_e32 v3, s5, v1
	s_mov_b32 s11, 0
	s_delay_alu instid0(VALU_DEP_1) | instskip(NEXT) | instid1(VALU_DEP_1)
	v_ashrrev_i32_e32 v4, 31, v3
	v_lshlrev_b64_e32 v[7:8], 2, v[3:4]
	s_delay_alu instid0(VALU_DEP_1) | instskip(SKIP_1) | instid1(VALU_DEP_2)
	v_add_co_u32 v7, vcc_lo, s6, v7
	s_wait_alu 0xfffd
	v_add_co_ci_u32_e64 v8, null, s7, v8, vcc_lo
	global_load_b32 v1, v[7:8], off
	s_wait_loadcnt 0x0
	v_cmp_class_f16_e64 s12, v1, 0x204
	s_and_saveexec_b32 s10, s12
	s_cbranch_execz .LBB1_32
; %bb.7:                                ;   in Loop: Header=BB1_4 Depth=1
	v_lshrrev_b32_e32 v1, 16, v1
	s_mov_b32 s12, 0
	s_delay_alu instid0(VALU_DEP_1)
	v_cmp_class_f16_e64 s13, v1, 0x204
	s_and_saveexec_b32 s11, s13
	s_cbranch_execz .LBB1_31
; %bb.8:                                ;   in Loop: Header=BB1_4 Depth=1
	v_add_nc_u32_e32 v3, s5, v3
	s_mov_b32 s13, 0
	s_delay_alu instid0(VALU_DEP_1) | instskip(NEXT) | instid1(VALU_DEP_1)
	v_ashrrev_i32_e32 v4, 31, v3
	v_lshlrev_b64_e32 v[7:8], 2, v[3:4]
	s_delay_alu instid0(VALU_DEP_1) | instskip(SKIP_1) | instid1(VALU_DEP_2)
	v_add_co_u32 v7, vcc_lo, s6, v7
	s_wait_alu 0xfffd
	v_add_co_ci_u32_e64 v8, null, s7, v8, vcc_lo
	global_load_b32 v1, v[7:8], off
	s_wait_loadcnt 0x0
	v_cmp_class_f16_e64 s14, v1, 0x204
	s_and_saveexec_b32 s12, s14
	s_cbranch_execz .LBB1_30
; %bb.9:                                ;   in Loop: Header=BB1_4 Depth=1
	v_lshrrev_b32_e32 v1, 16, v1
	s_mov_b32 s14, 0
	s_delay_alu instid0(VALU_DEP_1)
	v_cmp_class_f16_e64 s15, v1, 0x204
	s_and_saveexec_b32 s13, s15
	s_cbranch_execz .LBB1_29
; %bb.10:                               ;   in Loop: Header=BB1_4 Depth=1
	v_add_nc_u32_e32 v3, s5, v3
	s_mov_b32 s15, 0
	s_delay_alu instid0(VALU_DEP_1) | instskip(NEXT) | instid1(VALU_DEP_1)
	v_ashrrev_i32_e32 v4, 31, v3
	v_lshlrev_b64_e32 v[7:8], 2, v[3:4]
	s_delay_alu instid0(VALU_DEP_1) | instskip(SKIP_1) | instid1(VALU_DEP_2)
	v_add_co_u32 v7, vcc_lo, s6, v7
	s_wait_alu 0xfffd
	v_add_co_ci_u32_e64 v8, null, s7, v8, vcc_lo
	global_load_b32 v1, v[7:8], off
	s_wait_loadcnt 0x0
	v_cmp_class_f16_e64 s16, v1, 0x204
	s_and_saveexec_b32 s14, s16
	s_cbranch_execz .LBB1_28
; %bb.11:                               ;   in Loop: Header=BB1_4 Depth=1
	v_lshrrev_b32_e32 v1, 16, v1
	s_mov_b32 s16, 0
	s_delay_alu instid0(VALU_DEP_1)
	v_cmp_class_f16_e64 s17, v1, 0x204
	s_and_saveexec_b32 s15, s17
	s_cbranch_execz .LBB1_27
; %bb.12:                               ;   in Loop: Header=BB1_4 Depth=1
	v_add_nc_u32_e32 v3, s5, v3
	s_mov_b32 s17, 0
	s_delay_alu instid0(VALU_DEP_1) | instskip(NEXT) | instid1(VALU_DEP_1)
	v_ashrrev_i32_e32 v4, 31, v3
	v_lshlrev_b64_e32 v[7:8], 2, v[3:4]
	s_delay_alu instid0(VALU_DEP_1) | instskip(SKIP_1) | instid1(VALU_DEP_2)
	v_add_co_u32 v7, vcc_lo, s6, v7
	s_wait_alu 0xfffd
	v_add_co_ci_u32_e64 v8, null, s7, v8, vcc_lo
	global_load_b32 v1, v[7:8], off
	s_wait_loadcnt 0x0
	v_cmp_class_f16_e64 s18, v1, 0x204
	s_and_saveexec_b32 s16, s18
	s_cbranch_execz .LBB1_26
; %bb.13:                               ;   in Loop: Header=BB1_4 Depth=1
	;; [unrolled: 22-line block ×4, first 2 shown]
	v_lshrrev_b32_e32 v1, 16, v1
	s_mov_b32 s22, 0
	s_delay_alu instid0(VALU_DEP_1)
	v_cmp_class_f16_e64 s23, v1, 0x204
	s_and_saveexec_b32 s21, s23
	s_cbranch_execz .LBB1_21
; %bb.18:                               ;   in Loop: Header=BB1_4 Depth=1
	v_add_nc_u32_e32 v3, s5, v3
	s_delay_alu instid0(VALU_DEP_1) | instskip(NEXT) | instid1(VALU_DEP_1)
	v_ashrrev_i32_e32 v4, 31, v3
	v_lshlrev_b64_e32 v[3:4], 2, v[3:4]
	s_delay_alu instid0(VALU_DEP_1) | instskip(SKIP_1) | instid1(VALU_DEP_2)
	v_add_co_u32 v3, vcc_lo, s6, v3
	s_wait_alu 0xfffd
	v_add_co_ci_u32_e64 v4, null, s7, v4, vcc_lo
	global_load_b32 v1, v[3:4], off
	s_wait_loadcnt 0x0
	v_cmp_class_f16_e64 s24, v1, 0x204
	s_and_saveexec_b32 s23, s24
; %bb.19:                               ;   in Loop: Header=BB1_4 Depth=1
	v_lshrrev_b32_e32 v1, 16, v1
	s_delay_alu instid0(VALU_DEP_1)
	v_cmp_class_f16_e64 s22, v1, 0x204
	s_and_b32 s22, s22, exec_lo
; %bb.20:                               ;   in Loop: Header=BB1_4 Depth=1
	s_or_b32 exec_lo, exec_lo, s23
	s_delay_alu instid0(SALU_CYCLE_1)
	s_and_b32 s22, s22, exec_lo
.LBB1_21:                               ;   in Loop: Header=BB1_4 Depth=1
	s_or_b32 exec_lo, exec_lo, s21
	s_delay_alu instid0(SALU_CYCLE_1)
	s_and_b32 s21, s22, exec_lo
.LBB1_22:                               ;   in Loop: Header=BB1_4 Depth=1
	s_or_b32 exec_lo, exec_lo, s20
	s_delay_alu instid0(SALU_CYCLE_1)
	s_and_b32 s20, s21, exec_lo
.LBB1_23:                               ;   in Loop: Header=BB1_4 Depth=1
	s_or_b32 exec_lo, exec_lo, s19
	s_delay_alu instid0(SALU_CYCLE_1)
	s_and_b32 s19, s20, exec_lo
.LBB1_24:                               ;   in Loop: Header=BB1_4 Depth=1
	s_or_b32 exec_lo, exec_lo, s18
	s_delay_alu instid0(SALU_CYCLE_1)
	s_and_b32 s18, s19, exec_lo
.LBB1_25:                               ;   in Loop: Header=BB1_4 Depth=1
	s_or_b32 exec_lo, exec_lo, s17
	s_delay_alu instid0(SALU_CYCLE_1)
	s_and_b32 s17, s18, exec_lo
.LBB1_26:                               ;   in Loop: Header=BB1_4 Depth=1
	s_or_b32 exec_lo, exec_lo, s16
	s_delay_alu instid0(SALU_CYCLE_1)
	s_and_b32 s16, s17, exec_lo
.LBB1_27:                               ;   in Loop: Header=BB1_4 Depth=1
	s_or_b32 exec_lo, exec_lo, s15
	s_delay_alu instid0(SALU_CYCLE_1)
	s_and_b32 s15, s16, exec_lo
.LBB1_28:                               ;   in Loop: Header=BB1_4 Depth=1
	s_or_b32 exec_lo, exec_lo, s14
	s_delay_alu instid0(SALU_CYCLE_1)
	s_and_b32 s14, s15, exec_lo
.LBB1_29:                               ;   in Loop: Header=BB1_4 Depth=1
	s_or_b32 exec_lo, exec_lo, s13
	s_delay_alu instid0(SALU_CYCLE_1)
	s_and_b32 s13, s14, exec_lo
.LBB1_30:                               ;   in Loop: Header=BB1_4 Depth=1
	s_or_b32 exec_lo, exec_lo, s12
	s_delay_alu instid0(SALU_CYCLE_1)
	s_and_b32 s12, s13, exec_lo
.LBB1_31:                               ;   in Loop: Header=BB1_4 Depth=1
	s_wait_alu 0xfffe
	s_or_b32 exec_lo, exec_lo, s11
	s_delay_alu instid0(SALU_CYCLE_1)
	s_and_b32 s11, s12, exec_lo
.LBB1_32:                               ;   in Loop: Header=BB1_4 Depth=1
	s_wait_alu 0xfffe
	s_or_b32 exec_lo, exec_lo, s10
	s_delay_alu instid0(SALU_CYCLE_1)
	s_and_b32 s10, s11, exec_lo
.LBB1_33:                               ;   in Loop: Header=BB1_4 Depth=1
	s_wait_alu 0xfffe
	s_or_b32 exec_lo, exec_lo, s9
	v_cndmask_b32_e64 v1, 0, 1, s10
	s_mov_b32 s11, exec_lo
	s_delay_alu instid0(VALU_DEP_1)
	v_cmp_ne_u32_e32 vcc_lo, 0, v1
	s_and_saveexec_b32 s9, s0
	s_cbranch_execz .LBB1_3
; %bb.34:                               ;   in Loop: Header=BB1_4 Depth=1
	s_wait_alu 0xfffe
	s_cmp_eq_u32 vcc_lo, s11
	s_cselect_b32 s10, -1, 0
	s_wait_alu 0xfffe
	v_cndmask_b32_e64 v1, 0, 1, s10
	ds_store_b32 v5, v1
	s_branch .LBB1_3
.LBB1_35:                               ;   in Loop: Header=BB1_4 Depth=1
	s_cbranch_execz .LBB1_4
.LBB1_36:
	s_mov_b32 s0, exec_lo
	v_cmpx_eq_u32_e32 0, v0
	s_cbranch_execz .LBB1_38
; %bb.37:
	s_mul_i32 s0, s1, ttmp7
	v_dual_mov_b32 v0, 0 :: v_dual_mov_b32 v1, s4
	s_add_co_i32 s0, s0, ttmp9
	s_delay_alu instid0(SALU_CYCLE_1) | instskip(NEXT) | instid1(SALU_CYCLE_1)
	s_ashr_i32 s1, s0, 31
	s_lshl_b64 s[0:1], s[0:1], 2
	s_delay_alu instid0(SALU_CYCLE_1)
	s_add_nc_u64 s[0:1], s[2:3], s[0:1]
	global_store_b32 v0, v1, s[0:1]
.LBB1_38:
	s_endpgm
	.section	.rodata,"a",@progbits
	.p2align	6, 0x0
	.amdhsa_kernel _ZL25flash_attn_mask_to_KV_maxILi8EEvPK7__half2Piiii
		.amdhsa_group_segment_fixed_size 128
		.amdhsa_private_segment_fixed_size 0
		.amdhsa_kernarg_size 288
		.amdhsa_user_sgpr_count 2
		.amdhsa_user_sgpr_dispatch_ptr 0
		.amdhsa_user_sgpr_queue_ptr 0
		.amdhsa_user_sgpr_kernarg_segment_ptr 1
		.amdhsa_user_sgpr_dispatch_id 0
		.amdhsa_user_sgpr_private_segment_size 0
		.amdhsa_wavefront_size32 1
		.amdhsa_uses_dynamic_stack 0
		.amdhsa_enable_private_segment 0
		.amdhsa_system_sgpr_workgroup_id_x 1
		.amdhsa_system_sgpr_workgroup_id_y 1
		.amdhsa_system_sgpr_workgroup_id_z 0
		.amdhsa_system_sgpr_workgroup_info 0
		.amdhsa_system_vgpr_workitem_id 0
		.amdhsa_next_free_vgpr 9
		.amdhsa_next_free_sgpr 25
		.amdhsa_reserve_vcc 1
		.amdhsa_float_round_mode_32 0
		.amdhsa_float_round_mode_16_64 0
		.amdhsa_float_denorm_mode_32 3
		.amdhsa_float_denorm_mode_16_64 3
		.amdhsa_fp16_overflow 0
		.amdhsa_workgroup_processor_mode 1
		.amdhsa_memory_ordered 1
		.amdhsa_forward_progress 1
		.amdhsa_inst_pref_size 12
		.amdhsa_round_robin_scheduling 0
		.amdhsa_exception_fp_ieee_invalid_op 0
		.amdhsa_exception_fp_denorm_src 0
		.amdhsa_exception_fp_ieee_div_zero 0
		.amdhsa_exception_fp_ieee_overflow 0
		.amdhsa_exception_fp_ieee_underflow 0
		.amdhsa_exception_fp_ieee_inexact 0
		.amdhsa_exception_int_div_zero 0
	.end_amdhsa_kernel
	.section	.text._ZL25flash_attn_mask_to_KV_maxILi8EEvPK7__half2Piiii,"axG",@progbits,_ZL25flash_attn_mask_to_KV_maxILi8EEvPK7__half2Piiii,comdat
.Lfunc_end1:
	.size	_ZL25flash_attn_mask_to_KV_maxILi8EEvPK7__half2Piiii, .Lfunc_end1-_ZL25flash_attn_mask_to_KV_maxILi8EEvPK7__half2Piiii
                                        ; -- End function
	.set _ZL25flash_attn_mask_to_KV_maxILi8EEvPK7__half2Piiii.num_vgpr, 9
	.set _ZL25flash_attn_mask_to_KV_maxILi8EEvPK7__half2Piiii.num_agpr, 0
	.set _ZL25flash_attn_mask_to_KV_maxILi8EEvPK7__half2Piiii.numbered_sgpr, 25
	.set _ZL25flash_attn_mask_to_KV_maxILi8EEvPK7__half2Piiii.num_named_barrier, 0
	.set _ZL25flash_attn_mask_to_KV_maxILi8EEvPK7__half2Piiii.private_seg_size, 0
	.set _ZL25flash_attn_mask_to_KV_maxILi8EEvPK7__half2Piiii.uses_vcc, 1
	.set _ZL25flash_attn_mask_to_KV_maxILi8EEvPK7__half2Piiii.uses_flat_scratch, 0
	.set _ZL25flash_attn_mask_to_KV_maxILi8EEvPK7__half2Piiii.has_dyn_sized_stack, 0
	.set _ZL25flash_attn_mask_to_KV_maxILi8EEvPK7__half2Piiii.has_recursion, 0
	.set _ZL25flash_attn_mask_to_KV_maxILi8EEvPK7__half2Piiii.has_indirect_call, 0
	.section	.AMDGPU.csdata,"",@progbits
; Kernel info:
; codeLenInByte = 1456
; TotalNumSgprs: 27
; NumVgprs: 9
; ScratchSize: 0
; MemoryBound: 0
; FloatMode: 240
; IeeeMode: 1
; LDSByteSize: 128 bytes/workgroup (compile time only)
; SGPRBlocks: 0
; VGPRBlocks: 1
; NumSGPRsForWavesPerEU: 27
; NumVGPRsForWavesPerEU: 9
; Occupancy: 16
; WaveLimiterHint : 0
; COMPUTE_PGM_RSRC2:SCRATCH_EN: 0
; COMPUTE_PGM_RSRC2:USER_SGPR: 2
; COMPUTE_PGM_RSRC2:TRAP_HANDLER: 0
; COMPUTE_PGM_RSRC2:TGID_X_EN: 1
; COMPUTE_PGM_RSRC2:TGID_Y_EN: 1
; COMPUTE_PGM_RSRC2:TGID_Z_EN: 0
; COMPUTE_PGM_RSRC2:TIDIG_COMP_CNT: 0
	.section	.text._ZL33flash_attn_stream_k_fixup_uniformILi64ELi8ELi8EEvPfPK15HIP_vector_typeIfLj2EEiiiiiiS1_IjLj3EES5_S5_,"axG",@progbits,_ZL33flash_attn_stream_k_fixup_uniformILi64ELi8ELi8EEvPfPK15HIP_vector_typeIfLj2EEiiiiiiS1_IjLj3EES5_S5_,comdat
	.globl	_ZL33flash_attn_stream_k_fixup_uniformILi64ELi8ELi8EEvPfPK15HIP_vector_typeIfLj2EEiiiiiiS1_IjLj3EES5_S5_ ; -- Begin function _ZL33flash_attn_stream_k_fixup_uniformILi64ELi8ELi8EEvPfPK15HIP_vector_typeIfLj2EEiiiiiiS1_IjLj3EES5_S5_
	.p2align	8
	.type	_ZL33flash_attn_stream_k_fixup_uniformILi64ELi8ELi8EEvPfPK15HIP_vector_typeIfLj2EEiiiiiiS1_IjLj3EES5_S5_,@function
_ZL33flash_attn_stream_k_fixup_uniformILi64ELi8ELi8EEvPfPK15HIP_vector_typeIfLj2EEiiiiiiS1_IjLj3EES5_S5_: ; @_ZL33flash_attn_stream_k_fixup_uniformILi64ELi8ELi8EEvPfPK15HIP_vector_typeIfLj2EEiiiiiiS1_IjLj3EES5_S5_
; %bb.0:
	s_clause 0x1
	s_load_b256 s[4:11], s[0:1], 0x1c
	s_load_b128 s[12:15], s[0:1], 0x3c
	s_wait_kmcnt 0x0
	s_mul_hi_u32 s2, s7, ttmp9
	s_delay_alu instid0(SALU_CYCLE_1) | instskip(NEXT) | instid1(SALU_CYCLE_1)
	s_add_co_i32 s2, ttmp9, s2
	s_lshr_b32 s2, s2, s8
	s_delay_alu instid0(SALU_CYCLE_1) | instskip(SKIP_2) | instid1(SALU_CYCLE_1)
	s_mul_i32 s3, s2, s9
	s_load_b64 s[8:9], s[0:1], 0x10
	s_sub_co_i32 s7, ttmp9, s3
	s_mul_hi_u32 s3, s7, s10
	s_delay_alu instid0(SALU_CYCLE_1) | instskip(NEXT) | instid1(SALU_CYCLE_1)
	s_add_co_i32 s3, s7, s3
	s_lshr_b32 s3, s3, s11
	s_delay_alu instid0(SALU_CYCLE_1) | instskip(NEXT) | instid1(SALU_CYCLE_1)
	s_mul_i32 s10, s3, s12
	s_sub_co_i32 s7, s7, s10
	s_delay_alu instid0(SALU_CYCLE_1) | instskip(NEXT) | instid1(SALU_CYCLE_1)
	s_mul_hi_u32 s10, s7, s13
	s_add_co_i32 s10, s7, s10
	s_delay_alu instid0(SALU_CYCLE_1) | instskip(NEXT) | instid1(SALU_CYCLE_1)
	s_lshr_b32 s12, s10, s14
	s_mul_i32 s10, s12, s15
	s_lshl_b32 s12, s12, 3
	s_sub_co_i32 s11, s7, s10
	s_and_b32 s7, ttmp7, 0xffff
	s_lshl_b32 s13, s11, 3
	s_lshr_b32 s10, ttmp7, 16
	s_add_co_i32 s13, s13, s7
	s_wait_kmcnt 0x0
	s_cmp_lt_i32 s13, s8
	s_cselect_b32 s13, -1, 0
	s_add_co_i32 s14, s12, s10
	s_delay_alu instid0(SALU_CYCLE_1) | instskip(SKIP_1) | instid1(SALU_CYCLE_1)
	s_cmp_lt_i32 s14, s5
	s_cselect_b32 s14, -1, 0
	s_and_b32 s13, s13, s14
	s_delay_alu instid0(SALU_CYCLE_1)
	s_and_not1_b32 vcc_lo, exec_lo, s13
	s_cbranch_vccnz .LBB2_6
; %bb.1:
	s_mul_i32 s2, s2, s8
	s_mul_i32 s5, s3, s5
	s_add_co_i32 s2, s2, s7
	s_delay_alu instid0(SALU_CYCLE_1) | instskip(NEXT) | instid1(SALU_CYCLE_1)
	s_mul_i32 s2, s2, s9
	s_add_co_i32 s8, s2, s10
	s_load_b128 s[0:3], s[0:1], 0x0
	s_add_co_i32 s5, s8, s5
	s_mul_i32 s8, s9, s11
	s_add_co_i32 s5, s5, s12
	s_lshl_b32 s8, s8, 9
	s_lshl_b32 s5, s5, 6
	s_delay_alu instid0(SALU_CYCLE_1)
	s_add_co_i32 s8, s8, s5
	s_lshl_b32 s5, s7, 3
	v_or_b32_e32 v1, s8, v0
	s_mul_i32 s8, s6, ttmp9
	s_wait_alu 0xfffe
	s_add_co_i32 s9, s8, s6
	s_wait_alu 0xfffe
	s_add_co_i32 s12, s9, -2
	v_ashrrev_i32_e32 v2, 31, v1
	s_delay_alu instid0(VALU_DEP_1) | instskip(SKIP_1) | instid1(VALU_DEP_1)
	v_lshlrev_b64_e32 v[1:2], 2, v[1:2]
	s_wait_kmcnt 0x0
	v_add_co_u32 v1, vcc_lo, s0, v1
	s_delay_alu instid0(VALU_DEP_1)
	v_add_co_ci_u32_e64 v2, null, s1, v2, vcc_lo
	s_add_co_i32 s0, s5, s10
	s_lshl_b32 s1, s9, 6
	global_load_b32 v5, v[1:2], off
	s_wait_alu 0xfffe
	s_add_co_i32 s0, s0, s1
	s_wait_alu 0xfffe
	s_sub_co_i32 s0, s0, 64
	s_wait_alu 0xfffe
	s_ashr_i32 s1, s0, 31
	s_wait_alu 0xfffe
	s_lshl_b64 s[0:1], s[0:1], 3
	s_cmp_lt_i32 s12, s8
	s_wait_alu 0xfffe
	s_add_nc_u64 s[0:1], s[2:3], s[0:1]
	s_load_b32 s11, s[0:1], 0x4
	s_cbranch_scc1 .LBB2_4
; %bb.2:
	s_load_b32 s0, s[0:1], 0x0
	s_add_co_i32 s13, ttmp9, 1
	s_lshl_b32 s12, s4, 8
	s_mul_i32 s1, s6, s13
	s_lshl_b32 s6, s7, 9
	s_lshl_b32 s7, s10, 6
	s_wait_alu 0xfffe
	s_lshl_b32 s14, s1, 12
	s_add_co_i32 s6, s7, s6
	s_lshl_b32 s1, s1, 6
	s_add_co_i32 s14, s6, s14
	s_wait_alu 0xfffe
	s_add_co_i32 s1, s10, s1
	v_or_b32_e32 v0, s14, v0
	s_lshl_b32 s4, s4, 6
	s_ashr_i32 s13, s12, 31
	s_wait_alu 0xfffe
	s_add_co_i32 s1, s1, s4
	s_wait_kmcnt 0x0
	v_dual_mov_b32 v6, s11 :: v_dual_add_nc_u32 v3, 0xffffe000, v0
	s_lshl_b64 s[6:7], s[12:13], 2
	s_wait_alu 0xfffe
	s_add_co_i32 s4, s1, s5
	s_add_nc_u64 s[6:7], s[2:3], s[6:7]
	s_add_co_i32 s1, s9, -1
	s_addk_co_i32 s4, 0xff80
.LBB2_3:                                ; =>This Inner Loop Header: Depth=1
	v_ashrrev_i32_e32 v4, 31, v3
	s_ashr_i32 s5, s4, 31
	v_mov_b32_e32 v10, v6
	s_lshl_b64 s[10:11], s[4:5], 3
	s_wait_loadcnt 0x0
	v_mov_b32_e32 v9, v5
	v_lshlrev_b64_e32 v[7:8], 2, v[3:4]
	s_wait_alu 0xfffe
	s_add_nc_u64 s[10:11], s[2:3], s[10:11]
	v_max_num_f32_e64 v4, s0, s0
	s_load_b64 s[10:11], s[10:11], 0x0
	v_add_nc_u32_e32 v3, 0xfffff000, v3
	v_add_co_u32 v7, vcc_lo, s6, v7
	s_wait_alu 0xfffd
	v_add_co_ci_u32_e64 v8, null, s7, v8, vcc_lo
	v_readfirstlane_b32 s5, v4
	global_load_b32 v0, v[7:8], off
	s_wait_kmcnt 0x0
	v_max_num_f32_e64 v4, s10, s10
	s_delay_alu instid0(VALU_DEP_1) | instskip(SKIP_1) | instid1(SALU_CYCLE_3)
	v_readfirstlane_b32 s9, v4
	s_max_num_f32 s5, s5, s9
	s_sub_f32 s0, s0, s5
	s_sub_f32 s9, s10, s5
	s_wait_alu 0xfffe
	s_delay_alu instid0(SALU_CYCLE_1) | instskip(NEXT) | instid1(SALU_CYCLE_1)
	s_mul_f32 s10, s0, 0x3fb8aa3b
	s_mul_f32 s12, s9, 0x3fb8aa3b
	s_wait_alu 0xfffe
	s_delay_alu instid0(SALU_CYCLE_1)
	s_xor_b32 s13, s10, 0x80000000
	s_rndne_f32 s14, s10
	s_fmamk_f32 s13, s0, 0x3fb8aa3b, s13
	s_cmp_nlt_f32 s0, 0xc2ce8ed0
	s_rndne_f32 s15, s12
	s_wait_alu 0xfffe
	s_sub_f32 s10, s10, s14
	s_fmamk_f32 s13, s0, 0x32a5705f, s13
	s_cvt_i32_f32 s14, s14
	s_cselect_b32 vcc_lo, -1, 0
	s_cmp_ngt_f32 s0, 0x42b17218
	s_wait_alu 0xfffe
	s_add_f32 s10, s10, s13
	s_sub_f32 s13, s12, s15
	s_wait_alu 0xfffe
	s_delay_alu instid0(SALU_CYCLE_1) | instskip(SKIP_1) | instid1(TRANS32_DEP_1)
	v_s_exp_f32 s10, s10
	s_wait_alu 0xf1ff
	v_ldexp_f32 v4, s10, s14
	s_cvt_i32_f32 s10, s15
	s_delay_alu instid0(VALU_DEP_1) | instskip(SKIP_3) | instid1(VALU_DEP_1)
	v_cndmask_b32_e32 v4, 0, v4, vcc_lo
	s_cselect_b32 vcc_lo, -1, 0
	s_cmp_ge_f32 s0, 0xc1a00000
	s_wait_alu 0xfffe
	v_cndmask_b32_e32 v4, 0x7f800000, v4, vcc_lo
	s_cselect_b32 vcc_lo, -1, 0
	s_xor_b32 s0, s12, 0x80000000
	s_cmp_nlt_f32 s9, 0xc2ce8ed0
	s_wait_alu 0xfffe
	s_fmamk_f32 s0, s9, 0x3fb8aa3b, s0
	s_wait_alu 0xfffe
	s_delay_alu instid0(SALU_CYCLE_2) | instskip(SKIP_1) | instid1(SALU_CYCLE_2)
	s_fmamk_f32 s0, s9, 0x32a5705f, s0
	s_wait_alu 0xfffe
	s_add_f32 s0, s13, s0
	s_wait_alu 0xfffe
	s_delay_alu instid0(SALU_CYCLE_2) | instskip(SKIP_1) | instid1(TRANS32_DEP_1)
	v_s_exp_f32 s0, s0
	s_wait_alu 0xf1ff
	v_ldexp_f32 v7, s0, s10
	s_cselect_b32 s0, -1, 0
	s_cmp_ngt_f32 s9, 0x42b17218
	s_wait_alu 0xfffe
	s_delay_alu instid0(VALU_DEP_1) | instskip(SKIP_3) | instid1(VALU_DEP_1)
	v_cndmask_b32_e64 v7, 0, v7, s0
	s_cselect_b32 s0, -1, 0
	s_cmp_ge_f32 s9, 0xc1a00000
	s_wait_alu 0xfffe
	v_cndmask_b32_e64 v7, 0x7f800000, v7, s0
	s_cselect_b32 s0, -1, 0
	s_add_co_i32 s1, s1, -1
	s_sub_co_i32 s4, s4, 64
	s_wait_alu 0xfffe
	s_cmp_le_i32 s1, s8
	v_cndmask_b32_e64 v7, 0, v7, s0
	s_mov_b32 s0, s5
	s_wait_loadcnt 0x0
	s_delay_alu instid0(VALU_DEP_1) | instskip(NEXT) | instid1(VALU_DEP_1)
	v_dual_mul_f32 v5, v0, v7 :: v_dual_cndmask_b32 v4, 0, v4
	v_dual_mul_f32 v8, s11, v7 :: v_dual_fmac_f32 v5, v9, v4
	s_delay_alu instid0(VALU_DEP_1) | instskip(NEXT) | instid1(VALU_DEP_1)
	v_mov_b32_e32 v6, v8
	v_fmac_f32_e32 v6, v10, v4
	s_cbranch_scc0 .LBB2_3
	s_branch .LBB2_5
.LBB2_4:
	s_wait_kmcnt 0x0
	v_mov_b32_e32 v6, s11
.LBB2_5:
	s_wait_loadcnt 0x0
	s_delay_alu instid0(VALU_DEP_1) | instskip(NEXT) | instid1(VALU_DEP_1)
	v_div_scale_f32 v0, null, v6, v6, v5
	v_rcp_f32_e32 v3, v0
	s_delay_alu instid0(TRANS32_DEP_1) | instskip(NEXT) | instid1(VALU_DEP_1)
	v_fma_f32 v4, -v0, v3, 1.0
	v_fmac_f32_e32 v3, v4, v3
	v_div_scale_f32 v4, vcc_lo, v5, v6, v5
	s_delay_alu instid0(VALU_DEP_1) | instskip(NEXT) | instid1(VALU_DEP_1)
	v_mul_f32_e32 v7, v4, v3
	v_fma_f32 v8, -v0, v7, v4
	s_delay_alu instid0(VALU_DEP_1) | instskip(NEXT) | instid1(VALU_DEP_1)
	v_fmac_f32_e32 v7, v8, v3
	v_fma_f32 v0, -v0, v7, v4
	s_wait_alu 0xfffd
	s_delay_alu instid0(VALU_DEP_1) | instskip(NEXT) | instid1(VALU_DEP_1)
	v_div_fmas_f32 v0, v0, v3, v7
	v_div_fixup_f32 v0, v0, v6, v5
	global_store_b32 v[1:2], v0, off
.LBB2_6:
	s_endpgm
	.section	.rodata,"a",@progbits
	.p2align	6, 0x0
	.amdhsa_kernel _ZL33flash_attn_stream_k_fixup_uniformILi64ELi8ELi8EEvPfPK15HIP_vector_typeIfLj2EEiiiiiiS1_IjLj3EES5_S5_
		.amdhsa_group_segment_fixed_size 0
		.amdhsa_private_segment_fixed_size 0
		.amdhsa_kernarg_size 76
		.amdhsa_user_sgpr_count 2
		.amdhsa_user_sgpr_dispatch_ptr 0
		.amdhsa_user_sgpr_queue_ptr 0
		.amdhsa_user_sgpr_kernarg_segment_ptr 1
		.amdhsa_user_sgpr_dispatch_id 0
		.amdhsa_user_sgpr_private_segment_size 0
		.amdhsa_wavefront_size32 1
		.amdhsa_uses_dynamic_stack 0
		.amdhsa_enable_private_segment 0
		.amdhsa_system_sgpr_workgroup_id_x 1
		.amdhsa_system_sgpr_workgroup_id_y 1
		.amdhsa_system_sgpr_workgroup_id_z 1
		.amdhsa_system_sgpr_workgroup_info 0
		.amdhsa_system_vgpr_workitem_id 0
		.amdhsa_next_free_vgpr 11
		.amdhsa_next_free_sgpr 16
		.amdhsa_reserve_vcc 1
		.amdhsa_float_round_mode_32 0
		.amdhsa_float_round_mode_16_64 0
		.amdhsa_float_denorm_mode_32 3
		.amdhsa_float_denorm_mode_16_64 3
		.amdhsa_fp16_overflow 0
		.amdhsa_workgroup_processor_mode 1
		.amdhsa_memory_ordered 1
		.amdhsa_forward_progress 1
		.amdhsa_inst_pref_size 9
		.amdhsa_round_robin_scheduling 0
		.amdhsa_exception_fp_ieee_invalid_op 0
		.amdhsa_exception_fp_denorm_src 0
		.amdhsa_exception_fp_ieee_div_zero 0
		.amdhsa_exception_fp_ieee_overflow 0
		.amdhsa_exception_fp_ieee_underflow 0
		.amdhsa_exception_fp_ieee_inexact 0
		.amdhsa_exception_int_div_zero 0
	.end_amdhsa_kernel
	.section	.text._ZL33flash_attn_stream_k_fixup_uniformILi64ELi8ELi8EEvPfPK15HIP_vector_typeIfLj2EEiiiiiiS1_IjLj3EES5_S5_,"axG",@progbits,_ZL33flash_attn_stream_k_fixup_uniformILi64ELi8ELi8EEvPfPK15HIP_vector_typeIfLj2EEiiiiiiS1_IjLj3EES5_S5_,comdat
.Lfunc_end2:
	.size	_ZL33flash_attn_stream_k_fixup_uniformILi64ELi8ELi8EEvPfPK15HIP_vector_typeIfLj2EEiiiiiiS1_IjLj3EES5_S5_, .Lfunc_end2-_ZL33flash_attn_stream_k_fixup_uniformILi64ELi8ELi8EEvPfPK15HIP_vector_typeIfLj2EEiiiiiiS1_IjLj3EES5_S5_
                                        ; -- End function
	.set _ZL33flash_attn_stream_k_fixup_uniformILi64ELi8ELi8EEvPfPK15HIP_vector_typeIfLj2EEiiiiiiS1_IjLj3EES5_S5_.num_vgpr, 11
	.set _ZL33flash_attn_stream_k_fixup_uniformILi64ELi8ELi8EEvPfPK15HIP_vector_typeIfLj2EEiiiiiiS1_IjLj3EES5_S5_.num_agpr, 0
	.set _ZL33flash_attn_stream_k_fixup_uniformILi64ELi8ELi8EEvPfPK15HIP_vector_typeIfLj2EEiiiiiiS1_IjLj3EES5_S5_.numbered_sgpr, 16
	.set _ZL33flash_attn_stream_k_fixup_uniformILi64ELi8ELi8EEvPfPK15HIP_vector_typeIfLj2EEiiiiiiS1_IjLj3EES5_S5_.num_named_barrier, 0
	.set _ZL33flash_attn_stream_k_fixup_uniformILi64ELi8ELi8EEvPfPK15HIP_vector_typeIfLj2EEiiiiiiS1_IjLj3EES5_S5_.private_seg_size, 0
	.set _ZL33flash_attn_stream_k_fixup_uniformILi64ELi8ELi8EEvPfPK15HIP_vector_typeIfLj2EEiiiiiiS1_IjLj3EES5_S5_.uses_vcc, 1
	.set _ZL33flash_attn_stream_k_fixup_uniformILi64ELi8ELi8EEvPfPK15HIP_vector_typeIfLj2EEiiiiiiS1_IjLj3EES5_S5_.uses_flat_scratch, 0
	.set _ZL33flash_attn_stream_k_fixup_uniformILi64ELi8ELi8EEvPfPK15HIP_vector_typeIfLj2EEiiiiiiS1_IjLj3EES5_S5_.has_dyn_sized_stack, 0
	.set _ZL33flash_attn_stream_k_fixup_uniformILi64ELi8ELi8EEvPfPK15HIP_vector_typeIfLj2EEiiiiiiS1_IjLj3EES5_S5_.has_recursion, 0
	.set _ZL33flash_attn_stream_k_fixup_uniformILi64ELi8ELi8EEvPfPK15HIP_vector_typeIfLj2EEiiiiiiS1_IjLj3EES5_S5_.has_indirect_call, 0
	.section	.AMDGPU.csdata,"",@progbits
; Kernel info:
; codeLenInByte = 1140
; TotalNumSgprs: 18
; NumVgprs: 11
; ScratchSize: 0
; MemoryBound: 0
; FloatMode: 240
; IeeeMode: 1
; LDSByteSize: 0 bytes/workgroup (compile time only)
; SGPRBlocks: 0
; VGPRBlocks: 1
; NumSGPRsForWavesPerEU: 18
; NumVGPRsForWavesPerEU: 11
; Occupancy: 16
; WaveLimiterHint : 0
; COMPUTE_PGM_RSRC2:SCRATCH_EN: 0
; COMPUTE_PGM_RSRC2:USER_SGPR: 2
; COMPUTE_PGM_RSRC2:TRAP_HANDLER: 0
; COMPUTE_PGM_RSRC2:TGID_X_EN: 1
; COMPUTE_PGM_RSRC2:TGID_Y_EN: 1
; COMPUTE_PGM_RSRC2:TGID_Z_EN: 1
; COMPUTE_PGM_RSRC2:TIDIG_COMP_CNT: 0
	.section	.text._ZL33flash_attn_stream_k_fixup_generalILi64ELi8ELi8EEvPfPK15HIP_vector_typeIfLj2EEiiiiS1_IjLj3EES5_S5_S5_,"axG",@progbits,_ZL33flash_attn_stream_k_fixup_generalILi64ELi8ELi8EEvPfPK15HIP_vector_typeIfLj2EEiiiiS1_IjLj3EES5_S5_S5_,comdat
	.globl	_ZL33flash_attn_stream_k_fixup_generalILi64ELi8ELi8EEvPfPK15HIP_vector_typeIfLj2EEiiiiS1_IjLj3EES5_S5_S5_ ; -- Begin function _ZL33flash_attn_stream_k_fixup_generalILi64ELi8ELi8EEvPfPK15HIP_vector_typeIfLj2EEiiiiS1_IjLj3EES5_S5_S5_
	.p2align	8
	.type	_ZL33flash_attn_stream_k_fixup_generalILi64ELi8ELi8EEvPfPK15HIP_vector_typeIfLj2EEiiiiS1_IjLj3EES5_S5_S5_,@function
_ZL33flash_attn_stream_k_fixup_generalILi64ELi8ELi8EEvPfPK15HIP_vector_typeIfLj2EEiiiiS1_IjLj3EES5_S5_S5_: ; @_ZL33flash_attn_stream_k_fixup_generalILi64ELi8ELi8EEvPfPK15HIP_vector_typeIfLj2EEiiiiS1_IjLj3EES5_S5_S5_
; %bb.0:
	s_clause 0x1
	s_load_b128 s[4:7], s[0:1], 0x10
	s_load_b32 s16, s[0:1], 0x50
	s_mov_b32 s2, ttmp9
	s_ashr_i32 s3, ttmp9, 31
	s_mov_b32 s17, 0
	s_delay_alu instid0(SALU_CYCLE_1) | instskip(SKIP_3) | instid1(SALU_CYCLE_1)
	s_mov_b32 s8, s17
	s_wait_kmcnt 0x0
	s_ashr_i32 s19, s7, 31
	s_mov_b32 s18, s7
	s_mul_u64 s[2:3], s[18:19], s[2:3]
	s_delay_alu instid0(SALU_CYCLE_1) | instskip(NEXT) | instid1(SALU_CYCLE_1)
	s_mov_b32 s9, s3
	s_cmp_lg_u64 s[8:9], 0
	s_cbranch_scc0 .LBB3_21
; %bb.1:
	s_add_nc_u64 s[8:9], s[16:17], 0
	s_mov_b32 s15, s17
	s_xor_b64 s[8:9], s[8:9], 0
	s_mov_b32 s23, s17
	s_cvt_f32_u32 s7, s8
	s_cvt_f32_u32 s10, s9
	s_sub_nc_u64 s[12:13], 0, s[8:9]
	s_delay_alu instid0(SALU_CYCLE_2) | instskip(NEXT) | instid1(SALU_CYCLE_3)
	s_fmamk_f32 s7, s10, 0x4f800000, s7
	v_s_rcp_f32 s7, s7
	s_delay_alu instid0(TRANS32_DEP_1) | instskip(SKIP_1) | instid1(SALU_CYCLE_2)
	s_mul_f32 s7, s7, 0x5f7ffffc
	s_wait_alu 0xfffe
	s_mul_f32 s10, s7, 0x2f800000
	s_delay_alu instid0(SALU_CYCLE_3) | instskip(NEXT) | instid1(SALU_CYCLE_3)
	s_trunc_f32 s10, s10
	s_fmamk_f32 s7, s10, 0xcf800000, s7
	s_cvt_u32_f32 s11, s10
	s_wait_alu 0xfffe
	s_delay_alu instid0(SALU_CYCLE_1) | instskip(NEXT) | instid1(SALU_CYCLE_3)
	s_cvt_u32_f32 s10, s7
	s_mul_u64 s[20:21], s[12:13], s[10:11]
	s_delay_alu instid0(SALU_CYCLE_1)
	s_mul_hi_u32 s25, s10, s21
	s_mul_i32 s24, s10, s21
	s_mul_hi_u32 s14, s10, s20
	s_mul_i32 s22, s11, s20
	s_add_nc_u64 s[14:15], s[14:15], s[24:25]
	s_mul_hi_u32 s7, s11, s20
	s_mul_hi_u32 s26, s11, s21
	s_add_co_u32 s14, s14, s22
	s_wait_alu 0xfffe
	s_add_co_ci_u32 s22, s15, s7
	s_mul_i32 s20, s11, s21
	s_add_co_ci_u32 s21, s26, 0
	s_delay_alu instid0(SALU_CYCLE_1)
	s_add_nc_u64 s[14:15], s[22:23], s[20:21]
	s_mov_b32 s21, s17
	s_add_co_u32 s10, s10, s14
	s_cselect_b32 s7, -1, 0
	s_wait_alu 0xfffe
	s_cmp_lg_u32 s7, 0
	s_add_co_ci_u32 s11, s11, s15
	s_mov_b32 s15, s17
	s_mul_u64 s[12:13], s[12:13], s[10:11]
	s_delay_alu instid0(SALU_CYCLE_1)
	s_mul_hi_u32 s23, s10, s13
	s_mul_i32 s22, s10, s13
	s_mul_hi_u32 s14, s10, s12
	s_mul_i32 s20, s11, s12
	s_add_nc_u64 s[14:15], s[14:15], s[22:23]
	s_mul_hi_u32 s7, s11, s12
	s_mul_hi_u32 s24, s11, s13
	s_mul_i32 s12, s11, s13
	s_add_co_u32 s13, s14, s20
	s_wait_alu 0xfffe
	s_add_co_ci_u32 s20, s15, s7
	s_add_co_ci_u32 s13, s24, 0
	s_mov_b32 s15, s17
	s_add_nc_u64 s[12:13], s[20:21], s[12:13]
	s_delay_alu instid0(SALU_CYCLE_1) | instskip(SKIP_1) | instid1(SALU_CYCLE_1)
	s_add_co_u32 s7, s10, s12
	s_cselect_b32 s10, -1, 0
	s_cmp_lg_u32 s10, 0
	s_add_co_ci_u32 s20, s11, s13
	s_ashr_i32 s10, s3, 31
	s_delay_alu instid0(SALU_CYCLE_1) | instskip(NEXT) | instid1(SALU_CYCLE_1)
	s_mov_b32 s11, s10
	s_add_nc_u64 s[12:13], s[2:3], s[10:11]
	s_delay_alu instid0(SALU_CYCLE_1) | instskip(NEXT) | instid1(SALU_CYCLE_1)
	s_xor_b64 s[12:13], s[12:13], s[10:11]
	s_mul_hi_u32 s23, s12, s20
	s_mul_i32 s22, s12, s20
	s_wait_alu 0xfffe
	s_mul_hi_u32 s14, s12, s7
	s_mul_hi_u32 s24, s13, s7
	s_mul_i32 s7, s13, s7
	s_add_nc_u64 s[14:15], s[14:15], s[22:23]
	s_mul_hi_u32 s3, s13, s20
	s_wait_alu 0xfffe
	s_add_co_u32 s7, s14, s7
	s_mul_i32 s22, s13, s20
	s_add_co_ci_u32 s20, s15, s24
	s_add_co_ci_u32 s23, s3, 0
	s_delay_alu instid0(SALU_CYCLE_1) | instskip(NEXT) | instid1(SALU_CYCLE_1)
	s_add_nc_u64 s[14:15], s[20:21], s[22:23]
	s_mul_u64 s[20:21], s[8:9], s[14:15]
	s_delay_alu instid0(SALU_CYCLE_1)
	s_sub_co_u32 s3, s12, s20
	s_cselect_b32 s7, -1, 0
	s_sub_co_i32 s12, s13, s21
	s_wait_alu 0xfffe
	s_cmp_lg_u32 s7, 0
	s_sub_co_ci_u32 s12, s12, s9
	s_sub_co_u32 s20, s3, s8
	s_cselect_b32 s22, -1, 0
	s_delay_alu instid0(SALU_CYCLE_1) | instskip(SKIP_2) | instid1(SALU_CYCLE_1)
	s_cmp_lg_u32 s22, 0
	s_add_nc_u64 s[22:23], s[14:15], 1
	s_sub_co_ci_u32 s12, s12, 0
	s_cmp_ge_u32 s12, s9
	s_cselect_b32 s24, -1, 0
	s_cmp_ge_u32 s20, s8
	s_cselect_b32 s20, -1, 0
	s_cmp_eq_u32 s12, s9
	s_cselect_b32 s12, s20, s24
	s_add_nc_u64 s[24:25], s[14:15], 2
	s_cmp_lg_u32 s12, 0
	s_cselect_b32 s12, s24, s22
	s_cselect_b32 s20, s25, s23
	s_cmp_lg_u32 s7, 0
	s_sub_co_ci_u32 s7, s13, s21
	s_wait_alu 0xfffe
	s_cmp_ge_u32 s7, s9
	s_cselect_b32 s13, -1, 0
	s_cmp_ge_u32 s3, s8
	s_cselect_b32 s3, -1, 0
	s_cmp_eq_u32 s7, s9
	s_cselect_b32 s3, s3, s13
	s_delay_alu instid0(SALU_CYCLE_1) | instskip(SKIP_4) | instid1(SALU_CYCLE_1)
	s_cmp_lg_u32 s3, 0
	s_mov_b32 s3, s17
	s_cselect_b32 s9, s20, s15
	s_cselect_b32 s8, s12, s14
	s_xor_b64 s[10:11], s[10:11], 0
	s_xor_b64 s[8:9], s[8:9], s[10:11]
	s_delay_alu instid0(SALU_CYCLE_1)
	s_sub_nc_u64 s[20:21], s[8:9], s[10:11]
	s_and_not1_b32 vcc_lo, exec_lo, s3
	s_cbranch_vccnz .LBB3_3
.LBB3_2:
	v_cvt_f32_u32_e32 v1, s16
	s_sub_co_i32 s7, 0, s16
	s_delay_alu instid0(VALU_DEP_1) | instskip(NEXT) | instid1(TRANS32_DEP_1)
	v_rcp_iflag_f32_e32 v1, v1
	v_mul_f32_e32 v1, 0x4f7ffffe, v1
	s_delay_alu instid0(VALU_DEP_1) | instskip(NEXT) | instid1(VALU_DEP_1)
	v_cvt_u32_f32_e32 v1, v1
	v_readfirstlane_b32 s3, v1
	s_wait_alu 0xfffe
	s_mul_i32 s7, s7, s3
	s_wait_alu 0xfffe
	s_mul_hi_u32 s7, s3, s7
	s_wait_alu 0xfffe
	s_add_co_i32 s3, s3, s7
	s_delay_alu instid0(SALU_CYCLE_1) | instskip(NEXT) | instid1(SALU_CYCLE_1)
	s_mul_hi_u32 s3, s2, s3
	s_mul_i32 s7, s3, s16
	s_wait_alu 0xfffe
	s_sub_co_i32 s2, s2, s7
	s_add_co_i32 s7, s3, 1
	s_sub_co_i32 s8, s2, s16
	s_cmp_ge_u32 s2, s16
	s_wait_alu 0xfffe
	s_cselect_b32 s3, s7, s3
	s_cselect_b32 s2, s8, s2
	s_add_co_i32 s7, s3, 1
	s_cmp_ge_u32 s2, s16
	s_wait_alu 0xfffe
	s_cselect_b32 s20, s7, s3
.LBB3_3:
	s_add_co_i32 s2, ttmp9, 1
	s_mov_b32 s8, 0
	s_ashr_i32 s3, s2, 31
	s_delay_alu instid0(SALU_CYCLE_1) | instskip(NEXT) | instid1(SALU_CYCLE_1)
	s_mul_u64 s[2:3], s[18:19], s[2:3]
	s_mov_b32 s9, s3
	s_delay_alu instid0(SALU_CYCLE_1)
	s_cmp_lg_u64 s[8:9], 0
	s_cbranch_scc0 .LBB3_22
; %bb.4:
	s_add_nc_u64 s[10:11], s[16:17], 0
	s_mov_b32 s23, s8
	s_xor_b64 s[10:11], s[10:11], 0
	s_mov_b32 s27, s8
	s_cvt_f32_u32 s7, s10
	s_cvt_f32_u32 s9, s11
	s_sub_nc_u64 s[14:15], 0, s[10:11]
	s_wait_alu 0xfffe
	s_delay_alu instid0(SALU_CYCLE_1) | instskip(SKIP_1) | instid1(SALU_CYCLE_2)
	s_fmamk_f32 s7, s9, 0x4f800000, s7
	s_wait_alu 0xfffe
	v_s_rcp_f32 s7, s7
	s_delay_alu instid0(TRANS32_DEP_1) | instskip(SKIP_1) | instid1(SALU_CYCLE_2)
	s_mul_f32 s7, s7, 0x5f7ffffc
	s_wait_alu 0xfffe
	s_mul_f32 s9, s7, 0x2f800000
	s_delay_alu instid0(SALU_CYCLE_3) | instskip(NEXT) | instid1(SALU_CYCLE_3)
	s_trunc_f32 s9, s9
	s_fmamk_f32 s7, s9, 0xcf800000, s7
	s_cvt_u32_f32 s13, s9
	s_wait_alu 0xfffe
	s_delay_alu instid0(SALU_CYCLE_1) | instskip(NEXT) | instid1(SALU_CYCLE_3)
	s_cvt_u32_f32 s12, s7
	s_mul_u64 s[24:25], s[14:15], s[12:13]
	s_delay_alu instid0(SALU_CYCLE_1)
	s_mul_hi_u32 s29, s12, s25
	s_mul_i32 s28, s12, s25
	s_mul_hi_u32 s22, s12, s24
	s_mul_i32 s9, s13, s24
	s_add_nc_u64 s[22:23], s[22:23], s[28:29]
	s_mul_hi_u32 s7, s13, s24
	s_mul_hi_u32 s21, s13, s25
	s_add_co_u32 s9, s22, s9
	s_wait_alu 0xfffe
	s_add_co_ci_u32 s26, s23, s7
	s_mul_i32 s24, s13, s25
	s_add_co_ci_u32 s25, s21, 0
	s_delay_alu instid0(SALU_CYCLE_1)
	s_add_nc_u64 s[22:23], s[26:27], s[24:25]
	s_mov_b32 s25, s8
	s_add_co_u32 s12, s12, s22
	s_cselect_b32 s7, -1, 0
	s_wait_alu 0xfffe
	s_cmp_lg_u32 s7, 0
	s_add_co_ci_u32 s13, s13, s23
	s_mov_b32 s23, s8
	s_mul_u64 s[14:15], s[14:15], s[12:13]
	s_delay_alu instid0(SALU_CYCLE_1)
	s_mul_hi_u32 s27, s12, s15
	s_mul_i32 s26, s12, s15
	s_mul_hi_u32 s22, s12, s14
	s_mul_i32 s9, s13, s14
	s_add_nc_u64 s[22:23], s[22:23], s[26:27]
	s_mul_hi_u32 s7, s13, s14
	s_mul_hi_u32 s21, s13, s15
	s_add_co_u32 s9, s22, s9
	s_wait_alu 0xfffe
	s_add_co_ci_u32 s24, s23, s7
	s_mul_i32 s14, s13, s15
	s_add_co_ci_u32 s15, s21, 0
	s_mov_b32 s23, s8
	s_add_nc_u64 s[14:15], s[24:25], s[14:15]
	s_delay_alu instid0(SALU_CYCLE_1) | instskip(SKIP_1) | instid1(SALU_CYCLE_1)
	s_add_co_u32 s7, s12, s14
	s_cselect_b32 s9, -1, 0
	s_cmp_lg_u32 s9, 0
	s_add_co_ci_u32 s9, s13, s15
	s_ashr_i32 s12, s3, 31
	s_delay_alu instid0(SALU_CYCLE_1) | instskip(NEXT) | instid1(SALU_CYCLE_1)
	s_mov_b32 s13, s12
	s_add_nc_u64 s[14:15], s[2:3], s[12:13]
	s_delay_alu instid0(SALU_CYCLE_1) | instskip(NEXT) | instid1(SALU_CYCLE_1)
	s_xor_b64 s[14:15], s[14:15], s[12:13]
	s_mul_hi_u32 s27, s14, s9
	s_mul_i32 s26, s14, s9
	s_wait_alu 0xfffe
	s_mul_hi_u32 s22, s14, s7
	s_mul_hi_u32 s21, s15, s7
	s_mul_i32 s7, s15, s7
	s_add_nc_u64 s[22:23], s[22:23], s[26:27]
	s_mul_hi_u32 s3, s15, s9
	s_wait_alu 0xfffe
	s_add_co_u32 s7, s22, s7
	s_add_co_ci_u32 s24, s23, s21
	s_mul_i32 s26, s15, s9
	s_add_co_ci_u32 s27, s3, 0
	s_delay_alu instid0(SALU_CYCLE_1) | instskip(NEXT) | instid1(SALU_CYCLE_1)
	s_add_nc_u64 s[22:23], s[24:25], s[26:27]
	s_mul_u64 s[24:25], s[10:11], s[22:23]
	s_add_nc_u64 s[26:27], s[22:23], 1
	s_sub_co_u32 s3, s14, s24
	s_cselect_b32 s7, -1, 0
	s_sub_co_i32 s9, s15, s25
	s_wait_alu 0xfffe
	s_cmp_lg_u32 s7, 0
	s_add_nc_u64 s[28:29], s[22:23], 2
	s_sub_co_ci_u32 s9, s9, s11
	s_sub_co_u32 s14, s3, s10
	s_cselect_b32 s21, -1, 0
	s_delay_alu instid0(SALU_CYCLE_1) | instskip(SKIP_1) | instid1(SALU_CYCLE_1)
	s_cmp_lg_u32 s21, 0
	s_sub_co_ci_u32 s9, s9, 0
	s_cmp_ge_u32 s9, s11
	s_cselect_b32 s21, -1, 0
	s_cmp_ge_u32 s14, s10
	s_cselect_b32 s14, -1, 0
	s_cmp_eq_u32 s9, s11
	s_cselect_b32 s9, s14, s21
	s_delay_alu instid0(SALU_CYCLE_1)
	s_cmp_lg_u32 s9, 0
	s_cselect_b32 s9, s28, s26
	s_cselect_b32 s14, s29, s27
	s_cmp_lg_u32 s7, 0
	s_sub_co_ci_u32 s7, s15, s25
	s_wait_alu 0xfffe
	s_cmp_ge_u32 s7, s11
	s_cselect_b32 s15, -1, 0
	s_cmp_ge_u32 s3, s10
	s_cselect_b32 s3, -1, 0
	s_cmp_eq_u32 s7, s11
	s_cselect_b32 s3, s3, s15
	s_delay_alu instid0(SALU_CYCLE_1) | instskip(SKIP_3) | instid1(SALU_CYCLE_1)
	s_cmp_lg_u32 s3, 0
	s_cselect_b32 s11, s14, s23
	s_cselect_b32 s10, s9, s22
	s_xor_b64 s[12:13], s[12:13], 0
	s_xor_b64 s[10:11], s[10:11], s[12:13]
	s_delay_alu instid0(SALU_CYCLE_1)
	s_sub_nc_u64 s[10:11], s[10:11], s[12:13]
	s_load_b96 s[12:14], s[0:1], 0x44
	s_and_not1_b32 vcc_lo, exec_lo, s8
	s_cbranch_vccnz .LBB3_6
.LBB3_5:
	v_cvt_f32_u32_e32 v1, s16
	s_sub_co_i32 s7, 0, s16
	s_delay_alu instid0(VALU_DEP_1) | instskip(NEXT) | instid1(TRANS32_DEP_1)
	v_rcp_iflag_f32_e32 v1, v1
	v_mul_f32_e32 v1, 0x4f7ffffe, v1
	s_delay_alu instid0(VALU_DEP_1) | instskip(NEXT) | instid1(VALU_DEP_1)
	v_cvt_u32_f32_e32 v1, v1
	v_readfirstlane_b32 s3, v1
	s_wait_alu 0xfffe
	s_mul_i32 s7, s7, s3
	s_wait_alu 0xfffe
	s_mul_hi_u32 s7, s3, s7
	s_wait_alu 0xfffe
	s_add_co_i32 s3, s3, s7
	s_delay_alu instid0(SALU_CYCLE_1) | instskip(NEXT) | instid1(SALU_CYCLE_1)
	s_mul_hi_u32 s3, s2, s3
	s_mul_i32 s7, s3, s16
	s_wait_alu 0xfffe
	s_sub_co_i32 s2, s2, s7
	s_add_co_i32 s7, s3, 1
	s_sub_co_i32 s8, s2, s16
	s_cmp_ge_u32 s2, s16
	s_wait_alu 0xfffe
	s_cselect_b32 s3, s7, s3
	s_cselect_b32 s2, s8, s2
	s_add_co_i32 s7, s3, 1
	s_cmp_ge_u32 s2, s16
	s_wait_alu 0xfffe
	s_cselect_b32 s10, s7, s3
.LBB3_6:
	s_mov_b32 s21, 0
	s_wait_kmcnt 0x0
	s_mov_b32 s22, s12
	s_mov_b32 s23, s21
	s_cmp_eq_u32 s20, s10
	s_mul_u64 s[2:3], s[20:21], s[22:23]
	s_cselect_b32 s7, -1, 0
	s_add_co_i32 s2, s3, s20
	s_mov_b32 s11, s21
	s_lshr_b32 s12, s2, s13
	s_mul_u64 s[2:3], s[10:11], s[22:23]
	s_mul_i32 s2, s12, s14
	s_delay_alu instid0(SALU_CYCLE_1) | instskip(SKIP_2) | instid1(SALU_CYCLE_1)
	s_cmp_eq_u32 s2, s20
	s_cselect_b32 s2, -1, 0
	s_add_co_i32 s3, s3, s10
	s_lshr_b32 s3, s3, s13
	s_delay_alu instid0(SALU_CYCLE_1)
	s_cmp_eq_u32 s12, s3
	s_mul_i32 s3, s3, s14
	s_cselect_b32 s8, -1, 0
	s_cmp_lg_u32 s3, s10
	s_cselect_b32 s3, -1, 0
	s_wait_alu 0xfffe
	s_or_b32 s2, s7, s2
	s_and_b32 s3, s8, s3
	s_delay_alu instid0(SALU_CYCLE_1) | instskip(NEXT) | instid1(SALU_CYCLE_1)
	s_or_b32 s2, s2, s3
	s_and_b32 vcc_lo, exec_lo, s2
	s_cbranch_vccnz .LBB3_24
; %bb.7:
	s_load_b256 s[24:31], s[0:1], 0x20
	s_mov_b32 s3, s21
	s_wait_kmcnt 0x0
	s_mov_b32 s2, s24
	s_delay_alu instid0(SALU_CYCLE_1) | instskip(NEXT) | instid1(SALU_CYCLE_1)
	s_mul_u64 s[2:3], s[20:21], s[2:3]
	s_add_co_i32 s2, s3, s20
	s_delay_alu instid0(SALU_CYCLE_1) | instskip(SKIP_2) | instid1(SALU_CYCLE_1)
	s_lshr_b32 s7, s2, s25
	s_load_b32 s2, s[0:1], 0x40
	s_mul_i32 s3, s7, s26
	s_sub_co_i32 s3, s20, s3
	s_delay_alu instid0(SALU_CYCLE_1) | instskip(NEXT) | instid1(SALU_CYCLE_1)
	s_mul_hi_u32 s8, s3, s27
	s_add_co_i32 s8, s3, s8
	s_delay_alu instid0(SALU_CYCLE_1) | instskip(NEXT) | instid1(SALU_CYCLE_1)
	s_lshr_b32 s8, s8, s28
	s_mul_i32 s9, s8, s29
	s_delay_alu instid0(SALU_CYCLE_1) | instskip(NEXT) | instid1(SALU_CYCLE_1)
	s_sub_co_i32 s9, s3, s9
	s_mul_hi_u32 s3, s9, s30
	s_delay_alu instid0(SALU_CYCLE_1) | instskip(NEXT) | instid1(SALU_CYCLE_1)
	s_add_co_i32 s3, s9, s3
	s_lshr_b32 s24, s3, s31
	s_mov_b32 s3, s21
	s_wait_kmcnt 0x0
	s_mul_i32 s2, s24, s2
	s_lshl_b32 s21, s24, 3
	s_sub_co_i32 s2, s9, s2
	s_delay_alu instid0(SALU_CYCLE_1) | instskip(SKIP_2) | instid1(SALU_CYCLE_1)
	s_mul_u64 s[10:11], s[2:3], s[22:23]
	s_lshr_b32 s3, ttmp7, 16
	s_add_co_i32 s2, s2, s11
	s_lshr_b32 s15, s2, s13
	s_and_b32 s2, ttmp7, 0xffff
	s_lshl_b32 s9, s15, 3
	s_delay_alu instid0(SALU_CYCLE_1) | instskip(NEXT) | instid1(SALU_CYCLE_1)
	s_add_co_i32 s9, s9, s2
	s_cmp_lt_i32 s9, s4
	s_cselect_b32 s9, -1, 0
	s_add_co_i32 s10, s21, s3
	s_delay_alu instid0(SALU_CYCLE_1) | instskip(SKIP_1) | instid1(SALU_CYCLE_1)
	s_cmp_lt_i32 s10, s6
	s_cselect_b32 s10, -1, 0
	s_and_b32 s9, s9, s10
	s_delay_alu instid0(SALU_CYCLE_1)
	s_and_not1_b32 vcc_lo, exec_lo, s9
	s_cbranch_vccnz .LBB3_24
; %bb.8:
	s_mul_i32 s4, s7, s4
	s_mul_i32 s6, s8, s6
	s_add_co_i32 s4, s4, s2
	s_load_b128 s[8:11], s[0:1], 0x0
	s_mul_i32 s4, s4, s5
	s_mul_i32 s1, s5, s15
	s_add_co_i32 s4, s4, s3
	s_lshl_b32 s1, s1, 9
	s_add_co_i32 s0, s4, s6
	s_lshl_b32 s15, s2, 3
	s_add_co_i32 s0, s0, s21
	s_add_co_i32 s15, s15, s3
	s_lshl_b32 s0, s0, 6
	v_cvt_f32_u32_e32 v4, s16
	s_add_co_i32 s1, s1, s0
	s_add_co_i32 s34, ttmp9, -1
	v_or_b32_e32 v1, s1, v0
	s_add_nc_u64 s[0:1], s[16:17], 0
	v_rcp_iflag_f32_e32 v4, v4
	s_wait_alu 0xfffe
	s_xor_b64 s[6:7], s[0:1], 0
	s_lshl_b32 s0, ttmp9, 6
	v_ashrrev_i32_e32 v2, 31, v1
	s_wait_alu 0xfffe
	s_cvt_f32_u32 s1, s6
	s_cvt_f32_u32 s2, s7
	s_add_co_i32 s0, s15, s0
	v_lshl_or_b32 v0, s15, 6, v0
	v_lshlrev_b64_e32 v[1:2], 2, v[1:2]
	s_wait_alu 0xfffe
	s_fmamk_f32 s2, s2, 0x4f800000, s1
	s_ashr_i32 s1, s0, 31
	s_sub_nc_u64 s[30:31], 0, s[6:7]
	s_wait_alu 0xfffe
	s_lshl_b64 s[0:1], s[0:1], 3
	v_s_rcp_f32 s2, s2
	s_wait_kmcnt 0x0
	v_add_co_u32 v1, vcc_lo, s8, v1
	s_delay_alu instid0(VALU_DEP_1)
	v_add_co_ci_u32_e64 v2, null, s9, v2, vcc_lo
	s_wait_alu 0xfffe
	s_add_nc_u64 s[0:1], s[10:11], s[0:1]
	s_mov_b32 s8, 0
	s_load_b64 s[26:27], s[0:1], 0x0
	global_load_b32 v3, v[1:2], off
	s_mul_f32 s2, s2, 0x5f7ffffc
	v_mul_f32_e32 v4, 0x4f7ffffe, v4
	s_lshl_b32 s0, s16, 8
	s_wait_alu 0xfffe
	s_mul_f32 s1, s2, 0x2f800000
	s_wait_alu 0xfffe
	s_delay_alu instid0(SALU_CYCLE_2)
	s_trunc_f32 s3, s1
	s_mov_b32 s1, s8
	s_wait_alu 0xfffe
	s_lshl_b64 s[0:1], s[0:1], 2
	s_fmamk_f32 s2, s3, 0xcf800000, s2
	s_cvt_u32_f32 s29, s3
	s_wait_alu 0xfffe
	s_add_nc_u64 s[24:25], s[10:11], s[0:1]
	s_cvt_u32_f32 s28, s2
	s_wait_kmcnt 0x0
	v_mov_b32_e32 v5, s27
	v_cvt_u32_f32_e32 v4, v4
.LBB3_9:                                ; =>This Inner Loop Header: Depth=1
	s_wait_alu 0xfffe
	s_ashr_i32 s35, s34, 31
	s_mov_b32 s2, -1
	s_wait_alu 0xfffe
	s_mul_u64 s[0:1], s[34:35], s[18:19]
                                        ; implicit-def: $sgpr38_sgpr39
	s_wait_alu 0xfffe
	s_mov_b32 s9, s1
	s_wait_alu 0xfffe
	s_cmp_lg_u64 s[8:9], 0
	s_cbranch_scc0 .LBB3_11
; %bb.10:                               ;   in Loop: Header=BB3_9 Depth=1
	s_mul_u64 s[2:3], s[30:31], s[28:29]
	s_mov_b32 s37, s8
	s_wait_alu 0xfffe
	s_mul_hi_u32 s5, s28, s3
	s_mul_i32 s4, s28, s3
	s_mul_hi_u32 s36, s28, s2
	s_mul_hi_u32 s9, s29, s2
	s_wait_alu 0xfffe
	s_add_nc_u64 s[4:5], s[36:37], s[4:5]
	s_mul_i32 s2, s29, s2
	s_mul_hi_u32 s17, s29, s3
	s_wait_alu 0xfffe
	s_add_co_u32 s2, s4, s2
	s_add_co_ci_u32 s2, s5, s9
	s_add_co_ci_u32 s5, s17, 0
	s_mul_i32 s4, s29, s3
	s_mov_b32 s3, s8
	s_mov_b32 s39, s8
	s_wait_alu 0xfffe
	s_add_nc_u64 s[2:3], s[2:3], s[4:5]
	s_wait_alu 0xfffe
	s_add_co_u32 s2, s28, s2
	s_cselect_b32 s4, -1, 0
	s_wait_alu 0xfffe
	s_cmp_lg_u32 s4, 0
	s_add_co_ci_u32 s3, s29, s3
	s_wait_alu 0xfffe
	s_mul_u64 s[4:5], s[30:31], s[2:3]
	s_wait_alu 0xfffe
	s_mul_hi_u32 s37, s2, s5
	s_mul_i32 s36, s2, s5
	s_mul_hi_u32 s38, s2, s4
	s_mul_hi_u32 s9, s3, s4
	s_mul_i32 s4, s3, s4
	s_wait_alu 0xfffe
	s_add_nc_u64 s[36:37], s[38:39], s[36:37]
	s_mul_hi_u32 s17, s3, s5
	s_wait_alu 0xfffe
	s_add_co_u32 s4, s36, s4
	s_add_co_ci_u32 s4, s37, s9
	s_add_co_ci_u32 s37, s17, 0
	s_mul_i32 s36, s3, s5
	s_mov_b32 s5, s8
	s_wait_alu 0xfffe
	s_add_nc_u64 s[4:5], s[4:5], s[36:37]
	s_mov_b32 s37, s8
	s_wait_alu 0xfffe
	s_add_co_u32 s9, s2, s4
	s_cselect_b32 s2, -1, 0
	s_wait_alu 0xfffe
	s_cmp_lg_u32 s2, 0
	s_add_co_ci_u32 s17, s3, s5
	s_ashr_i32 s2, s1, 31
	s_wait_alu 0xfffe
	s_mov_b32 s3, s2
	s_wait_alu 0xfffe
	s_add_nc_u64 s[4:5], s[0:1], s[2:3]
	s_wait_alu 0xfffe
	s_xor_b64 s[4:5], s[4:5], s[2:3]
	s_wait_alu 0xfffe
	s_mul_hi_u32 s39, s4, s17
	s_mul_i32 s38, s4, s17
	s_mul_hi_u32 s36, s4, s9
	s_mul_i32 s21, s5, s9
	s_wait_alu 0xfffe
	s_add_nc_u64 s[36:37], s[36:37], s[38:39]
	s_mul_hi_u32 s9, s5, s9
	s_mul_hi_u32 s1, s5, s17
	s_wait_alu 0xfffe
	s_add_co_u32 s21, s36, s21
	s_add_co_ci_u32 s36, s37, s9
	s_add_co_ci_u32 s39, s1, 0
	s_mul_i32 s38, s5, s17
	s_mov_b32 s37, s8
	s_wait_alu 0xfffe
	s_add_nc_u64 s[36:37], s[36:37], s[38:39]
	s_wait_alu 0xfffe
	s_mul_u64 s[38:39], s[6:7], s[36:37]
	s_add_nc_u64 s[40:41], s[36:37], 1
	s_sub_co_u32 s1, s4, s38
	s_cselect_b32 s4, -1, 0
	s_sub_co_i32 s9, s5, s39
	s_wait_alu 0xfffe
	s_cmp_lg_u32 s4, 0
	s_add_nc_u64 s[42:43], s[36:37], 2
	s_sub_co_ci_u32 s9, s9, s7
	s_sub_co_u32 s17, s1, s6
	s_cselect_b32 s21, -1, 0
	s_delay_alu instid0(SALU_CYCLE_1)
	s_cmp_lg_u32 s21, 0
	s_wait_alu 0xfffe
	s_sub_co_ci_u32 s9, s9, 0
	s_wait_alu 0xfffe
	s_cmp_ge_u32 s9, s7
	s_cselect_b32 s21, -1, 0
	s_cmp_ge_u32 s17, s6
	s_cselect_b32 s17, -1, 0
	s_cmp_eq_u32 s9, s7
	s_wait_alu 0xfffe
	s_cselect_b32 s9, s17, s21
	s_wait_alu 0xfffe
	s_cmp_lg_u32 s9, 0
	s_cselect_b32 s9, s42, s40
	s_cselect_b32 s17, s43, s41
	s_cmp_lg_u32 s4, 0
	s_sub_co_ci_u32 s4, s5, s39
	s_wait_alu 0xfffe
	s_cmp_ge_u32 s4, s7
	s_cselect_b32 s5, -1, 0
	s_cmp_ge_u32 s1, s6
	s_cselect_b32 s1, -1, 0
	s_cmp_eq_u32 s4, s7
	s_wait_alu 0xfffe
	s_cselect_b32 s1, s1, s5
	s_wait_alu 0xfffe
	s_cmp_lg_u32 s1, 0
	s_cselect_b32 s5, s17, s37
	s_cselect_b32 s4, s9, s36
	s_xor_b64 s[2:3], s[2:3], 0
	s_wait_alu 0xfffe
	s_xor_b64 s[4:5], s[4:5], s[2:3]
	s_wait_alu 0xfffe
	s_sub_nc_u64 s[38:39], s[4:5], s[2:3]
	s_mov_b32 s2, 0
.LBB3_11:                               ;   in Loop: Header=BB3_9 Depth=1
	s_wait_alu 0xfffe
	s_and_not1_b32 vcc_lo, exec_lo, s2
	s_wait_alu 0xfffe
	s_cbranch_vccnz .LBB3_13
; %bb.12:                               ;   in Loop: Header=BB3_9 Depth=1
	v_readfirstlane_b32 s1, v4
	s_sub_co_i32 s2, 0, s16
	s_wait_alu 0xfffe
	s_mul_i32 s2, s2, s1
	s_wait_alu 0xfffe
	s_mul_hi_u32 s2, s1, s2
	s_wait_alu 0xfffe
	s_add_co_i32 s1, s1, s2
	s_wait_alu 0xfffe
	s_mul_hi_u32 s1, s0, s1
	s_wait_alu 0xfffe
	s_mul_i32 s2, s1, s16
	s_wait_alu 0xfffe
	s_sub_co_i32 s0, s0, s2
	s_add_co_i32 s2, s1, 1
	s_wait_alu 0xfffe
	s_sub_co_i32 s3, s0, s16
	s_cmp_ge_u32 s0, s16
	s_cselect_b32 s1, s2, s1
	s_wait_alu 0xfffe
	s_cselect_b32 s0, s3, s0
	s_add_co_i32 s2, s1, 1
	s_wait_alu 0xfffe
	s_cmp_ge_u32 s0, s16
	s_cselect_b32 s38, s2, s1
.LBB3_13:                               ;   in Loop: Header=BB3_9 Depth=1
	v_readfirstlane_b32 s9, v0
	s_cmp_lg_u32 s20, s38
	s_mov_b32 s0, -1
                                        ; implicit-def: $sgpr21
                                        ; implicit-def: $vgpr6
                                        ; implicit-def: $vgpr7
                                        ; implicit-def: $sgpr17
                                        ; implicit-def: $sgpr27
	s_cbranch_scc1 .LBB3_16
; %bb.14:                               ;   in Loop: Header=BB3_9 Depth=1
	s_wait_alu 0xfffe
	s_and_not1_b32 vcc_lo, exec_lo, s0
	s_wait_alu 0xfffe
	s_cbranch_vccz .LBB3_19
.LBB3_15:                               ;   in Loop: Header=BB3_9 Depth=1
	s_and_not1_b32 vcc_lo, exec_lo, s21
	s_wait_alu 0xfffe
	s_cbranch_vccnz .LBB3_20
	s_branch .LBB3_23
.LBB3_16:                               ;   in Loop: Header=BB3_9 Depth=1
	s_add_co_i32 s0, s34, s16
	s_mov_b32 s1, s8
	s_wait_alu 0xfffe
	s_lshl_b32 s0, s0, 6
	v_max_num_f32_e64 v6, s26, s26
	s_wait_alu 0xfffe
	s_add_co_i32 s0, s0, s15
	s_mov_b32 s39, s8
	s_wait_alu 0xfffe
	s_lshl_b64 s[0:1], s[0:1], 3
	s_mul_u64 s[40:41], s[38:39], s[22:23]
	s_wait_alu 0xfffe
	s_add_nc_u64 s[0:1], s[10:11], s[0:1]
	s_mov_b32 s27, s20
	s_load_b64 s[36:37], s[0:1], 0x0
	v_readfirstlane_b32 s0, v6
	s_wait_kmcnt 0x0
	v_max_num_f32_e64 v7, s36, s36
	s_delay_alu instid0(VALU_DEP_1) | instskip(SKIP_2) | instid1(SALU_CYCLE_2)
	v_readfirstlane_b32 s1, v7
	s_max_num_f32 s9, s0, s1
	s_wait_alu 0xfffe
	s_sub_f32 s33, s26, s9
	s_sub_f32 s35, s36, s9
	s_wait_alu 0xfffe
	s_delay_alu instid0(SALU_CYCLE_1)
	s_cmp_nlt_f32 s33, 0xc2ce8ed0
	s_cselect_b32 s0, -1, 0
	s_cmp_ngt_f32 s33, 0x42b17218
	s_cselect_b32 s1, -1, 0
	s_cmp_ge_f32 s33, 0xc1a00000
	s_cselect_b32 s2, -1, 0
	s_cmp_nlt_f32 s35, 0xc2ce8ed0
	s_cselect_b32 s3, -1, 0
	s_cmp_ngt_f32 s35, 0x42b17218
	s_cselect_b32 s4, -1, 0
	s_cmp_ge_f32 s35, 0xc1a00000
	s_cselect_b32 s5, -1, 0
	s_add_co_i32 s17, s41, s38
	s_wait_alu 0xfffe
	s_lshr_b32 s17, s17, s13
	s_wait_alu 0xfffe
	s_mul_i32 s21, s17, s14
	s_delay_alu instid0(SALU_CYCLE_1)
	s_cmp_eq_u32 s21, s38
	s_cselect_b32 s21, -1, 0
	s_cmp_lt_u32 s17, s12
	s_cselect_b32 s17, -1, 0
	s_wait_alu 0xfffe
	s_or_b32 s17, s17, s21
	s_mov_b32 s21, -1
	s_wait_alu 0xfffe
	s_and_b32 vcc_lo, exec_lo, s17
	s_mov_b32 s17, s34
	s_wait_alu 0xfffe
	s_cbranch_vccnz .LBB3_18
; %bb.17:                               ;   in Loop: Header=BB3_9 Depth=1
	s_add_co_i32 s17, s34, -1
	s_mov_b32 s21, 0
	s_mov_b32 s27, s38
.LBB3_18:                               ;   in Loop: Header=BB3_9 Depth=1
	v_lshl_add_u32 v6, s34, 12, v0
	s_mul_f32 s36, s35, 0x3fb8aa3b
	s_mul_f32 s38, s33, 0x3fb8aa3b
	s_wait_alu 0xfffe
	s_delay_alu instid0(SALU_CYCLE_1)
	s_xor_b32 s39, s36, 0x80000000
	v_ashrrev_i32_e32 v7, 31, v6
	s_rndne_f32 s40, s36
	s_fmamk_f32 s39, s35, 0x3fb8aa3b, s39
	s_xor_b32 s41, s38, 0x80000000
	s_rndne_f32 s42, s38
	v_lshlrev_b64_e32 v[6:7], 2, v[6:7]
	s_sub_f32 s36, s36, s40
	s_fmamk_f32 s35, s35, 0x32a5705f, s39
	s_fmamk_f32 s39, s33, 0x3fb8aa3b, s41
	s_sub_f32 s38, s38, s42
	s_delay_alu instid0(VALU_DEP_1)
	v_add_co_u32 v6, vcc_lo, s24, v6
	s_wait_alu 0xfffd
	v_add_co_ci_u32_e64 v7, null, s25, v7, vcc_lo
	s_wait_alu 0xfffe
	s_add_f32 s35, s36, s35
	s_fmamk_f32 s33, s33, 0x32a5705f, s39
	s_cvt_i32_f32 s36, s40
	global_load_b32 v6, v[6:7], off
	s_wait_alu 0xfffe
	v_s_exp_f32 s35, s35
	s_add_f32 s33, s38, s33
	s_wait_alu 0xfffe
	s_delay_alu instid0(SALU_CYCLE_2) | instskip(NEXT) | instid1(TRANS32_DEP_2)
	v_s_exp_f32 s33, s33
	v_ldexp_f32 v7, s35, s36
	s_cvt_i32_f32 s35, s42
	s_wait_alu 0xf1fe
	s_delay_alu instid0(TRANS32_DEP_1) | instid1(SALU_CYCLE_2)
	v_ldexp_f32 v8, s33, s35
	s_delay_alu instid0(VALU_DEP_2) | instskip(NEXT) | instid1(VALU_DEP_2)
	v_cndmask_b32_e64 v7, 0, v7, s3
	v_cndmask_b32_e64 v8, 0, v8, s0
	s_delay_alu instid0(VALU_DEP_2) | instskip(NEXT) | instid1(VALU_DEP_2)
	v_cndmask_b32_e64 v7, 0x7f800000, v7, s4
	v_cndmask_b32_e64 v8, 0x7f800000, v8, s1
	;; [unrolled: 3-line block ×3, first 2 shown]
	s_wait_loadcnt 0x0
	s_delay_alu instid0(VALU_DEP_2) | instskip(SKIP_1) | instid1(VALU_DEP_1)
	v_mul_f32_e32 v6, v6, v7
	v_mul_f32_e32 v7, s37, v7
	v_fmac_f32_e32 v7, v5, v8
	s_delay_alu instid0(VALU_DEP_3)
	v_fmac_f32_e32 v6, v3, v8
	s_cbranch_execnz .LBB3_15
.LBB3_19:                               ;   in Loop: Header=BB3_9 Depth=1
	s_wait_loadcnt 0x0
	v_dual_mov_b32 v7, v5 :: v_dual_mov_b32 v6, v3
	s_add_co_i32 s17, s34, -1
	s_mov_b32 s27, s20
	s_mov_b32 s9, s26
	s_cbranch_execz .LBB3_23
.LBB3_20:                               ;   in Loop: Header=BB3_9 Depth=1
	v_mov_b32_e32 v5, v7
	s_wait_loadcnt 0x0
	v_mov_b32_e32 v3, v6
	s_wait_alu 0xfffe
	s_mov_b32 s20, s27
	s_mov_b32 s34, s17
	;; [unrolled: 1-line block ×3, first 2 shown]
	s_branch .LBB3_9
.LBB3_21:
                                        ; implicit-def: $sgpr20_sgpr21
	s_branch .LBB3_2
.LBB3_22:
                                        ; implicit-def: $sgpr10_sgpr11
	s_load_b96 s[12:14], s[0:1], 0x44
	s_branch .LBB3_5
.LBB3_23:
	v_div_scale_f32 v0, null, v7, v7, v6
	s_wait_loadcnt 0x0
	s_delay_alu instid0(VALU_DEP_1) | instskip(NEXT) | instid1(TRANS32_DEP_1)
	v_rcp_f32_e32 v3, v0
	v_fma_f32 v4, -v0, v3, 1.0
	s_delay_alu instid0(VALU_DEP_1) | instskip(SKIP_1) | instid1(VALU_DEP_1)
	v_fmac_f32_e32 v3, v4, v3
	v_div_scale_f32 v4, vcc_lo, v6, v7, v6
	v_mul_f32_e32 v5, v4, v3
	s_delay_alu instid0(VALU_DEP_1) | instskip(NEXT) | instid1(VALU_DEP_1)
	v_fma_f32 v8, -v0, v5, v4
	v_fmac_f32_e32 v5, v8, v3
	s_delay_alu instid0(VALU_DEP_1) | instskip(SKIP_1) | instid1(VALU_DEP_1)
	v_fma_f32 v0, -v0, v5, v4
	s_wait_alu 0xfffd
	v_div_fmas_f32 v0, v0, v3, v5
	s_delay_alu instid0(VALU_DEP_1)
	v_div_fixup_f32 v0, v0, v7, v6
	global_store_b32 v[1:2], v0, off
.LBB3_24:
	s_endpgm
	.section	.rodata,"a",@progbits
	.p2align	6, 0x0
	.amdhsa_kernel _ZL33flash_attn_stream_k_fixup_generalILi64ELi8ELi8EEvPfPK15HIP_vector_typeIfLj2EEiiiiS1_IjLj3EES5_S5_S5_
		.amdhsa_group_segment_fixed_size 0
		.amdhsa_private_segment_fixed_size 0
		.amdhsa_kernarg_size 336
		.amdhsa_user_sgpr_count 2
		.amdhsa_user_sgpr_dispatch_ptr 0
		.amdhsa_user_sgpr_queue_ptr 0
		.amdhsa_user_sgpr_kernarg_segment_ptr 1
		.amdhsa_user_sgpr_dispatch_id 0
		.amdhsa_user_sgpr_private_segment_size 0
		.amdhsa_wavefront_size32 1
		.amdhsa_uses_dynamic_stack 0
		.amdhsa_enable_private_segment 0
		.amdhsa_system_sgpr_workgroup_id_x 1
		.amdhsa_system_sgpr_workgroup_id_y 1
		.amdhsa_system_sgpr_workgroup_id_z 1
		.amdhsa_system_sgpr_workgroup_info 0
		.amdhsa_system_vgpr_workitem_id 0
		.amdhsa_next_free_vgpr 9
		.amdhsa_next_free_sgpr 44
		.amdhsa_reserve_vcc 1
		.amdhsa_float_round_mode_32 0
		.amdhsa_float_round_mode_16_64 0
		.amdhsa_float_denorm_mode_32 3
		.amdhsa_float_denorm_mode_16_64 3
		.amdhsa_fp16_overflow 0
		.amdhsa_workgroup_processor_mode 1
		.amdhsa_memory_ordered 1
		.amdhsa_forward_progress 1
		.amdhsa_inst_pref_size 28
		.amdhsa_round_robin_scheduling 0
		.amdhsa_exception_fp_ieee_invalid_op 0
		.amdhsa_exception_fp_denorm_src 0
		.amdhsa_exception_fp_ieee_div_zero 0
		.amdhsa_exception_fp_ieee_overflow 0
		.amdhsa_exception_fp_ieee_underflow 0
		.amdhsa_exception_fp_ieee_inexact 0
		.amdhsa_exception_int_div_zero 0
	.end_amdhsa_kernel
	.section	.text._ZL33flash_attn_stream_k_fixup_generalILi64ELi8ELi8EEvPfPK15HIP_vector_typeIfLj2EEiiiiS1_IjLj3EES5_S5_S5_,"axG",@progbits,_ZL33flash_attn_stream_k_fixup_generalILi64ELi8ELi8EEvPfPK15HIP_vector_typeIfLj2EEiiiiS1_IjLj3EES5_S5_S5_,comdat
.Lfunc_end3:
	.size	_ZL33flash_attn_stream_k_fixup_generalILi64ELi8ELi8EEvPfPK15HIP_vector_typeIfLj2EEiiiiS1_IjLj3EES5_S5_S5_, .Lfunc_end3-_ZL33flash_attn_stream_k_fixup_generalILi64ELi8ELi8EEvPfPK15HIP_vector_typeIfLj2EEiiiiS1_IjLj3EES5_S5_S5_
                                        ; -- End function
	.set _ZL33flash_attn_stream_k_fixup_generalILi64ELi8ELi8EEvPfPK15HIP_vector_typeIfLj2EEiiiiS1_IjLj3EES5_S5_S5_.num_vgpr, 9
	.set _ZL33flash_attn_stream_k_fixup_generalILi64ELi8ELi8EEvPfPK15HIP_vector_typeIfLj2EEiiiiS1_IjLj3EES5_S5_S5_.num_agpr, 0
	.set _ZL33flash_attn_stream_k_fixup_generalILi64ELi8ELi8EEvPfPK15HIP_vector_typeIfLj2EEiiiiS1_IjLj3EES5_S5_S5_.numbered_sgpr, 44
	.set _ZL33flash_attn_stream_k_fixup_generalILi64ELi8ELi8EEvPfPK15HIP_vector_typeIfLj2EEiiiiS1_IjLj3EES5_S5_S5_.num_named_barrier, 0
	.set _ZL33flash_attn_stream_k_fixup_generalILi64ELi8ELi8EEvPfPK15HIP_vector_typeIfLj2EEiiiiS1_IjLj3EES5_S5_S5_.private_seg_size, 0
	.set _ZL33flash_attn_stream_k_fixup_generalILi64ELi8ELi8EEvPfPK15HIP_vector_typeIfLj2EEiiiiS1_IjLj3EES5_S5_S5_.uses_vcc, 1
	.set _ZL33flash_attn_stream_k_fixup_generalILi64ELi8ELi8EEvPfPK15HIP_vector_typeIfLj2EEiiiiS1_IjLj3EES5_S5_S5_.uses_flat_scratch, 0
	.set _ZL33flash_attn_stream_k_fixup_generalILi64ELi8ELi8EEvPfPK15HIP_vector_typeIfLj2EEiiiiS1_IjLj3EES5_S5_S5_.has_dyn_sized_stack, 0
	.set _ZL33flash_attn_stream_k_fixup_generalILi64ELi8ELi8EEvPfPK15HIP_vector_typeIfLj2EEiiiiS1_IjLj3EES5_S5_S5_.has_recursion, 0
	.set _ZL33flash_attn_stream_k_fixup_generalILi64ELi8ELi8EEvPfPK15HIP_vector_typeIfLj2EEiiiiS1_IjLj3EES5_S5_S5_.has_indirect_call, 0
	.section	.AMDGPU.csdata,"",@progbits
; Kernel info:
; codeLenInByte = 3548
; TotalNumSgprs: 46
; NumVgprs: 9
; ScratchSize: 0
; MemoryBound: 0
; FloatMode: 240
; IeeeMode: 1
; LDSByteSize: 0 bytes/workgroup (compile time only)
; SGPRBlocks: 0
; VGPRBlocks: 1
; NumSGPRsForWavesPerEU: 46
; NumVGPRsForWavesPerEU: 9
; Occupancy: 16
; WaveLimiterHint : 0
; COMPUTE_PGM_RSRC2:SCRATCH_EN: 0
; COMPUTE_PGM_RSRC2:USER_SGPR: 2
; COMPUTE_PGM_RSRC2:TRAP_HANDLER: 0
; COMPUTE_PGM_RSRC2:TGID_X_EN: 1
; COMPUTE_PGM_RSRC2:TGID_Y_EN: 1
; COMPUTE_PGM_RSRC2:TGID_Z_EN: 1
; COMPUTE_PGM_RSRC2:TIDIG_COMP_CNT: 0
	.section	.text._ZL26flash_attn_combine_resultsILi64EEvPKfPK15HIP_vector_typeIfLj2EEPfi,"axG",@progbits,_ZL26flash_attn_combine_resultsILi64EEvPKfPK15HIP_vector_typeIfLj2EEPfi,comdat
	.globl	_ZL26flash_attn_combine_resultsILi64EEvPKfPK15HIP_vector_typeIfLj2EEPfi ; -- Begin function _ZL26flash_attn_combine_resultsILi64EEvPKfPK15HIP_vector_typeIfLj2EEPfi
	.p2align	8
	.type	_ZL26flash_attn_combine_resultsILi64EEvPKfPK15HIP_vector_typeIfLj2EEPfi,@function
_ZL26flash_attn_combine_resultsILi64EEvPKfPK15HIP_vector_typeIfLj2EEPfi: ; @_ZL26flash_attn_combine_resultsILi64EEvPKfPK15HIP_vector_typeIfLj2EEPfi
; %bb.0:
	s_clause 0x2
	s_load_b64 s[2:3], s[0:1], 0x20
	s_load_b96 s[8:10], s[0:1], 0x10
	s_load_b128 s[4:7], s[0:1], 0x0
	s_lshr_b32 s0, ttmp7, 16
	v_lshlrev_b32_e32 v5, 2, v0
	s_mov_b32 s12, exec_lo
	s_wait_kmcnt 0x0
	s_mul_i32 s0, s2, s0
	s_and_b32 s2, ttmp7, 0xffff
	s_add_co_i32 s0, s0, ttmp9
	s_lshl_b32 s1, s10, 1
	s_mul_i32 s11, s0, s3
	s_delay_alu instid0(SALU_CYCLE_1) | instskip(NEXT) | instid1(SALU_CYCLE_1)
	s_add_co_i32 s11, s11, s2
	s_mul_i32 s2, s11, s10
	v_cmpx_gt_i32_e64 s1, v0
	s_cbranch_execz .LBB4_3
; %bb.1:
	s_ashr_i32 s3, s2, 31
	v_dual_mov_b32 v4, v0 :: v_dual_add_nc_u32 v3, 0, v5
	s_lshl_b64 s[14:15], s[2:3], 3
	s_mov_b32 s3, 0
	s_add_nc_u64 s[6:7], s[6:7], s[14:15]
	s_delay_alu instid0(SALU_CYCLE_1)
	v_add_co_u32 v1, s0, s6, v5
	s_wait_alu 0xf1ff
	v_add_co_ci_u32_e64 v2, null, s7, 0, s0
.LBB4_2:                                ; =>This Inner Loop Header: Depth=1
	global_load_b32 v6, v[1:2], off
	v_add_nc_u32_e32 v4, 64, v4
	v_add_co_u32 v1, vcc_lo, 0x100, v1
	s_wait_alu 0xfffd
	v_add_co_ci_u32_e64 v2, null, 0, v2, vcc_lo
	s_delay_alu instid0(VALU_DEP_3)
	v_cmp_le_i32_e64 s0, s1, v4
	s_or_b32 s3, s0, s3
	s_wait_loadcnt 0x0
	ds_store_b32 v3, v6
	v_add_nc_u32_e32 v3, 0x100, v3
	s_and_not1_b32 exec_lo, exec_lo, s3
	s_cbranch_execnz .LBB4_2
.LBB4_3:
	s_or_b32 exec_lo, exec_lo, s12
	v_mov_b32_e32 v1, 0
	s_wait_dscnt 0x0
	s_barrier_signal -1
	s_barrier_wait -1
	global_inv scope:SCOPE_SE
	ds_load_b32 v6, v1
	s_cmp_lt_i32 s10, 2
	s_cbranch_scc1 .LBB4_11
; %bb.4:
	s_add_co_i32 s1, s10, -2
	s_add_co_i32 s0, s10, -1
	s_wait_alu 0xfffe
	s_cmp_lt_u32 s1, 7
	s_cbranch_scc1 .LBB4_8
; %bb.5:
	s_mov_b32 s3, 0
	s_add_co_i32 s1, 0, 8
	s_and_b32 s6, s0, -8
.LBB4_6:                                ; =>This Inner Loop Header: Depth=1
	s_wait_alu 0xfffe
	v_mov_b32_e32 v9, s1
	s_mov_b32 s7, s3
	s_add_co_i32 s3, s3, 8
	s_add_co_i32 s1, s1, 64
	s_cmp_eq_u32 s6, s3
	ds_load_2addr_b32 v[1:2], v9 offset1:2
	ds_load_2addr_b32 v[3:4], v9 offset0:4 offset1:6
	ds_load_2addr_b32 v[7:8], v9 offset0:8 offset1:10
	;; [unrolled: 1-line block ×3, first 2 shown]
	s_wait_dscnt 0x3
	v_max3_num_f32 v1, v6, v1, v2
	s_wait_dscnt 0x2
	s_delay_alu instid0(VALU_DEP_1) | instskip(SKIP_1) | instid1(VALU_DEP_1)
	v_max3_num_f32 v1, v1, v3, v4
	s_wait_dscnt 0x1
	v_max3_num_f32 v1, v1, v7, v8
	s_wait_dscnt 0x0
	s_delay_alu instid0(VALU_DEP_1)
	v_max3_num_f32 v6, v1, v9, v10
	s_cbranch_scc0 .LBB4_6
; %bb.7:
	s_wait_alu 0xfffe
	s_add_co_i32 s1, s7, 9
	s_and_b32 s0, s0, 7
	s_wait_alu 0xfffe
	s_cmp_eq_u32 s0, 0
	s_cbranch_scc0 .LBB4_9
	s_branch .LBB4_11
.LBB4_8:
	s_mov_b32 s1, 1
	s_and_b32 s0, s0, 7
	s_wait_alu 0xfffe
	s_cmp_eq_u32 s0, 0
	s_cbranch_scc1 .LBB4_11
.LBB4_9:
	s_lshl_b32 s1, s1, 3
	s_wait_alu 0xfffe
	s_add_co_i32 s1, s1, 0
.LBB4_10:                               ; =>This Inner Loop Header: Depth=1
	s_wait_dscnt 0x0
	s_wait_alu 0xfffe
	s_delay_alu instid0(VALU_DEP_1)
	v_dual_mov_b32 v1, s1 :: v_dual_max_num_f32 v2, v6, v6
	s_add_co_i32 s0, s0, -1
	s_add_co_i32 s1, s1, 8
	s_wait_alu 0xfffe
	s_cmp_lg_u32 s0, 0
	ds_load_b32 v1, v1
	s_wait_dscnt 0x0
	v_max_num_f32_e32 v1, v1, v1
	s_delay_alu instid0(VALU_DEP_1)
	v_max_num_f32_e32 v6, v2, v1
	s_cbranch_scc1 .LBB4_10
.LBB4_11:
	s_cmp_lt_i32 s10, 1
	s_cbranch_scc1 .LBB4_16
; %bb.12:
	s_lshl_b32 s0, s2, 6
	s_wait_alu 0xfffe
	s_ashr_i32 s1, s0, 31
	s_wait_alu 0xfffe
	s_lshl_b64 s[0:1], s[0:1], 2
	s_cmp_lt_u32 s10, 8
	s_wait_alu 0xfffe
	s_add_nc_u64 s[6:7], s[4:5], s[0:1]
	s_cbranch_scc1 .LBB4_17
; %bb.13:
	v_or_b32_e32 v1, 0x1c0, v0
	v_dual_mov_b32 v4, 0 :: v_dual_mov_b32 v7, 0
	v_mov_b32_e32 v8, 0
	s_and_b32 s12, s10, 0x7ffffff8
	s_mov_b32 s13, 0
	s_mov_b32 s14, 0
.LBB4_14:                               ; =>This Inner Loop Header: Depth=1
	v_dual_mov_b32 v2, v4 :: v_dual_add_nc_u32 v3, 0xfffffe40, v1
	v_mov_b32_e32 v21, s14
	s_add_co_i32 s13, s13, 8
	s_add_co_i32 s14, s14, 64
	s_delay_alu instid0(VALU_DEP_2) | instskip(SKIP_3) | instid1(VALU_DEP_2)
	v_lshlrev_b64_e32 v[9:10], 2, v[3:4]
	v_add_nc_u32_e32 v3, 0xfffffe80, v1
	v_lshlrev_b64_e32 v[11:12], 2, v[1:2]
	s_cmp_eq_u32 s12, s13
	v_lshlrev_b64_e32 v[13:14], 2, v[3:4]
	s_wait_alu 0xfffe
	v_add_co_u32 v9, vcc_lo, s6, v9
	s_wait_alu 0xfffd
	v_add_co_ci_u32_e64 v10, null, s7, v10, vcc_lo
	v_add_nc_u32_e32 v3, 0xfffffec0, v1
	v_add_co_u32 v13, vcc_lo, s6, v13
	global_load_b32 v25, v[9:10], off
	s_wait_alu 0xfffd
	v_add_co_ci_u32_e64 v14, null, s7, v14, vcc_lo
	v_lshlrev_b64_e32 v[15:16], 2, v[3:4]
	v_add_nc_u32_e32 v3, 0xffffff00, v1
	global_load_b32 v26, v[13:14], off
	v_lshlrev_b64_e32 v[9:10], 2, v[3:4]
	v_add_nc_u32_e32 v3, 0xffffff40, v1
	v_add_co_u32 v13, vcc_lo, s6, v15
	s_wait_alu 0xfffd
	v_add_co_ci_u32_e64 v14, null, s7, v16, vcc_lo
	s_delay_alu instid0(VALU_DEP_4)
	v_add_co_u32 v9, vcc_lo, s6, v9
	v_lshlrev_b64_e32 v[15:16], 2, v[3:4]
	v_add_nc_u32_e32 v3, 0xffffff80, v1
	s_wait_alu 0xfffd
	v_add_co_ci_u32_e64 v10, null, s7, v10, vcc_lo
	s_clause 0x1
	global_load_b32 v27, v[13:14], off
	global_load_b32 v28, v[9:10], off
	v_lshlrev_b64_e32 v[13:14], 2, v[3:4]
	v_subrev_nc_u32_e32 v3, 64, v1
	v_add_co_u32 v9, vcc_lo, s6, v15
	s_wait_alu 0xfffd
	v_add_co_ci_u32_e64 v10, null, s7, v16, vcc_lo
	s_delay_alu instid0(VALU_DEP_4)
	v_add_co_u32 v13, vcc_lo, s6, v13
	v_lshlrev_b64_e32 v[2:3], 2, v[3:4]
	s_wait_alu 0xfffd
	v_add_co_ci_u32_e64 v14, null, s7, v14, vcc_lo
	s_clause 0x1
	global_load_b32 v29, v[9:10], off
	global_load_b32 v30, v[13:14], off
	v_add_co_u32 v2, vcc_lo, s6, v2
	s_wait_alu 0xfffd
	v_add_co_ci_u32_e64 v3, null, s7, v3, vcc_lo
	v_add_co_u32 v9, vcc_lo, s6, v11
	s_wait_alu 0xfffd
	v_add_co_ci_u32_e64 v10, null, s7, v12, vcc_lo
	s_clause 0x1
	global_load_b32 v2, v[2:3], off
	global_load_b32 v3, v[9:10], off
	ds_load_2addr_b64 v[9:12], v21 offset1:1
	ds_load_2addr_b64 v[13:16], v21 offset0:2 offset1:3
	ds_load_2addr_b64 v[17:20], v21 offset0:4 offset1:5
	;; [unrolled: 1-line block ×3, first 2 shown]
	v_add_nc_u32_e32 v1, 0x200, v1
	s_wait_dscnt 0x1
	v_sub_f32_e32 v19, v19, v6
	v_sub_f32_e32 v11, v11, v6
	s_wait_dscnt 0x0
	v_sub_f32_e32 v23, v23, v6
	s_delay_alu instid0(VALU_DEP_3) | instskip(NEXT) | instid1(VALU_DEP_3)
	v_dual_sub_f32 v13, v13, v6 :: v_dual_mul_f32 v36, 0x3fb8aa3b, v19
	v_mul_f32_e32 v32, 0x3fb8aa3b, v11
	s_delay_alu instid0(VALU_DEP_2) | instskip(SKIP_1) | instid1(VALU_DEP_4)
	v_dual_mul_f32 v38, 0x3fb8aa3b, v23 :: v_dual_mul_f32 v33, 0x3fb8aa3b, v13
	v_cmp_ngt_f32_e32 vcc_lo, 0xc2ce8ed0, v13
	v_xor_b32_e32 v49, 0x80000000, v36
	s_delay_alu instid0(VALU_DEP_4) | instskip(SKIP_4) | instid1(VALU_DEP_4)
	v_xor_b32_e32 v41, 0x80000000, v32
	v_rndne_f32_e32 v42, v32
	v_xor_b32_e32 v43, 0x80000000, v33
	v_rndne_f32_e32 v44, v33
	v_xor_b32_e32 v53, 0x80000000, v38
	v_dual_fmac_f32 v41, 0x3fb8aa3b, v11 :: v_dual_sub_f32 v32, v32, v42
	s_delay_alu instid0(VALU_DEP_4) | instskip(NEXT) | instid1(VALU_DEP_4)
	v_fmac_f32_e32 v43, 0x3fb8aa3b, v13
	v_sub_f32_e32 v33, v33, v44
	v_cvt_i32_f32_e32 v42, v42
	s_delay_alu instid0(VALU_DEP_4)
	v_fmac_f32_e32 v41, 0x32a5705f, v11
	v_sub_f32_e32 v15, v15, v6
	v_fmac_f32_e32 v43, 0x32a5705f, v13
	v_cvt_i32_f32_e32 v44, v44
	v_rndne_f32_e32 v54, v38
	v_dual_add_f32 v32, v32, v41 :: v_dual_sub_f32 v9, v9, v6
	v_mul_f32_e32 v34, 0x3fb8aa3b, v15
	v_add_f32_e32 v33, v33, v43
	v_cmp_ngt_f32_e64 s0, 0xc2ce8ed0, v15
	s_delay_alu instid0(VALU_DEP_4)
	v_exp_f32_e32 v32, v32
	v_mul_f32_e32 v31, 0x3fb8aa3b, v9
	v_xor_b32_e32 v45, 0x80000000, v34
	v_rndne_f32_e32 v46, v34
	v_exp_f32_e32 v33, v33
	v_cmp_ngt_f32_e64 s5, 0xc2ce8ed0, v9
	v_xor_b32_e32 v39, 0x80000000, v31
	v_rndne_f32_e32 v40, v31
	v_dual_fmac_f32 v45, 0x3fb8aa3b, v15 :: v_dual_sub_f32 v34, v34, v46
	s_delay_alu instid0(TRANS32_DEP_2) | instskip(NEXT) | instid1(VALU_DEP_4)
	v_ldexp_f32 v32, v32, v42
	v_fmac_f32_e32 v39, 0x3fb8aa3b, v9
	s_delay_alu instid0(VALU_DEP_4)
	v_sub_f32_e32 v31, v31, v40
	v_cvt_i32_f32_e32 v40, v40
	v_fmac_f32_e32 v45, 0x32a5705f, v15
	v_sub_f32_e32 v17, v17, v6
	v_fmac_f32_e32 v39, 0x32a5705f, v9
	v_ldexp_f32 v33, v33, v44
	v_cvt_i32_f32_e32 v46, v46
	v_add_f32_e32 v34, v34, v45
	v_cmp_ngt_f32_e64 s1, 0xc2ce8ed0, v17
	v_dual_add_f32 v31, v31, v39 :: v_dual_sub_f32 v38, v38, v54
	v_rndne_f32_e32 v50, v36
	s_delay_alu instid0(VALU_DEP_4) | instskip(SKIP_1) | instid1(VALU_DEP_3)
	v_exp_f32_e32 v34, v34
	v_fmac_f32_e32 v49, 0x3fb8aa3b, v19
	v_exp_f32_e32 v31, v31
	v_cvt_i32_f32_e32 v54, v54
	v_sub_f32_e32 v36, v36, v50
	v_cvt_i32_f32_e32 v50, v50
	v_fmac_f32_e32 v49, 0x32a5705f, v19
	s_delay_alu instid0(TRANS32_DEP_2) | instskip(NEXT) | instid1(VALU_DEP_2)
	v_ldexp_f32 v34, v34, v46
	v_add_f32_e32 v36, v36, v49
	s_delay_alu instid0(TRANS32_DEP_1) | instskip(SKIP_1) | instid1(VALU_DEP_3)
	v_ldexp_f32 v31, v31, v40
	v_cmp_ngt_f32_e64 s2, 0xc2ce8ed0, v19
	v_exp_f32_e32 v36, v36
	s_wait_alu 0xf1ff
	s_delay_alu instid0(VALU_DEP_2) | instskip(SKIP_2) | instid1(VALU_DEP_1)
	v_cndmask_b32_e64 v31, 0, v31, s5
	v_cmp_ngt_f32_e64 s5, 0xc2ce8ed0, v11
	s_wait_alu 0xf1ff
	v_cndmask_b32_e64 v32, 0, v32, s5
	v_cmp_nlt_f32_e64 s5, 0x42b17218, v9
	s_delay_alu instid0(TRANS32_DEP_1) | instskip(SKIP_1) | instid1(VALU_DEP_2)
	v_ldexp_f32 v36, v36, v50
	s_wait_alu 0xf1ff
	v_cndmask_b32_e64 v9, 0x7f800000, v31, s5
	s_wait_alu 0xfffd
	v_cndmask_b32_e32 v31, 0, v33, vcc_lo
	v_cmp_nlt_f32_e32 vcc_lo, 0x42b17218, v11
	s_wait_alu 0xfffd
	v_dual_fmac_f32 v8, v9, v10 :: v_dual_cndmask_b32 v11, 0x7f800000, v32
	v_cmp_nlt_f32_e32 vcc_lo, 0x42b17218, v13
	s_delay_alu instid0(VALU_DEP_2)
	v_fmac_f32_e32 v8, v11, v12
	s_wait_alu 0xfffd
	v_cndmask_b32_e32 v10, 0x7f800000, v31, vcc_lo
	v_cmp_nlt_f32_e32 vcc_lo, 0x42b17218, v15
	v_fmac_f32_e32 v53, 0x3fb8aa3b, v23
	v_cmp_ngt_f32_e64 s4, 0xc2ce8ed0, v23
	s_delay_alu instid0(VALU_DEP_2) | instskip(NEXT) | instid1(VALU_DEP_1)
	v_dual_fmac_f32 v8, v10, v14 :: v_dual_fmac_f32 v53, 0x32a5705f, v23
	v_dual_sub_f32 v21, v21, v6 :: v_dual_add_f32 v38, v38, v53
	s_delay_alu instid0(VALU_DEP_1) | instskip(NEXT) | instid1(VALU_DEP_2)
	v_cmp_ngt_f32_e64 s3, 0xc2ce8ed0, v21
	v_exp_f32_e32 v38, v38
	s_delay_alu instid0(TRANS32_DEP_1) | instskip(SKIP_4) | instid1(VALU_DEP_1)
	v_ldexp_f32 v38, v38, v54
	s_wait_loadcnt 0x7
	v_fmac_f32_e32 v7, v25, v9
	v_cndmask_b32_e64 v9, 0, v34, s0
	s_wait_alu 0xfffd
	v_cndmask_b32_e32 v9, 0x7f800000, v9, vcc_lo
	v_mul_f32_e32 v35, 0x3fb8aa3b, v17
	s_wait_loadcnt 0x6
	v_fmac_f32_e32 v7, v26, v11
	v_cmp_nlt_f32_e32 vcc_lo, 0x42b17218, v17
	v_fmac_f32_e32 v8, v9, v16
	v_xor_b32_e32 v47, 0x80000000, v35
	v_rndne_f32_e32 v48, v35
	s_delay_alu instid0(VALU_DEP_2) | instskip(NEXT) | instid1(VALU_DEP_2)
	v_fmac_f32_e32 v47, 0x3fb8aa3b, v17
	v_sub_f32_e32 v35, v35, v48
	v_cvt_i32_f32_e32 v48, v48
	s_wait_loadcnt 0x5
	v_fmac_f32_e32 v7, v27, v10
	v_fmac_f32_e32 v47, 0x32a5705f, v17
	v_cndmask_b32_e64 v10, 0, v36, s2
	s_wait_loadcnt 0x4
	s_delay_alu instid0(VALU_DEP_3) | instskip(NEXT) | instid1(VALU_DEP_3)
	v_fmac_f32_e32 v7, v28, v9
	v_add_f32_e32 v35, v35, v47
	s_delay_alu instid0(VALU_DEP_1) | instskip(NEXT) | instid1(TRANS32_DEP_1)
	v_exp_f32_e32 v35, v35
	v_ldexp_f32 v35, v35, v48
	s_delay_alu instid0(VALU_DEP_1) | instskip(SKIP_1) | instid1(VALU_DEP_1)
	v_cndmask_b32_e64 v11, 0, v35, s1
	s_wait_alu 0xfffd
	v_cndmask_b32_e32 v11, 0x7f800000, v11, vcc_lo
	v_mul_f32_e32 v37, 0x3fb8aa3b, v21
	v_cmp_nlt_f32_e32 vcc_lo, 0x42b17218, v19
	s_delay_alu instid0(VALU_DEP_3) | instskip(NEXT) | instid1(VALU_DEP_3)
	v_fmac_f32_e32 v8, v11, v18
	v_xor_b32_e32 v51, 0x80000000, v37
	v_rndne_f32_e32 v52, v37
	s_wait_loadcnt 0x3
	s_wait_alu 0xfffd
	v_dual_cndmask_b32 v10, 0x7f800000, v10 :: v_dual_fmac_f32 v7, v29, v11
	v_cmp_nlt_f32_e32 vcc_lo, 0x42b17218, v21
	v_fmac_f32_e32 v51, 0x3fb8aa3b, v21
	v_sub_f32_e32 v37, v37, v52
	v_cvt_i32_f32_e32 v52, v52
	s_wait_alu 0xf1ff
	v_cndmask_b32_e64 v11, 0, v38, s4
	v_dual_fmac_f32 v8, v10, v20 :: v_dual_fmac_f32 v51, 0x32a5705f, v21
	s_wait_loadcnt 0x2
	v_fmac_f32_e32 v7, v30, v10
	s_delay_alu instid0(VALU_DEP_2) | instskip(NEXT) | instid1(VALU_DEP_1)
	v_add_f32_e32 v37, v37, v51
	v_exp_f32_e32 v37, v37
	s_delay_alu instid0(TRANS32_DEP_1) | instskip(NEXT) | instid1(VALU_DEP_1)
	v_ldexp_f32 v37, v37, v52
	v_cndmask_b32_e64 v9, 0, v37, s3
	s_wait_alu 0xfffd
	s_delay_alu instid0(VALU_DEP_1) | instskip(SKIP_1) | instid1(VALU_DEP_2)
	v_cndmask_b32_e32 v9, 0x7f800000, v9, vcc_lo
	v_cmp_nlt_f32_e32 vcc_lo, 0x42b17218, v23
	v_fmac_f32_e32 v8, v9, v22
	s_wait_loadcnt 0x1
	s_wait_alu 0xfffd
	v_dual_cndmask_b32 v10, 0x7f800000, v11 :: v_dual_fmac_f32 v7, v2, v9
	s_wait_loadcnt 0x0
	s_delay_alu instid0(VALU_DEP_1)
	v_dual_fmac_f32 v8, v10, v24 :: v_dual_fmac_f32 v7, v3, v10
	s_cbranch_scc0 .LBB4_14
; %bb.15:
	s_and_b32 s0, s10, 7
	s_wait_alu 0xfffe
	s_cmp_eq_u32 s0, 0
	s_cbranch_scc0 .LBB4_18
	s_branch .LBB4_20
.LBB4_16:
	v_mov_b32_e32 v0, 0x7fc00000
	s_branch .LBB4_21
.LBB4_17:
	v_dual_mov_b32 v7, 0 :: v_dual_mov_b32 v8, 0
	s_mov_b32 s12, 0
	s_and_b32 s0, s10, 7
	s_wait_alu 0xfffe
	s_cmp_eq_u32 s0, 0
	s_cbranch_scc1 .LBB4_20
.LBB4_18:
	v_lshl_or_b32 v0, s12, 6, v0
	v_mov_b32_e32 v1, 0
	s_lshl_b32 s1, s12, 3
	s_wait_alu 0xfffe
	s_add_co_i32 s1, s1, 0
.LBB4_19:                               ; =>This Inner Loop Header: Depth=1
	s_delay_alu instid0(VALU_DEP_1) | instskip(SKIP_2) | instid1(VALU_DEP_2)
	v_lshlrev_b64_e32 v[2:3], 2, v[0:1]
	s_add_co_i32 s0, s0, -1
	v_add_nc_u32_e32 v0, 64, v0
	v_add_co_u32 v2, vcc_lo, s6, v2
	s_wait_alu 0xfffd
	s_delay_alu instid0(VALU_DEP_3)
	v_add_co_ci_u32_e64 v3, null, s7, v3, vcc_lo
	global_load_b32 v4, v[2:3], off
	s_wait_alu 0xfffe
	v_mov_b32_e32 v2, s1
	s_add_co_i32 s1, s1, 8
	s_cmp_lg_u32 s0, 0
	ds_load_b64 v[2:3], v2
	s_wait_dscnt 0x0
	v_sub_f32_e32 v2, v2, v6
	s_delay_alu instid0(VALU_DEP_1) | instskip(SKIP_1) | instid1(VALU_DEP_2)
	v_mul_f32_e32 v9, 0x3fb8aa3b, v2
	v_cmp_ngt_f32_e32 vcc_lo, 0xc2ce8ed0, v2
	v_xor_b32_e32 v10, 0x80000000, v9
	v_rndne_f32_e32 v11, v9
	s_delay_alu instid0(VALU_DEP_1) | instskip(NEXT) | instid1(VALU_DEP_1)
	v_dual_fmac_f32 v10, 0x3fb8aa3b, v2 :: v_dual_sub_f32 v9, v9, v11
	v_fmac_f32_e32 v10, 0x32a5705f, v2
	s_delay_alu instid0(VALU_DEP_1) | instskip(SKIP_1) | instid1(VALU_DEP_2)
	v_add_f32_e32 v9, v9, v10
	v_cvt_i32_f32_e32 v10, v11
	v_exp_f32_e32 v9, v9
	s_delay_alu instid0(TRANS32_DEP_1) | instskip(SKIP_1) | instid1(VALU_DEP_1)
	v_ldexp_f32 v9, v9, v10
	s_wait_alu 0xfffd
	v_cndmask_b32_e32 v9, 0, v9, vcc_lo
	v_cmp_nlt_f32_e32 vcc_lo, 0x42b17218, v2
	s_wait_alu 0xfffd
	s_delay_alu instid0(VALU_DEP_2) | instskip(SKIP_1) | instid1(VALU_DEP_1)
	v_cndmask_b32_e32 v2, 0x7f800000, v9, vcc_lo
	s_wait_loadcnt 0x0
	v_dual_fmac_f32 v8, v2, v3 :: v_dual_fmac_f32 v7, v4, v2
	s_cbranch_scc1 .LBB4_19
.LBB4_20:
	s_delay_alu instid0(VALU_DEP_1) | instskip(NEXT) | instid1(VALU_DEP_1)
	v_div_scale_f32 v0, null, v8, v8, v7
	v_rcp_f32_e32 v1, v0
	s_delay_alu instid0(TRANS32_DEP_1) | instskip(NEXT) | instid1(VALU_DEP_1)
	v_fma_f32 v2, -v0, v1, 1.0
	v_fmac_f32_e32 v1, v2, v1
	v_div_scale_f32 v2, vcc_lo, v7, v8, v7
	s_delay_alu instid0(VALU_DEP_1) | instskip(NEXT) | instid1(VALU_DEP_1)
	v_mul_f32_e32 v3, v2, v1
	v_fma_f32 v4, -v0, v3, v2
	s_delay_alu instid0(VALU_DEP_1) | instskip(NEXT) | instid1(VALU_DEP_1)
	v_fmac_f32_e32 v3, v4, v1
	v_fma_f32 v0, -v0, v3, v2
	s_wait_alu 0xfffd
	s_delay_alu instid0(VALU_DEP_1) | instskip(NEXT) | instid1(VALU_DEP_1)
	v_div_fmas_f32 v0, v0, v1, v3
	v_div_fixup_f32 v0, v0, v8, v7
.LBB4_21:
	s_lshl_b32 s0, s11, 6
	s_wait_alu 0xfffe
	s_ashr_i32 s1, s0, 31
	s_wait_alu 0xfffe
	s_lshl_b64 s[0:1], s[0:1], 2
	s_wait_alu 0xfffe
	s_add_nc_u64 s[0:1], s[8:9], s[0:1]
	global_store_b32 v5, v0, s[0:1]
	s_endpgm
	.section	.rodata,"a",@progbits
	.p2align	6, 0x0
	.amdhsa_kernel _ZL26flash_attn_combine_resultsILi64EEvPKfPK15HIP_vector_typeIfLj2EEPfi
		.amdhsa_group_segment_fixed_size 0
		.amdhsa_private_segment_fixed_size 0
		.amdhsa_kernarg_size 288
		.amdhsa_user_sgpr_count 2
		.amdhsa_user_sgpr_dispatch_ptr 0
		.amdhsa_user_sgpr_queue_ptr 0
		.amdhsa_user_sgpr_kernarg_segment_ptr 1
		.amdhsa_user_sgpr_dispatch_id 0
		.amdhsa_user_sgpr_private_segment_size 0
		.amdhsa_wavefront_size32 1
		.amdhsa_uses_dynamic_stack 0
		.amdhsa_enable_private_segment 0
		.amdhsa_system_sgpr_workgroup_id_x 1
		.amdhsa_system_sgpr_workgroup_id_y 1
		.amdhsa_system_sgpr_workgroup_id_z 1
		.amdhsa_system_sgpr_workgroup_info 0
		.amdhsa_system_vgpr_workitem_id 0
		.amdhsa_next_free_vgpr 55
		.amdhsa_next_free_sgpr 16
		.amdhsa_reserve_vcc 1
		.amdhsa_float_round_mode_32 0
		.amdhsa_float_round_mode_16_64 0
		.amdhsa_float_denorm_mode_32 3
		.amdhsa_float_denorm_mode_16_64 3
		.amdhsa_fp16_overflow 0
		.amdhsa_workgroup_processor_mode 1
		.amdhsa_memory_ordered 1
		.amdhsa_forward_progress 1
		.amdhsa_inst_pref_size 20
		.amdhsa_round_robin_scheduling 0
		.amdhsa_exception_fp_ieee_invalid_op 0
		.amdhsa_exception_fp_denorm_src 0
		.amdhsa_exception_fp_ieee_div_zero 0
		.amdhsa_exception_fp_ieee_overflow 0
		.amdhsa_exception_fp_ieee_underflow 0
		.amdhsa_exception_fp_ieee_inexact 0
		.amdhsa_exception_int_div_zero 0
	.end_amdhsa_kernel
	.section	.text._ZL26flash_attn_combine_resultsILi64EEvPKfPK15HIP_vector_typeIfLj2EEPfi,"axG",@progbits,_ZL26flash_attn_combine_resultsILi64EEvPKfPK15HIP_vector_typeIfLj2EEPfi,comdat
.Lfunc_end4:
	.size	_ZL26flash_attn_combine_resultsILi64EEvPKfPK15HIP_vector_typeIfLj2EEPfi, .Lfunc_end4-_ZL26flash_attn_combine_resultsILi64EEvPKfPK15HIP_vector_typeIfLj2EEPfi
                                        ; -- End function
	.set _ZL26flash_attn_combine_resultsILi64EEvPKfPK15HIP_vector_typeIfLj2EEPfi.num_vgpr, 55
	.set _ZL26flash_attn_combine_resultsILi64EEvPKfPK15HIP_vector_typeIfLj2EEPfi.num_agpr, 0
	.set _ZL26flash_attn_combine_resultsILi64EEvPKfPK15HIP_vector_typeIfLj2EEPfi.numbered_sgpr, 16
	.set _ZL26flash_attn_combine_resultsILi64EEvPKfPK15HIP_vector_typeIfLj2EEPfi.num_named_barrier, 0
	.set _ZL26flash_attn_combine_resultsILi64EEvPKfPK15HIP_vector_typeIfLj2EEPfi.private_seg_size, 0
	.set _ZL26flash_attn_combine_resultsILi64EEvPKfPK15HIP_vector_typeIfLj2EEPfi.uses_vcc, 1
	.set _ZL26flash_attn_combine_resultsILi64EEvPKfPK15HIP_vector_typeIfLj2EEPfi.uses_flat_scratch, 0
	.set _ZL26flash_attn_combine_resultsILi64EEvPKfPK15HIP_vector_typeIfLj2EEPfi.has_dyn_sized_stack, 0
	.set _ZL26flash_attn_combine_resultsILi64EEvPKfPK15HIP_vector_typeIfLj2EEPfi.has_recursion, 0
	.set _ZL26flash_attn_combine_resultsILi64EEvPKfPK15HIP_vector_typeIfLj2EEPfi.has_indirect_call, 0
	.section	.AMDGPU.csdata,"",@progbits
; Kernel info:
; codeLenInByte = 2548
; TotalNumSgprs: 18
; NumVgprs: 55
; ScratchSize: 0
; MemoryBound: 0
; FloatMode: 240
; IeeeMode: 1
; LDSByteSize: 0 bytes/workgroup (compile time only)
; SGPRBlocks: 0
; VGPRBlocks: 6
; NumSGPRsForWavesPerEU: 18
; NumVGPRsForWavesPerEU: 55
; Occupancy: 16
; WaveLimiterHint : 0
; COMPUTE_PGM_RSRC2:SCRATCH_EN: 0
; COMPUTE_PGM_RSRC2:USER_SGPR: 2
; COMPUTE_PGM_RSRC2:TRAP_HANDLER: 0
; COMPUTE_PGM_RSRC2:TGID_X_EN: 1
; COMPUTE_PGM_RSRC2:TGID_Y_EN: 1
; COMPUTE_PGM_RSRC2:TGID_Z_EN: 1
; COMPUTE_PGM_RSRC2:TIDIG_COMP_CNT: 0
	.section	.text._ZL15flash_attn_tileILi64ELi64ELi4ELi8ELb0EEvPKcS1_S1_S1_S1_PKiPfP15HIP_vector_typeIfLj2EEffffjfiS5_IjLj3EEiiiiiiiiiiiliiliiiiil,"axG",@progbits,_ZL15flash_attn_tileILi64ELi64ELi4ELi8ELb0EEvPKcS1_S1_S1_S1_PKiPfP15HIP_vector_typeIfLj2EEffffjfiS5_IjLj3EEiiiiiiiiiiiliiliiiiil,comdat
	.globl	_ZL15flash_attn_tileILi64ELi64ELi4ELi8ELb0EEvPKcS1_S1_S1_S1_PKiPfP15HIP_vector_typeIfLj2EEffffjfiS5_IjLj3EEiiiiiiiiiiiliiliiiiil ; -- Begin function _ZL15flash_attn_tileILi64ELi64ELi4ELi8ELb0EEvPKcS1_S1_S1_S1_PKiPfP15HIP_vector_typeIfLj2EEffffjfiS5_IjLj3EEiiiiiiiiiiiliiliiiiil
	.p2align	8
	.type	_ZL15flash_attn_tileILi64ELi64ELi4ELi8ELb0EEvPKcS1_S1_S1_S1_PKiPfP15HIP_vector_typeIfLj2EEffffjfiS5_IjLj3EEiiiiiiiiiiiliiliiiiil,@function
_ZL15flash_attn_tileILi64ELi64ELi4ELi8ELb0EEvPKcS1_S1_S1_S1_PKiPfP15HIP_vector_typeIfLj2EEffffjfiS5_IjLj3EEiiiiiiiiiiiliiliiiiil: ; @_ZL15flash_attn_tileILi64ELi64ELi4ELi8ELb0EEvPKcS1_S1_S1_S1_PKiPfP15HIP_vector_typeIfLj2EEffffjfiS5_IjLj3EEiiiiiiiiiiiliiliiiiil
; %bb.0:
	s_clause 0x1
	s_load_b128 s[20:23], s[0:1], 0x5c
	s_load_b64 s[30:31], s[0:1], 0x80
	s_lshr_b32 s5, ttmp7, 16
	s_load_b64 s[38:39], s[0:1], 0xb8
	s_mov_b32 s37, 0
	s_mov_b64 s[34:35], 0
	s_wait_kmcnt 0x0
	s_ashr_i32 s2, s23, 31
	s_delay_alu instid0(SALU_CYCLE_1) | instskip(NEXT) | instid1(SALU_CYCLE_1)
	s_lshr_b32 s2, s2, 29
	s_add_co_i32 s2, s23, s2
	s_delay_alu instid0(SALU_CYCLE_1) | instskip(NEXT) | instid1(SALU_CYCLE_1)
	s_ashr_i32 s2, s2, 3
	s_cvt_f32_u32 s3, s2
	s_sub_co_i32 s4, 0, s2
	s_delay_alu instid0(SALU_CYCLE_2) | instskip(NEXT) | instid1(TRANS32_DEP_1)
	v_rcp_iflag_f32_e32 v1, s3
	v_readfirstlane_b32 s3, v1
	s_mul_f32 s3, s3, 0x4f7ffffe
	s_wait_alu 0xfffe
	s_delay_alu instid0(SALU_CYCLE_2) | instskip(SKIP_1) | instid1(SALU_CYCLE_2)
	s_cvt_u32_f32 s3, s3
	s_wait_alu 0xfffe
	s_mul_i32 s4, s4, s3
	s_delay_alu instid0(SALU_CYCLE_1) | instskip(NEXT) | instid1(SALU_CYCLE_1)
	s_mul_hi_u32 s4, s3, s4
	s_add_co_i32 s3, s3, s4
	s_wait_alu 0xfffe
	s_mul_hi_u32 s3, s5, s3
	s_wait_alu 0xfffe
	s_mul_i32 s4, s3, s2
	s_add_co_i32 s6, s3, 1
	s_sub_co_i32 s4, s5, s4
	s_delay_alu instid0(SALU_CYCLE_1)
	s_sub_co_i32 s7, s4, s2
	s_cmp_ge_u32 s4, s2
	s_cselect_b32 s3, s6, s3
	s_cselect_b32 s4, s7, s4
	s_wait_alu 0xfffe
	s_add_co_i32 s6, s3, 1
	s_cmp_ge_u32 s4, s2
	s_cselect_b32 s2, s6, s3
	s_abs_i32 s3, s31
	s_abs_i32 s8, s23
	s_wait_alu 0xfffe
	s_cvt_f32_u32 s4, s3
	s_sub_co_i32 s6, 0, s3
	s_lshl_b32 s5, s5, 3
	s_mul_i32 s7, s2, s23
	v_rcp_iflag_f32_e32 v1, s4
	s_sub_co_i32 s28, s5, s7
	s_xor_b32 s5, s23, s31
	s_wait_alu 0xfffe
	s_ashr_i32 s24, s5, 31
	s_delay_alu instid0(TRANS32_DEP_1) | instskip(SKIP_2) | instid1(SALU_CYCLE_2)
	v_readfirstlane_b32 s4, v1
	s_mul_f32 s4, s4, 0x4f7ffffe
	s_wait_alu 0xfffe
	s_cvt_u32_f32 s4, s4
	s_wait_alu 0xfffe
	s_delay_alu instid0(SALU_CYCLE_2) | instskip(NEXT) | instid1(SALU_CYCLE_1)
	s_mul_i32 s6, s6, s4
	s_mul_hi_u32 s6, s4, s6
	s_delay_alu instid0(SALU_CYCLE_1) | instskip(SKIP_4) | instid1(SALU_CYCLE_1)
	s_add_co_i32 s4, s4, s6
	s_wait_alu 0xfffe
	s_mul_hi_u32 s4, s8, s4
	s_wait_alu 0xfffe
	s_mul_i32 s6, s4, s3
	s_sub_co_i32 s5, s8, s6
	s_add_co_i32 s6, s4, 1
	s_wait_alu 0xfffe
	s_sub_co_i32 s7, s5, s3
	s_cmp_ge_u32 s5, s3
	s_cselect_b32 s4, s6, s4
	s_cselect_b32 s5, s7, s5
	s_wait_alu 0xfffe
	s_add_co_i32 s6, s4, 1
	s_cmp_ge_u32 s5, s3
	s_cselect_b32 s3, s6, s4
	s_load_b512 s[4:19], s[0:1], 0x0
	s_xor_b32 s3, s3, s24
	s_wait_alu 0xfffe
	s_sub_co_i32 s31, s3, s24
	s_delay_alu instid0(SALU_CYCLE_1) | instskip(NEXT) | instid1(SALU_CYCLE_1)
	s_abs_i32 s29, s31
	s_cvt_f32_u32 s3, s29
	s_wait_alu 0xfffe
	s_delay_alu instid0(SALU_CYCLE_2) | instskip(SKIP_2) | instid1(TRANS32_DEP_1)
	v_rcp_iflag_f32_e32 v1, s3
	s_wait_kmcnt 0x0
	s_cmp_eq_u64 s[10:11], 0
	v_readfirstlane_b32 s24, v1
	s_cbranch_scc1 .LBB5_2
; %bb.1:
	s_abs_i32 s3, s38
	s_wait_alu 0xfffe
	s_cvt_f32_u32 s25, s3
	s_sub_co_i32 s26, 0, s3
	s_delay_alu instid0(SALU_CYCLE_2) | instskip(NEXT) | instid1(TRANS32_DEP_1)
	v_rcp_iflag_f32_e32 v1, s25
	v_readfirstlane_b32 s25, v1
	s_mul_f32 s25, s25, 0x4f7ffffe
	s_wait_alu 0xfffe
	s_delay_alu instid0(SALU_CYCLE_2) | instskip(SKIP_1) | instid1(SALU_CYCLE_2)
	s_cvt_u32_f32 s25, s25
	s_wait_alu 0xfffe
	s_mul_i32 s26, s26, s25
	s_delay_alu instid0(SALU_CYCLE_1)
	s_mul_hi_u32 s33, s25, s26
	s_load_b64 s[26:27], s[0:1], 0xc8
	s_add_co_i32 s25, s25, s33
	s_wait_alu 0xfffe
	s_mul_hi_u32 s25, s2, s25
	s_wait_alu 0xfffe
	s_mul_i32 s25, s25, s3
	s_wait_alu 0xfffe
	s_sub_co_i32 s25, s2, s25
	s_wait_alu 0xfffe
	s_sub_co_i32 s33, s25, s3
	s_cmp_ge_u32 s25, s3
	s_cselect_b32 s25, s33, s25
	s_wait_alu 0xfffe
	s_sub_co_i32 s33, s25, s3
	s_cmp_ge_u32 s25, s3
	s_cselect_b32 s34, s33, s25
	s_delay_alu instid0(SALU_CYCLE_1) | instskip(SKIP_2) | instid1(SALU_CYCLE_1)
	s_ashr_i32 s35, s34, 31
	s_wait_kmcnt 0x0
	s_mul_u64 s[26:27], s[26:27], s[34:35]
	s_add_nc_u64 s[34:35], s[10:11], s[26:27]
.LBB5_2:
	v_bfe_u32 v2, v0, 10, 10
	s_load_b96 s[40:42], s[0:1], 0x70
	v_and_b32_e32 v24, 0x3ff, v0
	s_delay_alu instid0(VALU_DEP_2) | instskip(NEXT) | instid1(VALU_DEP_2)
	v_lshl_add_u32 v25, ttmp9, 2, v2
	v_lshlrev_b32_e32 v0, 3, v24
	s_delay_alu instid0(VALU_DEP_2) | instskip(NEXT) | instid1(VALU_DEP_1)
	v_mul_hi_u32 v1, s20, v25
	v_add_nc_u32_e32 v1, v25, v1
	s_wait_kmcnt 0x0
	s_ashr_i32 s11, s40, 31
	s_mov_b32 s10, s40
	s_delay_alu instid0(VALU_DEP_1)
	v_lshrrev_b32_e32 v1, s21, v1
	s_lshr_b64 s[20:21], s[10:11], 2
	s_lshr_b32 s3, s11, 2
	s_mul_i32 s10, s2, s42
	s_ashr_i32 s27, s41, 31
	v_mul_lo_u32 v1, v1, s22
	s_ashr_i32 s11, s10, 31
	s_mov_b32 s26, s41
	s_add_nc_u64 s[4:5], s[4:5], s[10:11]
	s_and_b32 s40, s41, -4
	s_lshr_b64 s[42:43], s[26:27], 2
	s_delay_alu instid0(VALU_DEP_1) | instskip(SKIP_1) | instid1(VALU_DEP_1)
	v_sub_nc_u32_e32 v1, v25, v1
	s_wait_alu 0xfffe
	v_mad_co_u64_u32 v[3:4], null, s20, v1, 0
	s_mul_i32 s20, s28, s41
	s_and_b32 s41, s27, 0x3fffffff
	s_wait_alu 0xfffe
	s_ashr_i32 s21, s20, 31
	s_lshl_b64 s[10:11], s[40:41], 2
	s_wait_alu 0xfffe
	s_add_nc_u64 s[4:5], s[4:5], s[20:21]
	v_mad_co_u64_u32 v[4:5], null, s3, v1, v[4:5]
	s_lshr_b32 s3, s27, 2
	v_lshlrev_b64_e32 v[3:4], 2, v[3:4]
	s_wait_alu 0xfffe
	s_delay_alu instid0(VALU_DEP_1) | instskip(NEXT) | instid1(VALU_DEP_1)
	v_add_co_u32 v3, vcc_lo, s4, v3
	v_add_co_ci_u32_e64 v4, null, s5, v4, vcc_lo
	s_lshl_b64 s[4:5], s[42:43], 3
	v_add_co_u32 v3, vcc_lo, v3, v0
	s_wait_alu 0xfffd
	v_add_co_ci_u32_e64 v4, null, 0, v4, vcc_lo
	s_cmp_eq_u64 s[14:15], 0
	v_add_co_u32 v5, vcc_lo, v3, s40
	s_wait_alu 0xfffd
	v_add_co_ci_u32_e64 v6, null, s27, v4, vcc_lo
	s_wait_alu 0xfffe
	v_add_co_u32 v7, vcc_lo, v3, s4
	s_wait_alu 0xfffd
	v_add_co_ci_u32_e64 v8, null, s5, v4, vcc_lo
	v_add_co_u32 v11, vcc_lo, v3, s10
	s_wait_alu 0xfffd
	v_add_co_ci_u32_e64 v12, null, s11, v4, vcc_lo
	v_mad_co_u64_u32 v[9:10], null, s42, 12, v[3:4]
	v_mad_co_u64_u32 v[13:14], null, s42, 20, v[3:4]
	;; [unrolled: 1-line block ×4, first 2 shown]
	s_clause 0x3
	global_load_b64 v[3:4], v[3:4], off
	global_load_b64 v[5:6], v[5:6], off
	;; [unrolled: 1-line block ×4, first 2 shown]
	v_mov_b32_e32 v0, v10
	v_mov_b32_e32 v10, v14
	;; [unrolled: 1-line block ×4, first 2 shown]
	s_delay_alu instid0(VALU_DEP_4) | instskip(SKIP_1) | instid1(VALU_DEP_1)
	v_mad_co_u64_u32 v[18:19], null, s3, 12, v[0:1]
	v_lshlrev_b32_e32 v0, 10, v2
	v_add_nc_u32_e32 v23, 0x3400, v0
	s_wait_loadcnt 0x0
	v_mad_co_u64_u32 v[19:20], null, s3, 20, v[10:11]
	v_mad_co_u64_u32 v[20:21], null, s3, 24, v[14:15]
	;; [unrolled: 1-line block ×3, first 2 shown]
	s_load_b32 s3, s[0:1], 0x40
	s_wait_kmcnt 0x0
	v_fma_mixlo_f16 v7, s3, v7, 0
	v_mov_b32_e32 v10, v18
	v_fma_mixlo_f16 v5, s3, v5, 0
	v_fma_mixlo_f16 v6, s3, v6, 0
	v_fma_mixlo_f16 v8, s3, v8, 0
	v_and_b32_e32 v7, 0xffff, v7
	global_load_b64 v[9:10], v[9:10], off
	v_and_b32_e32 v5, 0xffff, v5
	v_lshlrev_b32_e32 v6, 16, v6
	v_lshlrev_b32_e32 v8, 16, v8
	v_fma_mixlo_f16 v11, s3, v11, 0
	v_mov_b32_e32 v14, v19
	v_mov_b32_e32 v18, v21
	v_or_b32_e32 v5, v6, v5
	v_or_b32_e32 v6, v8, v7
	v_and_b32_e32 v11, 0xffff, v11
	v_fma_mixlo_f16 v4, s3, v4, 0
	v_fma_mixlo_f16 v3, s3, v3, 0
	;; [unrolled: 1-line block ×3, first 2 shown]
	v_lshl_add_u32 v19, v24, 2, v23
	s_delay_alu instid0(VALU_DEP_4) | instskip(NEXT) | instid1(VALU_DEP_4)
	v_lshlrev_b32_e32 v4, 16, v4
	v_and_b32_e32 v3, 0xffff, v3
	s_delay_alu instid0(VALU_DEP_1) | instskip(SKIP_1) | instid1(VALU_DEP_1)
	v_or_b32_e32 v3, v4, v3
	v_lshlrev_b32_e32 v4, 16, v12
	v_or_b32_e32 v4, v4, v11
	s_wait_loadcnt 0x0
	v_fma_mixlo_f16 v7, s3, v9, 0
	v_mov_b32_e32 v16, v20
	v_fma_mixlo_f16 v8, s3, v10, 0
	s_delay_alu instid0(VALU_DEP_3)
	v_and_b32_e32 v7, 0xffff, v7
	s_clause 0x2
	global_load_b64 v[13:14], v[13:14], off
	global_load_b64 v[15:16], v[15:16], off
	global_load_b64 v[17:18], v[17:18], off
	v_lshlrev_b32_e32 v8, 16, v8
	s_delay_alu instid0(VALU_DEP_1)
	v_or_b32_e32 v7, v8, v7
	s_wait_loadcnt 0x2
	v_fma_mixlo_f16 v9, s3, v13, 0
	v_fma_mixlo_f16 v10, s3, v14, 0
	s_wait_loadcnt 0x1
	v_fma_mixlo_f16 v12, s3, v15, 0
	v_fma_mixlo_f16 v13, s3, v16, 0
	;; [unrolled: 3-line block ×3, first 2 shown]
	v_lshlrev_b32_e32 v10, 16, v10
	v_and_b32_e32 v9, 0xffff, v9
	v_lshlrev_b32_e32 v13, 16, v13
	v_and_b32_e32 v12, 0xffff, v12
	;; [unrolled: 2-line block ×3, first 2 shown]
	v_or_b32_e32 v8, v10, v9
	s_delay_alu instid0(VALU_DEP_4) | instskip(NEXT) | instid1(VALU_DEP_3)
	v_or_b32_e32 v9, v13, v12
	v_or_b32_e32 v10, v15, v14
	ds_store_2addr_b32 v19, v3, v5 offset1:32
	ds_store_2addr_b32 v19, v6, v7 offset0:64 offset1:96
	ds_store_2addr_b32 v19, v4, v8 offset0:128 offset1:160
	;; [unrolled: 1-line block ×3, first 2 shown]
	s_wait_dscnt 0x0
	s_barrier_signal -1
	s_barrier_wait -1
	global_inv scope:SCOPE_SE
	s_cbranch_scc1 .LBB5_4
; %bb.3:
	s_load_b32 s3, s[0:1], 0xd0
	s_mov_b32 s5, 0
	s_wait_kmcnt 0x0
	s_mul_i32 s3, s3, s2
	s_wait_alu 0xfffe
	s_add_co_i32 s4, s3, ttmp9
	s_wait_alu 0xfffe
	s_lshl_b64 s[4:5], s[4:5], 2
	s_wait_alu 0xfffe
	s_add_nc_u64 s[4:5], s[14:15], s[4:5]
	s_load_b32 s30, s[4:5], 0x0
.LBB5_4:
	s_and_b32 s4, ttmp7, 0xffff
	v_mbcnt_lo_u32_b32 v39, -1, 0
	s_wait_alu 0xfffe
	s_lshl_b32 s10, s4, 6
	s_wait_kmcnt 0x0
	s_wait_alu 0xfffe
	s_cmp_lt_i32 s10, s30
	s_cbranch_scc1 .LBB5_7
; %bb.5:
	v_mbcnt_lo_u32_b32 v8, -1, 0
	v_mov_b32_e32 v36, 32
	s_delay_alu instid0(VALU_DEP_2)
	v_xor_b32_e32 v43, 16, v8
	v_xor_b32_e32 v41, 8, v8
	;; [unrolled: 1-line block ×5, first 2 shown]
	s_mov_b32 s3, 0
	s_cbranch_execz .LBB5_8
; %bb.6:
	v_dual_mov_b32 v71, 0 :: v_dual_mov_b32 v42, 0
	v_dual_mov_b32 v7, 0xfeffffff :: v_dual_mov_b32 v6, 0xfeffffff
	;; [unrolled: 1-line block ×11, first 2 shown]
	v_dual_mov_b32 v30, 0 :: v_dual_lshlrev_b32 v27, 1, v24
	v_mov_b32_e32 v28, 0
	s_branch .LBB5_11
.LBB5_7:
                                        ; implicit-def: $vgpr8
                                        ; implicit-def: $vgpr36
                                        ; implicit-def: $vgpr43
                                        ; implicit-def: $vgpr41
                                        ; implicit-def: $vgpr40
                                        ; implicit-def: $vgpr38
                                        ; implicit-def: $vgpr37
	s_mov_b32 s3, 0
.LBB5_8:
	s_mul_f32 s5, s24, 0x4f7ffffe
	s_clause 0x1
	s_load_b128 s[24:27], s[0:1], 0x98
	s_load_b64 s[20:21], s[0:1], 0x8c
	s_sub_co_i32 s11, 0, s29
	s_abs_i32 s36, s28
	s_cvt_u32_f32 s5, s5
	s_mov_b32 s15, s37
	s_load_b64 s[40:41], s[0:1], 0xa8
	s_ashr_i32 s33, s28, 31
	s_mul_i32 s11, s11, s5
	s_ashr_i32 s31, s31, 31
	s_wait_alu 0xfffe
	s_mul_hi_u32 s11, s5, s11
	v_lshrrev_b32_e32 v3, 3, v24
	s_wait_alu 0xfffe
	s_add_co_i32 s14, s5, s11
	s_xor_b32 s11, s33, s31
	s_mul_u64 s[14:15], s[36:37], s[14:15]
	s_ashr_i32 s5, s39, 1
	s_mul_i32 s31, s15, s29
	s_add_co_i32 s33, s15, 1
	v_lshl_add_u32 v10, v2, 2, v3
	v_dual_mov_b32 v31, 0 :: v_dual_lshlrev_b32 v44, 2, v24
	s_wait_kmcnt 0x0
	s_ashr_i32 s14, s26, 2
	s_sub_co_i32 s26, s36, s31
	s_ashr_i32 s20, s20, 2
	s_wait_alu 0xfffe
	s_sub_co_i32 s31, s26, s29
	s_cmp_ge_u32 s26, s29
	v_mul_lo_u32 v2, s20, v10
	s_cselect_b32 s15, s33, s15
	s_cselect_b32 s26, s31, s26
	s_add_co_i32 s31, s15, 1
	s_wait_alu 0xfffe
	s_cmp_ge_u32 s26, s29
	v_mul_lo_u32 v17, s14, v10
	s_cselect_b32 s15, s31, s15
	s_mul_u64 s[24:25], s[24:25], s[2:3]
	s_wait_alu 0xfffe
	s_xor_b32 s15, s15, s11
	s_mul_u64 s[36:37], s[40:41], s[2:3]
	s_wait_alu 0xfffe
	s_sub_co_i32 s3, s15, s11
	s_add_nc_u64 s[6:7], s[6:7], s[24:25]
	s_wait_alu 0xfffe
	s_mul_i32 s38, s3, s21
	s_lshl_b32 s11, s20, 4
	s_mul_i32 s24, s3, s27
	s_lshl_b32 s3, s14, 4
	s_wait_alu 0xfffe
	v_dual_mov_b32 v35, 0 :: v_dual_add_nc_u32 v4, s11, v2
	v_dual_mov_b32 v30, 0 :: v_dual_add_nc_u32 v19, s3, v17
	v_dual_mov_b32 v28, 0 :: v_dual_and_b32 v11, 28, v44
	s_delay_alu instid0(VALU_DEP_3) | instskip(NEXT) | instid1(VALU_DEP_3)
	v_dual_mov_b32 v71, 0 :: v_dual_add_nc_u32 v6, s11, v4
	v_dual_mov_b32 v32, 0 :: v_dual_add_nc_u32 v21, s3, v19
	s_delay_alu instid0(VALU_DEP_3) | instskip(SKIP_1) | instid1(VALU_DEP_4)
	v_dual_mov_b32 v33, 0 :: v_dual_lshlrev_b32 v12, 2, v11
	v_ashrrev_i32_e32 v3, 31, v2
	v_add_nc_u32_e32 v15, s11, v6
	v_mad_co_u64_u32 v[8:9], null, v1, s5, v[24:25]
	v_dual_mov_b32 v34, 0 :: v_dual_add_nc_u32 v51, 0x2400, v0
	v_lshlrev_b32_e32 v1, 4, v24
	v_add_nc_u32_e32 v26, s3, v21
	v_mad_u32_u24 v45, 0x90, v10, v12
	v_ashrrev_i32_e32 v5, 31, v4
	v_ashrrev_i32_e32 v7, 31, v6
	v_lshl_or_b32 v50, v10, 7, v12
	v_ashrrev_i32_e32 v18, 31, v17
	v_ashrrev_i32_e32 v20, 31, v19
	;; [unrolled: 1-line block ×3, first 2 shown]
	v_mov_b32_e32 v0, 0xfeffffff
	v_ashrrev_i32_e32 v16, 31, v15
	v_lshlrev_b64_e32 v[9:10], 2, v[2:3]
	v_mov_b32_e32 v2, 0xfeffffff
	v_dual_mov_b32 v3, 0xfeffffff :: v_dual_add_nc_u32 v56, v51, v1
	v_mov_b32_e32 v1, 0xfeffffff
	v_ashrrev_i32_e32 v27, 31, v26
	v_lshlrev_b32_e32 v55, 2, v11
	v_lshlrev_b64_e32 v[11:12], 2, v[4:5]
	v_lshlrev_b64_e32 v[13:14], 2, v[6:7]
	;; [unrolled: 1-line block ×7, first 2 shown]
	v_dual_mov_b32 v65, 0 :: v_dual_add_nc_u32 v46, 0x900, v45
	v_dual_mov_b32 v36, 32 :: v_dual_add_nc_u32 v47, 0x1200, v45
	v_dual_mov_b32 v67, 0 :: v_dual_add_nc_u32 v48, 0x1b00, v45
	v_mul_u32_u24_e32 v49, 0x90, v24
	v_dual_mov_b32 v69, 0 :: v_dual_add_nc_u32 v52, 0x800, v50
	v_dual_mov_b32 v64, 0 :: v_dual_add_nc_u32 v53, 0x1000, v50
	v_add_nc_u32_e32 v54, 0x1800, v50
	v_xor_b32_e32 v43, 16, v39
	v_xor_b32_e32 v41, 8, v39
	v_xor_b32_e32 v40, 4, v39
	v_xor_b32_e32 v38, 2, v39
	v_xor_b32_e32 v37, 1, v39
	v_dual_mov_b32 v66, 0 :: v_dual_add_nc_u32 v57, 0x400, v44
	v_add_nc_u32_e32 v58, 0x800, v44
	v_dual_mov_b32 v68, 0 :: v_dual_add_nc_u32 v59, 0xc00, v44
	v_add_nc_u32_e32 v60, 0x1000, v44
	v_dual_mov_b32 v70, 0 :: v_dual_add_nc_u32 v61, 0x1400, v44
	v_add_nc_u32_e32 v62, 0x1800, v44
	v_dual_mov_b32 v42, 0 :: v_dual_add_nc_u32 v63, 0x1c00, v44
	v_dual_mov_b32 v4, 0xfeffffff :: v_dual_mov_b32 v5, 0xfeffffff
	v_dual_mov_b32 v6, 0xfeffffff :: v_dual_mov_b32 v7, 0xfeffffff
	s_ashr_i32 s39, s38, 31
	s_add_nc_u64 s[8:9], s[8:9], s[36:37]
	s_ashr_i32 s25, s24, 31
	s_add_nc_u64 s[6:7], s[6:7], s[38:39]
	s_wait_alu 0xfffe
	s_add_nc_u64 s[8:9], s[8:9], s[24:25]
	s_ashr_i32 s21, s20, 31
	s_ashr_i32 s15, s14, 31
	s_add_nc_u64 s[24:25], s[0:1], 0xd0
.LBB5_9:                                ; =>This Inner Loop Header: Depth=1
	s_ashr_i32 s11, s10, 31
	v_dual_mov_b32 v29, v70 :: v_dual_mov_b32 v70, v69
	s_wait_alu 0xfffe
	s_mul_u64 s[26:27], s[10:11], s[20:21]
	v_dual_mov_b32 v69, v68 :: v_dual_mov_b32 v68, v67
	s_wait_alu 0xfffe
	s_lshl_b64 s[26:27], s[26:27], 2
	v_dual_mov_b32 v67, v66 :: v_dual_mov_b32 v66, v65
	s_wait_alu 0xfffe
	s_add_nc_u64 s[26:27], s[6:7], s[26:27]
	v_dual_mov_b32 v65, v64 :: v_dual_mov_b32 v72, v7
	v_mov_b32_e32 v64, v0
	s_wait_alu 0xfffe
	v_add_co_u32 v0, vcc_lo, s26, v9
	v_dual_mov_b32 v77, v2 :: v_dual_mov_b32 v78, v1
	s_wait_alu 0xfffd
	v_add_co_ci_u32_e64 v1, null, s27, v10, vcc_lo
	s_delay_alu instid0(VALU_DEP_3) | instskip(SKIP_2) | instid1(VALU_DEP_3)
	v_add_co_u32 v0, vcc_lo, v0, v55
	v_dual_mov_b32 v75, v4 :: v_dual_mov_b32 v76, v3
	s_wait_alu 0xfffd
	v_add_co_ci_u32_e64 v1, null, 0, v1, vcc_lo
	v_dual_mov_b32 v73, v6 :: v_dual_mov_b32 v74, v5
	v_dual_mov_b32 v4, 0 :: v_dual_mov_b32 v7, 0
	global_load_b128 v[0:3], v[0:1], off
	v_dual_mov_b32 v6, 0 :: v_dual_mov_b32 v85, 0
	v_dual_mov_b32 v86, 0 :: v_dual_mov_b32 v83, 0
	;; [unrolled: 1-line block ×3, first 2 shown]
	s_wait_loadcnt 0x0
	ds_store_b128 v45, v[0:3]
	v_add_co_u32 v0, vcc_lo, s26, v11
	s_wait_alu 0xfffd
	v_add_co_ci_u32_e64 v1, null, s27, v12, vcc_lo
	s_delay_alu instid0(VALU_DEP_2) | instskip(SKIP_1) | instid1(VALU_DEP_2)
	v_add_co_u32 v0, vcc_lo, v0, v55
	s_wait_alu 0xfffd
	v_add_co_ci_u32_e64 v1, null, 0, v1, vcc_lo
	global_load_b128 v[0:3], v[0:1], off
	s_wait_loadcnt 0x0
	ds_store_b128 v46, v[0:3]
	v_add_co_u32 v0, vcc_lo, s26, v13
	s_wait_alu 0xfffd
	v_add_co_ci_u32_e64 v1, null, s27, v14, vcc_lo
	s_delay_alu instid0(VALU_DEP_2) | instskip(SKIP_1) | instid1(VALU_DEP_2)
	v_add_co_u32 v0, vcc_lo, v0, v55
	s_wait_alu 0xfffd
	v_add_co_ci_u32_e64 v1, null, 0, v1, vcc_lo
	global_load_b128 v[0:3], v[0:1], off
	s_wait_loadcnt 0x0
	ds_store_b128 v47, v[0:3]
	v_add_co_u32 v0, vcc_lo, s26, v15
	s_wait_alu 0xfffd
	v_add_co_ci_u32_e64 v1, null, s27, v16, vcc_lo
	s_mul_u64 s[26:27], s[10:11], s[14:15]
	v_add_co_u32 v0, vcc_lo, v0, v55
	s_wait_alu 0xfffd
	v_add_co_ci_u32_e64 v1, null, 0, v1, vcc_lo
	v_cmp_gt_i32_e32 vcc_lo, 32, v43
	s_wait_alu 0xfffe
	s_lshl_b64 s[26:27], s[26:27], 2
	global_load_b128 v[0:3], v[0:1], off
	s_wait_alu 0xfffe
	s_add_nc_u64 s[26:27], s[8:9], s[26:27]
	s_wait_loadcnt 0x0
	ds_store_b128 v48, v[0:3]
	s_wait_dscnt 0x0
	s_barrier_signal -1
	s_barrier_wait -1
	global_inv scope:SCOPE_SE
	ds_load_b128 v[79:82], v49
	ds_load_b128 v[87:90], v49 offset:4608
	ds_load_b128 v[91:94], v23
	ds_load_b128 v[95:98], v23 offset:128
	ds_load_b128 v[99:102], v23 offset:256
	ds_load_b128 v[103:106], v23 offset:384
	ds_load_b128 v[107:110], v23 offset:512
	ds_load_b128 v[111:114], v23 offset:640
	ds_load_b128 v[115:118], v23 offset:768
	ds_load_b128 v[119:122], v23 offset:896
	v_dual_mov_b32 v0, 0 :: v_dual_mov_b32 v3, 0
	s_wait_dscnt 0x7
	;;#ASMSTART
	v_dot2_f32_f16 v0, v79, v91, v0
	;;#ASMEND
	;;#ASMSTART
	v_dot2_f32_f16 v0, v80, v92, v0
	;;#ASMEND
	;; [unrolled: 3-line block ×3, first 2 shown]
	v_mov_b32_e32 v1, 0
	;;#ASMSTART
	v_dot2_f32_f16 v0, v82, v94, v0
	;;#ASMEND
	s_wait_dscnt 0x6
	;;#ASMSTART
	v_dot2_f32_f16 v1, v79, v95, v1
	;;#ASMEND
	;;#ASMSTART
	v_dot2_f32_f16 v1, v80, v96, v1
	;;#ASMEND
	;; [unrolled: 3-line block ×3, first 2 shown]
	v_mov_b32_e32 v2, 0
	;;#ASMSTART
	v_dot2_f32_f16 v1, v82, v98, v1
	;;#ASMEND
	s_wait_dscnt 0x5
	;;#ASMSTART
	v_dot2_f32_f16 v2, v79, v99, v2
	;;#ASMEND
	;;#ASMSTART
	v_dot2_f32_f16 v2, v80, v100, v2
	;;#ASMEND
	;;#ASMSTART
	v_dot2_f32_f16 v2, v81, v101, v2
	;;#ASMEND
	;;#ASMSTART
	v_dot2_f32_f16 v2, v82, v102, v2
	;;#ASMEND
	s_wait_dscnt 0x4
	;;#ASMSTART
	v_dot2_f32_f16 v3, v79, v103, v3
	;;#ASMEND
	;;#ASMSTART
	v_dot2_f32_f16 v3, v80, v104, v3
	;;#ASMEND
	;;#ASMSTART
	v_dot2_f32_f16 v3, v81, v105, v3
	;;#ASMEND
	;; [unrolled: 13-line block ×6, first 2 shown]
	;;#ASMSTART
	v_dot2_f32_f16 v7, v82, v122, v7
	;;#ASMEND
	;;#ASMSTART
	v_dot2_f32_f16 v86, v87, v91, v86
	;;#ASMEND
	;; [unrolled: 3-line block ×9, first 2 shown]
	v_mov_b32_e32 v81, 0
	;;#ASMSTART
	v_dot2_f32_f16 v84, v87, v99, v84
	;;#ASMEND
	;;#ASMSTART
	v_dot2_f32_f16 v84, v88, v100, v84
	;;#ASMEND
	;; [unrolled: 3-line block ×7, first 2 shown]
	v_dual_mov_b32 v82, 0 :: v_dual_mov_b32 v79, 0
	;;#ASMSTART
	v_dot2_f32_f16 v83, v90, v106, v83
	;;#ASMEND
	;;#ASMSTART
	v_dot2_f32_f16 v82, v87, v107, v82
	;;#ASMEND
	;; [unrolled: 3-line block ×8, first 2 shown]
	v_mov_b32_e32 v80, 0
	;;#ASMSTART
	v_dot2_f32_f16 v81, v90, v114, v81
	;;#ASMEND
	;;#ASMSTART
	v_dot2_f32_f16 v80, v87, v115, v80
	;;#ASMEND
	;; [unrolled: 3-line block ×9, first 2 shown]
	ds_load_b128 v[87:90], v49 offset:16
	ds_load_b128 v[91:94], v49 offset:4624
	ds_load_b128 v[95:98], v23 offset:16
	ds_load_b128 v[99:102], v23 offset:144
	ds_load_b128 v[103:106], v23 offset:272
	ds_load_b128 v[107:110], v23 offset:400
	ds_load_b128 v[111:114], v23 offset:528
	ds_load_b128 v[115:118], v23 offset:656
	ds_load_b128 v[119:122], v23 offset:784
	ds_load_b128 v[123:126], v23 offset:912
	s_wait_dscnt 0x7
	;;#ASMSTART
	v_dot2_f32_f16 v0, v87, v95, v0
	;;#ASMEND
	;;#ASMSTART
	v_dot2_f32_f16 v0, v88, v96, v0
	;;#ASMEND
	;;#ASMSTART
	v_dot2_f32_f16 v0, v89, v97, v0
	;;#ASMEND
	;;#ASMSTART
	v_dot2_f32_f16 v0, v90, v98, v0
	;;#ASMEND
	s_wait_dscnt 0x6
	;;#ASMSTART
	v_dot2_f32_f16 v1, v87, v99, v1
	;;#ASMEND
	;;#ASMSTART
	v_dot2_f32_f16 v1, v88, v100, v1
	;;#ASMEND
	;;#ASMSTART
	v_dot2_f32_f16 v1, v89, v101, v1
	;;#ASMEND
	;;#ASMSTART
	v_dot2_f32_f16 v1, v90, v102, v1
	;;#ASMEND
	;; [unrolled: 13-line block ×8, first 2 shown]
	;;#ASMSTART
	v_dot2_f32_f16 v86, v91, v95, v86
	;;#ASMEND
	;;#ASMSTART
	v_dot2_f32_f16 v86, v92, v96, v86
	;;#ASMEND
	;; [unrolled: 3-line block ×32, first 2 shown]
	ds_load_b128 v[87:90], v49 offset:32
	ds_load_b128 v[91:94], v49 offset:4640
	;; [unrolled: 1-line block ×10, first 2 shown]
	s_wait_dscnt 0x7
	;;#ASMSTART
	v_dot2_f32_f16 v0, v87, v95, v0
	;;#ASMEND
	;;#ASMSTART
	v_dot2_f32_f16 v0, v88, v96, v0
	;;#ASMEND
	;;#ASMSTART
	v_dot2_f32_f16 v0, v89, v97, v0
	;;#ASMEND
	;;#ASMSTART
	v_dot2_f32_f16 v0, v90, v98, v0
	;;#ASMEND
	s_wait_dscnt 0x6
	;;#ASMSTART
	v_dot2_f32_f16 v1, v87, v99, v1
	;;#ASMEND
	;;#ASMSTART
	v_dot2_f32_f16 v1, v88, v100, v1
	;;#ASMEND
	;;#ASMSTART
	v_dot2_f32_f16 v1, v89, v101, v1
	;;#ASMEND
	;;#ASMSTART
	v_dot2_f32_f16 v1, v90, v102, v1
	;;#ASMEND
	;; [unrolled: 13-line block ×8, first 2 shown]
	;;#ASMSTART
	v_dot2_f32_f16 v86, v91, v95, v86
	;;#ASMEND
	;;#ASMSTART
	v_dot2_f32_f16 v86, v92, v96, v86
	;;#ASMEND
	;; [unrolled: 3-line block ×32, first 2 shown]
	ds_load_b128 v[87:90], v49 offset:48
	ds_load_b128 v[91:94], v49 offset:4656
	;; [unrolled: 1-line block ×10, first 2 shown]
	s_wait_dscnt 0x7
	;;#ASMSTART
	v_dot2_f32_f16 v0, v87, v95, v0
	;;#ASMEND
	;;#ASMSTART
	v_dot2_f32_f16 v0, v88, v96, v0
	;;#ASMEND
	;;#ASMSTART
	v_dot2_f32_f16 v0, v89, v97, v0
	;;#ASMEND
	;;#ASMSTART
	v_dot2_f32_f16 v0, v90, v98, v0
	;;#ASMEND
	s_wait_dscnt 0x6
	;;#ASMSTART
	v_dot2_f32_f16 v1, v87, v99, v1
	;;#ASMEND
	;;#ASMSTART
	v_dot2_f32_f16 v1, v88, v100, v1
	;;#ASMEND
	;;#ASMSTART
	v_dot2_f32_f16 v1, v89, v101, v1
	;;#ASMEND
	;;#ASMSTART
	v_dot2_f32_f16 v1, v90, v102, v1
	;;#ASMEND
	;; [unrolled: 13-line block ×8, first 2 shown]
	;;#ASMSTART
	v_dot2_f32_f16 v86, v91, v95, v86
	;;#ASMEND
	;;#ASMSTART
	v_dot2_f32_f16 v86, v92, v96, v86
	;;#ASMEND
	;; [unrolled: 3-line block ×32, first 2 shown]
	ds_load_b128 v[87:90], v49 offset:64
	ds_load_b128 v[91:94], v49 offset:4672
	;; [unrolled: 1-line block ×10, first 2 shown]
	s_wait_dscnt 0x7
	;;#ASMSTART
	v_dot2_f32_f16 v0, v87, v95, v0
	;;#ASMEND
	;;#ASMSTART
	v_dot2_f32_f16 v0, v88, v96, v0
	;;#ASMEND
	;;#ASMSTART
	v_dot2_f32_f16 v0, v89, v97, v0
	;;#ASMEND
	;;#ASMSTART
	v_dot2_f32_f16 v0, v90, v98, v0
	;;#ASMEND
	s_wait_dscnt 0x6
	;;#ASMSTART
	v_dot2_f32_f16 v1, v87, v99, v1
	;;#ASMEND
	;;#ASMSTART
	v_dot2_f32_f16 v1, v88, v100, v1
	;;#ASMEND
	;;#ASMSTART
	v_dot2_f32_f16 v1, v89, v101, v1
	;;#ASMEND
	;;#ASMSTART
	v_dot2_f32_f16 v1, v90, v102, v1
	;;#ASMEND
	;; [unrolled: 13-line block ×8, first 2 shown]
	;;#ASMSTART
	v_dot2_f32_f16 v86, v91, v95, v86
	;;#ASMEND
	;;#ASMSTART
	v_dot2_f32_f16 v86, v92, v96, v86
	;;#ASMEND
	;; [unrolled: 3-line block ×32, first 2 shown]
	ds_load_b128 v[87:90], v49 offset:80
	ds_load_b128 v[91:94], v49 offset:4688
	;; [unrolled: 1-line block ×10, first 2 shown]
	s_wait_dscnt 0x7
	;;#ASMSTART
	v_dot2_f32_f16 v0, v87, v95, v0
	;;#ASMEND
	;;#ASMSTART
	v_dot2_f32_f16 v0, v88, v96, v0
	;;#ASMEND
	;;#ASMSTART
	v_dot2_f32_f16 v0, v89, v97, v0
	;;#ASMEND
	;;#ASMSTART
	v_dot2_f32_f16 v0, v90, v98, v0
	;;#ASMEND
	s_wait_dscnt 0x6
	;;#ASMSTART
	v_dot2_f32_f16 v1, v87, v99, v1
	;;#ASMEND
	;;#ASMSTART
	v_dot2_f32_f16 v1, v88, v100, v1
	;;#ASMEND
	;;#ASMSTART
	v_dot2_f32_f16 v1, v89, v101, v1
	;;#ASMEND
	;;#ASMSTART
	v_dot2_f32_f16 v1, v90, v102, v1
	;;#ASMEND
	;; [unrolled: 13-line block ×8, first 2 shown]
	;;#ASMSTART
	v_dot2_f32_f16 v86, v91, v95, v86
	;;#ASMEND
	;;#ASMSTART
	v_dot2_f32_f16 v86, v92, v96, v86
	;;#ASMEND
	;; [unrolled: 3-line block ×32, first 2 shown]
	ds_load_b128 v[87:90], v49 offset:96
	ds_load_b128 v[91:94], v49 offset:4704
	;; [unrolled: 1-line block ×10, first 2 shown]
	s_wait_dscnt 0x7
	;;#ASMSTART
	v_dot2_f32_f16 v0, v87, v95, v0
	;;#ASMEND
	;;#ASMSTART
	v_dot2_f32_f16 v0, v88, v96, v0
	;;#ASMEND
	;;#ASMSTART
	v_dot2_f32_f16 v0, v89, v97, v0
	;;#ASMEND
	;;#ASMSTART
	v_dot2_f32_f16 v0, v90, v98, v0
	;;#ASMEND
	s_wait_dscnt 0x6
	;;#ASMSTART
	v_dot2_f32_f16 v1, v87, v99, v1
	;;#ASMEND
	;;#ASMSTART
	v_dot2_f32_f16 v1, v88, v100, v1
	;;#ASMEND
	;;#ASMSTART
	v_dot2_f32_f16 v1, v89, v101, v1
	;;#ASMEND
	;;#ASMSTART
	v_dot2_f32_f16 v1, v90, v102, v1
	;;#ASMEND
	;; [unrolled: 13-line block ×8, first 2 shown]
	;;#ASMSTART
	v_dot2_f32_f16 v86, v91, v95, v86
	;;#ASMEND
	;;#ASMSTART
	v_dot2_f32_f16 v86, v92, v96, v86
	;;#ASMEND
	;; [unrolled: 3-line block ×32, first 2 shown]
	ds_load_b128 v[87:90], v49 offset:112
	ds_load_b128 v[91:94], v49 offset:4720
	ds_load_b128 v[95:98], v23 offset:112
	ds_load_b128 v[99:102], v23 offset:240
	ds_load_b128 v[103:106], v23 offset:368
	ds_load_b128 v[107:110], v23 offset:496
	ds_load_b128 v[111:114], v23 offset:624
	ds_load_b128 v[115:118], v23 offset:752
	ds_load_b128 v[119:122], v23 offset:880
	ds_load_b128 v[123:126], v23 offset:1008
	s_wait_dscnt 0x7
	;;#ASMSTART
	v_dot2_f32_f16 v0, v87, v95, v0
	;;#ASMEND
	;;#ASMSTART
	v_dot2_f32_f16 v0, v88, v96, v0
	;;#ASMEND
	;;#ASMSTART
	v_dot2_f32_f16 v0, v89, v97, v0
	;;#ASMEND
	;;#ASMSTART
	v_dot2_f32_f16 v0, v90, v98, v0
	;;#ASMEND
	s_wait_dscnt 0x6
	;;#ASMSTART
	v_dot2_f32_f16 v1, v87, v99, v1
	;;#ASMEND
	;;#ASMSTART
	v_dot2_f32_f16 v1, v88, v100, v1
	;;#ASMEND
	;;#ASMSTART
	v_dot2_f32_f16 v1, v89, v101, v1
	;;#ASMEND
	;;#ASMSTART
	v_dot2_f32_f16 v1, v90, v102, v1
	;;#ASMEND
	;; [unrolled: 13-line block ×8, first 2 shown]
	;;#ASMSTART
	v_dot2_f32_f16 v86, v91, v95, v86
	;;#ASMEND
	;;#ASMSTART
	v_dot2_f32_f16 v86, v92, v96, v86
	;;#ASMEND
	;; [unrolled: 3-line block ×23, first 2 shown]
	s_wait_alu 0xfffd
	v_cndmask_b32_e32 v88, v39, v43, vcc_lo
	v_cmp_gt_i32_e32 vcc_lo, 32, v41
	;;#ASMSTART
	v_dot2_f32_f16 v81, v94, v118, v81
	;;#ASMEND
	;;#ASMSTART
	v_dot2_f32_f16 v80, v91, v119, v80
	;;#ASMEND
	;; [unrolled: 3-line block ×7, first 2 shown]
	v_lshlrev_b32_e32 v92, 2, v88
	s_wait_alu 0xfffd
	v_cndmask_b32_e32 v88, v39, v41, vcc_lo
	v_cmp_gt_i32_e32 vcc_lo, 32, v40
	;;#ASMSTART
	v_dot2_f32_f16 v79, v93, v125, v79
	;;#ASMEND
	;;#ASMSTART
	v_dot2_f32_f16 v79, v94, v126, v79
	;;#ASMEND
	v_add_nc_u32_e32 v87, s10, v8
	v_lshlrev_b32_e32 v93, 2, v88
	s_wait_alu 0xfffd
	v_cndmask_b32_e32 v88, v39, v40, vcc_lo
	v_cmp_gt_i32_e32 vcc_lo, 32, v38
	s_delay_alu instid0(VALU_DEP_2) | instskip(SKIP_4) | instid1(VALU_DEP_2)
	v_lshlrev_b32_e32 v94, 2, v88
	s_wait_alu 0xfffd
	v_cndmask_b32_e32 v88, v39, v38, vcc_lo
	v_cmp_gt_i32_e32 vcc_lo, 32, v37
	s_wait_alu 0xfffd
	v_dual_cndmask_b32 v88, v39, v37 :: v_dual_lshlrev_b32 v95, 2, v88
	s_delay_alu instid0(VALU_DEP_1) | instskip(SKIP_1) | instid1(VALU_DEP_1)
	v_lshlrev_b32_e32 v96, 2, v88
	v_ashrrev_i32_e32 v88, 31, v87
	v_lshlrev_b64_e32 v[87:88], 1, v[87:88]
	s_delay_alu instid0(VALU_DEP_1) | instskip(SKIP_1) | instid1(VALU_DEP_2)
	v_add_co_u32 v87, vcc_lo, s34, v87
	s_wait_alu 0xfffd
	v_add_co_ci_u32_e64 v88, null, s35, v88, vcc_lo
	s_clause 0x1
	global_load_u16 v89, v[87:88], off
	global_load_u16 v87, v[87:88], off offset:64
	s_wait_loadcnt 0x0
	s_barrier_signal -1
	s_barrier_wait -1
	global_inv scope:SCOPE_SE
	v_cvt_f32_f16_e32 v97, v89
	v_cvt_f32_f16_e32 v99, v87
	s_delay_alu instid0(VALU_DEP_1) | instskip(SKIP_2) | instid1(VALU_DEP_3)
	v_dual_add_f32 v98, v0, v97 :: v_dual_add_f32 v101, v85, v99
	v_add_f32_e32 v86, v86, v99
	v_dual_add_f32 v100, v1, v97 :: v_dual_add_f32 v103, v84, v99
	v_dual_add_f32 v0, 0x40051340, v98 :: v_dual_add_f32 v85, 0x40051340, v101
	s_delay_alu instid0(VALU_DEP_3) | instskip(NEXT) | instid1(VALU_DEP_3)
	v_add_f32_e32 v87, 0x40051340, v86
	v_dual_add_f32 v1, 0x40051340, v100 :: v_dual_add_f32 v104, v3, v97
	v_add_f32_e32 v91, v82, v99
	v_add_f32_e32 v102, v2, v97
	s_delay_alu instid0(VALU_DEP_4) | instskip(NEXT) | instid1(VALU_DEP_4)
	v_max3_num_f32 v0, v64, v0, v87
	v_max3_num_f32 v1, v78, v1, v85
	v_dual_add_f32 v3, 0x40051340, v104 :: v_dual_add_f32 v90, v5, v97
	v_add_f32_e32 v88, v6, v97
	ds_bpermute_b32 v87, v92, v0
	v_add_f32_e32 v2, 0x40051340, v102
	v_add_f32_e32 v84, 0x40051340, v103
	v_dual_add_f32 v105, v83, v99 :: v_dual_add_f32 v106, v4, v97
	v_add_f32_e32 v89, v81, v99
	s_delay_alu instid0(VALU_DEP_3) | instskip(NEXT) | instid1(VALU_DEP_3)
	v_max3_num_f32 v2, v77, v2, v84
	v_dual_add_f32 v83, 0x40051340, v105 :: v_dual_add_f32 v4, 0x40051340, v106
	s_delay_alu instid0(VALU_DEP_3) | instskip(NEXT) | instid1(VALU_DEP_2)
	v_add_f32_e32 v81, 0x40051340, v89
	v_max3_num_f32 v3, v76, v3, v83
	s_wait_dscnt 0x0
	v_max_num_f32_e32 v87, v87, v87
	ds_bpermute_b32 v85, v92, v1
	ds_bpermute_b32 v84, v92, v2
	;; [unrolled: 1-line block ×3, first 2 shown]
	s_wait_dscnt 0x2
	v_dual_max_num_f32 v0, v0, v87 :: v_dual_max_num_f32 v85, v85, v85
	ds_bpermute_b32 v87, v93, v0
	s_wait_dscnt 0x1
	v_dual_max_num_f32 v84, v84, v84 :: v_dual_max_num_f32 v83, v83, v83
	s_delay_alu instid0(VALU_DEP_1) | instskip(NEXT) | instid1(VALU_DEP_2)
	v_dual_max_num_f32 v1, v1, v85 :: v_dual_max_num_f32 v2, v2, v84
	v_max_num_f32_e32 v3, v3, v83
	ds_bpermute_b32 v85, v93, v1
	ds_bpermute_b32 v84, v93, v2
	;; [unrolled: 1-line block ×3, first 2 shown]
	s_wait_dscnt 0x3
	v_max_num_f32_e32 v87, v87, v87
	s_wait_dscnt 0x2
	s_delay_alu instid0(VALU_DEP_1) | instskip(SKIP_3) | instid1(VALU_DEP_1)
	v_dual_max_num_f32 v0, v0, v87 :: v_dual_max_num_f32 v85, v85, v85
	ds_bpermute_b32 v87, v94, v0
	s_wait_dscnt 0x1
	v_dual_max_num_f32 v84, v84, v84 :: v_dual_max_num_f32 v83, v83, v83
	v_dual_max_num_f32 v1, v1, v85 :: v_dual_max_num_f32 v2, v2, v84
	s_delay_alu instid0(VALU_DEP_2)
	v_max_num_f32_e32 v3, v3, v83
	ds_bpermute_b32 v85, v94, v1
	ds_bpermute_b32 v84, v94, v2
	;; [unrolled: 1-line block ×3, first 2 shown]
	s_wait_dscnt 0x3
	v_max_num_f32_e32 v87, v87, v87
	s_wait_dscnt 0x2
	s_delay_alu instid0(VALU_DEP_1) | instskip(SKIP_3) | instid1(VALU_DEP_1)
	v_dual_max_num_f32 v0, v0, v87 :: v_dual_max_num_f32 v85, v85, v85
	ds_bpermute_b32 v87, v95, v0
	s_wait_dscnt 0x1
	v_dual_max_num_f32 v84, v84, v84 :: v_dual_max_num_f32 v83, v83, v83
	v_dual_max_num_f32 v1, v1, v85 :: v_dual_max_num_f32 v2, v2, v84
	s_delay_alu instid0(VALU_DEP_2)
	v_max_num_f32_e32 v3, v3, v83
	ds_bpermute_b32 v85, v95, v1
	ds_bpermute_b32 v84, v95, v2
	;; [unrolled: 1-line block ×3, first 2 shown]
	s_wait_dscnt 0x3
	v_max_num_f32_e32 v87, v87, v87
	s_wait_dscnt 0x2
	s_delay_alu instid0(VALU_DEP_1) | instskip(SKIP_3) | instid1(VALU_DEP_1)
	v_dual_max_num_f32 v0, v0, v87 :: v_dual_max_num_f32 v85, v85, v85
	ds_bpermute_b32 v87, v96, v0
	s_wait_dscnt 0x1
	v_dual_max_num_f32 v84, v84, v84 :: v_dual_max_num_f32 v83, v83, v83
	v_dual_max_num_f32 v1, v1, v85 :: v_dual_max_num_f32 v2, v2, v84
	ds_bpermute_b32 v85, v96, v1
	ds_bpermute_b32 v84, v96, v2
	s_wait_dscnt 0x2
	v_max_num_f32_e32 v87, v87, v87
	s_delay_alu instid0(VALU_DEP_1) | instskip(SKIP_4) | instid1(VALU_DEP_2)
	v_max_num_f32_e32 v0, v0, v87
	v_add_f32_e32 v87, v80, v99
	v_dual_add_f32 v82, 0x40051340, v91 :: v_dual_add_f32 v5, 0x40051340, v90
	s_wait_dscnt 0x0
	v_dual_max_num_f32 v85, v85, v85 :: v_dual_max_num_f32 v84, v84, v84
	v_max3_num_f32 v4, v75, v4, v82
	s_delay_alu instid0(VALU_DEP_3) | instskip(NEXT) | instid1(VALU_DEP_3)
	v_max3_num_f32 v5, v74, v5, v81
	v_dual_max_num_f32 v1, v1, v85 :: v_dual_add_f32 v80, 0x40051340, v87
	s_delay_alu instid0(VALU_DEP_4)
	v_max_num_f32_e32 v2, v2, v84
	ds_bpermute_b32 v82, v92, v4
	v_max_num_f32_e32 v3, v3, v83
	ds_bpermute_b32 v81, v92, v5
	v_add_f32_e32 v85, v7, v97
	v_sub_f32_e32 v77, v77, v2
	s_wait_dscnt 0x1
	s_delay_alu instid0(VALU_DEP_2) | instskip(SKIP_3) | instid1(VALU_DEP_1)
	v_dual_add_f32 v7, 0x40051340, v85 :: v_dual_max_num_f32 v82, v82, v82
	ds_bpermute_b32 v83, v96, v3
	s_wait_dscnt 0x1
	v_dual_max_num_f32 v81, v81, v81 :: v_dual_max_num_f32 v4, v4, v82
	v_max_num_f32_e32 v5, v5, v81
	ds_bpermute_b32 v82, v93, v4
	ds_bpermute_b32 v81, v93, v5
	s_wait_dscnt 0x2
	v_max_num_f32_e32 v83, v83, v83
	s_delay_alu instid0(VALU_DEP_1)
	v_max_num_f32_e32 v3, v3, v83
	v_dual_add_f32 v83, v79, v99 :: v_dual_add_f32 v6, 0x40051340, v88
	s_wait_dscnt 0x1
	v_max_num_f32_e32 v82, v82, v82
	s_wait_dscnt 0x0
	v_dual_sub_f32 v76, v76, v3 :: v_dual_max_num_f32 v81, v81, v81
	v_max3_num_f32 v6, v73, v6, v80
	s_delay_alu instid0(VALU_DEP_3) | instskip(NEXT) | instid1(VALU_DEP_3)
	v_dual_add_f32 v79, 0x40051340, v83 :: v_dual_max_num_f32 v4, v4, v82
	v_max_num_f32_e32 v5, v5, v81
	ds_bpermute_b32 v80, v92, v6
	v_max3_num_f32 v7, v72, v7, v79
	ds_bpermute_b32 v82, v94, v4
	ds_bpermute_b32 v81, v94, v5
	;; [unrolled: 1-line block ×3, first 2 shown]
	s_wait_dscnt 0x3
	v_max_num_f32_e32 v80, v80, v80
	s_wait_dscnt 0x1
	v_dual_max_num_f32 v82, v82, v82 :: v_dual_max_num_f32 v81, v81, v81
	s_wait_dscnt 0x0
	s_delay_alu instid0(VALU_DEP_2) | instskip(NEXT) | instid1(VALU_DEP_2)
	v_dual_max_num_f32 v6, v6, v80 :: v_dual_max_num_f32 v79, v79, v79
	v_dual_max_num_f32 v4, v4, v82 :: v_dual_max_num_f32 v5, v5, v81
	ds_bpermute_b32 v80, v93, v6
	v_max_num_f32_e32 v7, v7, v79
	ds_bpermute_b32 v82, v95, v4
	ds_bpermute_b32 v81, v95, v5
	;; [unrolled: 1-line block ×3, first 2 shown]
	s_wait_dscnt 0x3
	v_max_num_f32_e32 v80, v80, v80
	s_wait_dscnt 0x1
	v_dual_max_num_f32 v82, v82, v82 :: v_dual_max_num_f32 v81, v81, v81
	s_wait_dscnt 0x0
	s_delay_alu instid0(VALU_DEP_2) | instskip(NEXT) | instid1(VALU_DEP_2)
	v_dual_max_num_f32 v6, v6, v80 :: v_dual_max_num_f32 v79, v79, v79
	v_dual_max_num_f32 v4, v4, v82 :: v_dual_max_num_f32 v5, v5, v81
	ds_bpermute_b32 v80, v94, v6
	v_max_num_f32_e32 v7, v7, v79
	ds_bpermute_b32 v82, v96, v4
	ds_bpermute_b32 v81, v96, v5
	;; [unrolled: 1-line block ×3, first 2 shown]
	s_wait_dscnt 0x3
	v_max_num_f32_e32 v80, v80, v80
	s_wait_dscnt 0x1
	v_dual_max_num_f32 v82, v82, v82 :: v_dual_max_num_f32 v81, v81, v81
	s_wait_dscnt 0x0
	s_delay_alu instid0(VALU_DEP_2) | instskip(NEXT) | instid1(VALU_DEP_2)
	v_dual_max_num_f32 v6, v6, v80 :: v_dual_max_num_f32 v79, v79, v79
	v_dual_max_num_f32 v4, v4, v82 :: v_dual_max_num_f32 v5, v5, v81
	ds_bpermute_b32 v80, v95, v6
	v_sub_f32_e32 v75, v75, v4
	s_wait_dscnt 0x0
	v_max_num_f32_e32 v80, v80, v80
	s_delay_alu instid0(VALU_DEP_1) | instskip(SKIP_3) | instid1(VALU_DEP_1)
	v_max_num_f32_e32 v6, v6, v80
	ds_bpermute_b32 v80, v96, v6
	s_wait_dscnt 0x0
	v_max_num_f32_e32 v80, v80, v80
	v_max_num_f32_e32 v6, v6, v80
	v_dual_sub_f32 v80, v64, v0 :: v_dual_max_num_f32 v7, v7, v79
	v_sub_f32_e32 v64, v98, v0
	ds_bpermute_b32 v79, v95, v7
	v_cmp_ngt_f32_e32 vcc_lo, 0xc2ce8ed0, v64
	s_wait_dscnt 0x0
	v_max_num_f32_e32 v79, v79, v79
	s_delay_alu instid0(VALU_DEP_1) | instskip(SKIP_3) | instid1(VALU_DEP_1)
	v_max_num_f32_e32 v7, v7, v79
	ds_bpermute_b32 v79, v96, v7
	s_wait_dscnt 0x0
	v_max_num_f32_e32 v79, v79, v79
	v_max_num_f32_e32 v7, v7, v79
	v_mul_f32_e32 v79, 0x3fb8aa3b, v64
	s_delay_alu instid0(VALU_DEP_1) | instskip(SKIP_1) | instid1(VALU_DEP_2)
	v_fma_f32 v81, 0x3fb8aa3b, v64, -v79
	v_rndne_f32_e32 v82, v79
	v_fmac_f32_e32 v81, 0x32a5705f, v64
	s_delay_alu instid0(VALU_DEP_2) | instskip(NEXT) | instid1(VALU_DEP_1)
	v_sub_f32_e32 v79, v79, v82
	v_add_f32_e32 v79, v79, v81
	v_cvt_i32_f32_e32 v81, v82
	s_delay_alu instid0(VALU_DEP_2) | instskip(NEXT) | instid1(TRANS32_DEP_1)
	v_exp_f32_e32 v79, v79
	v_ldexp_f32 v79, v79, v81
	s_wait_alu 0xfffd
	s_delay_alu instid0(VALU_DEP_1) | instskip(SKIP_2) | instid1(VALU_DEP_2)
	v_cndmask_b32_e32 v79, 0, v79, vcc_lo
	v_cmp_nlt_f32_e32 vcc_lo, 0x42b17218, v64
	s_wait_alu 0xfffd
	v_dual_cndmask_b32 v64, 0x7f800000, v79 :: v_dual_sub_f32 v79, v86, v0
	s_delay_alu instid0(VALU_DEP_1) | instskip(NEXT) | instid1(VALU_DEP_2)
	v_cvt_f16_f32_e32 v81, v64
	v_mul_f32_e32 v82, 0x3fb8aa3b, v79
	v_cmp_ngt_f32_e32 vcc_lo, 0xc2ce8ed0, v79
	s_delay_alu instid0(VALU_DEP_2) | instskip(SKIP_1) | instid1(VALU_DEP_2)
	v_fma_f32 v84, 0x3fb8aa3b, v79, -v82
	v_rndne_f32_e32 v86, v82
	v_fmac_f32_e32 v84, 0x32a5705f, v79
	s_delay_alu instid0(VALU_DEP_2) | instskip(NEXT) | instid1(VALU_DEP_1)
	v_sub_f32_e32 v82, v82, v86
	v_add_f32_e32 v82, v82, v84
	v_cvt_i32_f32_e32 v84, v86
	s_delay_alu instid0(VALU_DEP_2) | instskip(NEXT) | instid1(TRANS32_DEP_1)
	v_exp_f32_e32 v82, v82
	v_ldexp_f32 v82, v82, v84
	s_wait_alu 0xfffd
	s_delay_alu instid0(VALU_DEP_1) | instskip(SKIP_2) | instid1(VALU_DEP_2)
	v_cndmask_b32_e32 v82, 0, v82, vcc_lo
	v_cmp_nlt_f32_e32 vcc_lo, 0x42b17218, v79
	s_wait_alu 0xfffd
	v_cndmask_b32_e32 v79, 0x7f800000, v82, vcc_lo
	v_mul_f32_e32 v82, 0x3fb8aa3b, v80
	v_cmp_ngt_f32_e32 vcc_lo, 0xc2ce8ed0, v80
	s_delay_alu instid0(VALU_DEP_3) | instskip(NEXT) | instid1(VALU_DEP_3)
	v_add_f32_e32 v64, v64, v79
	v_fma_f32 v84, 0x3fb8aa3b, v80, -v82
	v_rndne_f32_e32 v86, v82
	s_delay_alu instid0(VALU_DEP_2) | instskip(NEXT) | instid1(VALU_DEP_2)
	v_fmac_f32_e32 v84, 0x32a5705f, v80
	v_sub_f32_e32 v82, v82, v86
	s_delay_alu instid0(VALU_DEP_1) | instskip(SKIP_1) | instid1(VALU_DEP_2)
	v_add_f32_e32 v82, v82, v84
	v_cvt_i32_f32_e32 v84, v86
	v_exp_f32_e32 v82, v82
	s_delay_alu instid0(TRANS32_DEP_1) | instskip(SKIP_1) | instid1(VALU_DEP_1)
	v_ldexp_f32 v82, v82, v84
	s_wait_alu 0xfffd
	v_cndmask_b32_e32 v82, 0, v82, vcc_lo
	v_cmp_nlt_f32_e32 vcc_lo, 0x42b17218, v80
	s_wait_alu 0xfffd
	s_delay_alu instid0(VALU_DEP_2) | instskip(NEXT) | instid1(VALU_DEP_1)
	v_cndmask_b32_e32 v80, 0x7f800000, v82, vcc_lo
	v_fmac_f32_e32 v64, v65, v80
	v_cvt_f16_f32_e32 v65, v80
	v_cvt_f16_f32_e32 v79, v79
	s_delay_alu instid0(VALU_DEP_2) | instskip(NEXT) | instid1(VALU_DEP_1)
	v_and_b32_e32 v65, 0xffff, v65
	v_mul_u32_u24_e32 v65, 0x10001, v65
	s_delay_alu instid0(VALU_DEP_1) | instskip(SKIP_1) | instid1(VALU_DEP_1)
	v_pk_mul_f16 v71, v71, v65
	v_sub_f32_e32 v65, v100, v1
	v_mul_f32_e32 v80, 0x3fb8aa3b, v65
	v_cmp_ngt_f32_e32 vcc_lo, 0xc2ce8ed0, v65
	s_delay_alu instid0(VALU_DEP_2) | instskip(SKIP_1) | instid1(VALU_DEP_2)
	v_fma_f32 v82, 0x3fb8aa3b, v65, -v80
	v_rndne_f32_e32 v84, v80
	v_fmac_f32_e32 v82, 0x32a5705f, v65
	s_delay_alu instid0(VALU_DEP_2) | instskip(NEXT) | instid1(VALU_DEP_1)
	v_sub_f32_e32 v80, v80, v84
	v_add_f32_e32 v80, v80, v82
	v_cvt_i32_f32_e32 v82, v84
	s_delay_alu instid0(VALU_DEP_2) | instskip(NEXT) | instid1(TRANS32_DEP_1)
	v_exp_f32_e32 v80, v80
	v_ldexp_f32 v80, v80, v82
	s_wait_alu 0xfffd
	s_delay_alu instid0(VALU_DEP_1) | instskip(SKIP_2) | instid1(VALU_DEP_2)
	v_cndmask_b32_e32 v80, 0, v80, vcc_lo
	v_cmp_nlt_f32_e32 vcc_lo, 0x42b17218, v65
	s_wait_alu 0xfffd
	v_dual_sub_f32 v78, v78, v1 :: v_dual_cndmask_b32 v65, 0x7f800000, v80
	v_sub_f32_e32 v80, v101, v1
	s_delay_alu instid0(VALU_DEP_2) | instskip(NEXT) | instid1(VALU_DEP_2)
	v_cvt_f16_f32_e32 v82, v65
	v_mul_f32_e32 v84, 0x3fb8aa3b, v80
	v_cmp_ngt_f32_e32 vcc_lo, 0xc2ce8ed0, v80
	s_delay_alu instid0(VALU_DEP_2) | instskip(SKIP_1) | instid1(VALU_DEP_2)
	v_fma_f32 v86, 0x3fb8aa3b, v80, -v84
	v_rndne_f32_e32 v92, v84
	v_fmac_f32_e32 v86, 0x32a5705f, v80
	s_delay_alu instid0(VALU_DEP_2) | instskip(NEXT) | instid1(VALU_DEP_1)
	v_sub_f32_e32 v84, v84, v92
	v_add_f32_e32 v84, v84, v86
	v_cvt_i32_f32_e32 v86, v92
	s_delay_alu instid0(VALU_DEP_2) | instskip(NEXT) | instid1(TRANS32_DEP_1)
	v_exp_f32_e32 v84, v84
	v_ldexp_f32 v84, v84, v86
	s_wait_alu 0xfffd
	s_delay_alu instid0(VALU_DEP_1) | instskip(SKIP_2) | instid1(VALU_DEP_2)
	v_cndmask_b32_e32 v84, 0, v84, vcc_lo
	v_cmp_nlt_f32_e32 vcc_lo, 0x42b17218, v80
	s_wait_alu 0xfffd
	v_cndmask_b32_e32 v80, 0x7f800000, v84, vcc_lo
	v_mul_f32_e32 v84, 0x3fb8aa3b, v78
	v_cmp_ngt_f32_e32 vcc_lo, 0xc2ce8ed0, v78
	s_delay_alu instid0(VALU_DEP_3) | instskip(NEXT) | instid1(VALU_DEP_3)
	v_add_f32_e32 v65, v65, v80
	v_fma_f32 v86, 0x3fb8aa3b, v78, -v84
	v_rndne_f32_e32 v92, v84
	s_delay_alu instid0(VALU_DEP_2) | instskip(NEXT) | instid1(VALU_DEP_2)
	v_fmac_f32_e32 v86, 0x32a5705f, v78
	v_sub_f32_e32 v84, v84, v92
	s_delay_alu instid0(VALU_DEP_1) | instskip(SKIP_1) | instid1(VALU_DEP_2)
	v_add_f32_e32 v84, v84, v86
	v_cvt_i32_f32_e32 v86, v92
	v_exp_f32_e32 v84, v84
	s_delay_alu instid0(TRANS32_DEP_1) | instskip(SKIP_1) | instid1(VALU_DEP_1)
	v_ldexp_f32 v84, v84, v86
	s_wait_alu 0xfffd
	v_cndmask_b32_e32 v84, 0, v84, vcc_lo
	v_cmp_nlt_f32_e32 vcc_lo, 0x42b17218, v78
	s_wait_alu 0xfffd
	s_delay_alu instid0(VALU_DEP_2) | instskip(NEXT) | instid1(VALU_DEP_1)
	v_cndmask_b32_e32 v78, 0x7f800000, v84, vcc_lo
	v_fmac_f32_e32 v65, v66, v78
	v_cvt_f16_f32_e32 v66, v78
	s_delay_alu instid0(VALU_DEP_1) | instskip(NEXT) | instid1(VALU_DEP_1)
	v_and_b32_e32 v66, 0xffff, v66
	v_mul_u32_u24_e32 v66, 0x10001, v66
	s_delay_alu instid0(VALU_DEP_1) | instskip(SKIP_1) | instid1(VALU_DEP_1)
	v_pk_mul_f16 v78, v35, v66
	v_sub_f32_e32 v35, v102, v2
	v_mul_f32_e32 v66, 0x3fb8aa3b, v35
	v_cmp_ngt_f32_e32 vcc_lo, 0xc2ce8ed0, v35
	s_delay_alu instid0(VALU_DEP_2) | instskip(SKIP_1) | instid1(VALU_DEP_2)
	v_fma_f32 v84, 0x3fb8aa3b, v35, -v66
	v_rndne_f32_e32 v86, v66
	v_fmac_f32_e32 v84, 0x32a5705f, v35
	s_delay_alu instid0(VALU_DEP_2) | instskip(NEXT) | instid1(VALU_DEP_1)
	v_sub_f32_e32 v66, v66, v86
	v_add_f32_e32 v66, v66, v84
	v_cvt_i32_f32_e32 v84, v86
	s_delay_alu instid0(VALU_DEP_2) | instskip(NEXT) | instid1(TRANS32_DEP_1)
	v_exp_f32_e32 v66, v66
	v_ldexp_f32 v66, v66, v84
	s_wait_alu 0xfffd
	s_delay_alu instid0(VALU_DEP_1) | instskip(SKIP_2) | instid1(VALU_DEP_2)
	v_cndmask_b32_e32 v66, 0, v66, vcc_lo
	v_cmp_nlt_f32_e32 vcc_lo, 0x42b17218, v35
	s_wait_alu 0xfffd
	v_cndmask_b32_e32 v35, 0x7f800000, v66, vcc_lo
	v_sub_f32_e32 v66, v103, v2
	s_delay_alu instid0(VALU_DEP_2) | instskip(NEXT) | instid1(VALU_DEP_2)
	v_cvt_f16_f32_e32 v84, v35
	v_mul_f32_e32 v86, 0x3fb8aa3b, v66
	v_cmp_ngt_f32_e32 vcc_lo, 0xc2ce8ed0, v66
	s_delay_alu instid0(VALU_DEP_2) | instskip(SKIP_1) | instid1(VALU_DEP_2)
	v_fma_f32 v92, 0x3fb8aa3b, v66, -v86
	v_rndne_f32_e32 v93, v86
	v_fmac_f32_e32 v92, 0x32a5705f, v66
	s_delay_alu instid0(VALU_DEP_2) | instskip(NEXT) | instid1(VALU_DEP_1)
	v_sub_f32_e32 v86, v86, v93
	v_add_f32_e32 v86, v86, v92
	v_cvt_i32_f32_e32 v92, v93
	s_delay_alu instid0(VALU_DEP_2) | instskip(NEXT) | instid1(TRANS32_DEP_1)
	v_exp_f32_e32 v86, v86
	v_ldexp_f32 v86, v86, v92
	s_wait_alu 0xfffd
	s_delay_alu instid0(VALU_DEP_1) | instskip(SKIP_2) | instid1(VALU_DEP_2)
	v_cndmask_b32_e32 v86, 0, v86, vcc_lo
	v_cmp_nlt_f32_e32 vcc_lo, 0x42b17218, v66
	s_wait_alu 0xfffd
	v_cndmask_b32_e32 v86, 0x7f800000, v86, vcc_lo
	v_cmp_ngt_f32_e32 vcc_lo, 0xc2ce8ed0, v77
	s_delay_alu instid0(VALU_DEP_2) | instskip(SKIP_2) | instid1(VALU_DEP_1)
	v_add_f32_e32 v66, v35, v86
	v_cvt_f16_f32_e32 v35, v86
	v_mul_f32_e32 v86, 0x3fb8aa3b, v77
	v_fma_f32 v92, 0x3fb8aa3b, v77, -v86
	v_rndne_f32_e32 v93, v86
	s_delay_alu instid0(VALU_DEP_2) | instskip(NEXT) | instid1(VALU_DEP_2)
	v_fmac_f32_e32 v92, 0x32a5705f, v77
	v_sub_f32_e32 v86, v86, v93
	s_delay_alu instid0(VALU_DEP_1) | instskip(SKIP_1) | instid1(VALU_DEP_2)
	v_add_f32_e32 v86, v86, v92
	v_cvt_i32_f32_e32 v92, v93
	v_exp_f32_e32 v86, v86
	s_delay_alu instid0(TRANS32_DEP_1) | instskip(SKIP_1) | instid1(VALU_DEP_1)
	v_ldexp_f32 v86, v86, v92
	s_wait_alu 0xfffd
	v_cndmask_b32_e32 v86, 0, v86, vcc_lo
	v_cmp_nlt_f32_e32 vcc_lo, 0x42b17218, v77
	s_wait_alu 0xfffd
	s_delay_alu instid0(VALU_DEP_2) | instskip(NEXT) | instid1(VALU_DEP_1)
	v_cndmask_b32_e32 v77, 0x7f800000, v86, vcc_lo
	v_fmac_f32_e32 v66, v67, v77
	v_cvt_f16_f32_e32 v67, v77
	s_delay_alu instid0(VALU_DEP_1) | instskip(NEXT) | instid1(VALU_DEP_1)
	v_and_b32_e32 v67, 0xffff, v67
	v_mul_u32_u24_e32 v67, 0x10001, v67
	s_delay_alu instid0(VALU_DEP_1) | instskip(SKIP_1) | instid1(VALU_DEP_1)
	v_pk_mul_f16 v77, v34, v67
	v_sub_f32_e32 v34, v104, v3
	v_mul_f32_e32 v67, 0x3fb8aa3b, v34
	v_cmp_ngt_f32_e32 vcc_lo, 0xc2ce8ed0, v34
	s_delay_alu instid0(VALU_DEP_2) | instskip(SKIP_1) | instid1(VALU_DEP_1)
	v_fma_f32 v86, 0x3fb8aa3b, v34, -v67
	v_rndne_f32_e32 v92, v67
	v_dual_fmac_f32 v86, 0x32a5705f, v34 :: v_dual_sub_f32 v67, v67, v92
	s_delay_alu instid0(VALU_DEP_1) | instskip(SKIP_1) | instid1(VALU_DEP_2)
	v_add_f32_e32 v67, v67, v86
	v_cvt_i32_f32_e32 v86, v92
	v_exp_f32_e32 v67, v67
	s_delay_alu instid0(TRANS32_DEP_1) | instskip(SKIP_1) | instid1(VALU_DEP_1)
	v_ldexp_f32 v67, v67, v86
	s_wait_alu 0xfffd
	v_cndmask_b32_e32 v67, 0, v67, vcc_lo
	v_cmp_nlt_f32_e32 vcc_lo, 0x42b17218, v34
	s_wait_alu 0xfffd
	s_delay_alu instid0(VALU_DEP_2) | instskip(SKIP_1) | instid1(VALU_DEP_2)
	v_cndmask_b32_e32 v34, 0x7f800000, v67, vcc_lo
	v_sub_f32_e32 v67, v105, v3
	v_cvt_f16_f32_e32 v86, v34
	s_delay_alu instid0(VALU_DEP_2) | instskip(SKIP_1) | instid1(VALU_DEP_2)
	v_mul_f32_e32 v92, 0x3fb8aa3b, v67
	v_cmp_ngt_f32_e32 vcc_lo, 0xc2ce8ed0, v67
	v_fma_f32 v93, 0x3fb8aa3b, v67, -v92
	v_rndne_f32_e32 v94, v92
	s_delay_alu instid0(VALU_DEP_1) | instskip(NEXT) | instid1(VALU_DEP_1)
	v_dual_fmac_f32 v93, 0x32a5705f, v67 :: v_dual_sub_f32 v92, v92, v94
	v_add_f32_e32 v92, v92, v93
	v_cvt_i32_f32_e32 v93, v94
	s_delay_alu instid0(VALU_DEP_2) | instskip(NEXT) | instid1(TRANS32_DEP_1)
	v_exp_f32_e32 v92, v92
	v_ldexp_f32 v92, v92, v93
	s_wait_alu 0xfffd
	s_delay_alu instid0(VALU_DEP_1) | instskip(SKIP_2) | instid1(VALU_DEP_2)
	v_cndmask_b32_e32 v92, 0, v92, vcc_lo
	v_cmp_nlt_f32_e32 vcc_lo, 0x42b17218, v67
	s_wait_alu 0xfffd
	v_cndmask_b32_e32 v92, 0x7f800000, v92, vcc_lo
	v_cmp_ngt_f32_e32 vcc_lo, 0xc2ce8ed0, v76
	s_delay_alu instid0(VALU_DEP_2) | instskip(SKIP_2) | instid1(VALU_DEP_1)
	v_add_f32_e32 v67, v34, v92
	v_cvt_f16_f32_e32 v34, v92
	v_mul_f32_e32 v92, 0x3fb8aa3b, v76
	v_fma_f32 v93, 0x3fb8aa3b, v76, -v92
	v_rndne_f32_e32 v94, v92
	s_delay_alu instid0(VALU_DEP_1) | instskip(NEXT) | instid1(VALU_DEP_1)
	v_dual_fmac_f32 v93, 0x32a5705f, v76 :: v_dual_sub_f32 v92, v92, v94
	v_add_f32_e32 v92, v92, v93
	v_cvt_i32_f32_e32 v93, v94
	s_delay_alu instid0(VALU_DEP_2) | instskip(NEXT) | instid1(TRANS32_DEP_1)
	v_exp_f32_e32 v92, v92
	v_ldexp_f32 v92, v92, v93
	s_wait_alu 0xfffd
	s_delay_alu instid0(VALU_DEP_1) | instskip(SKIP_2) | instid1(VALU_DEP_2)
	v_cndmask_b32_e32 v92, 0, v92, vcc_lo
	v_cmp_nlt_f32_e32 vcc_lo, 0x42b17218, v76
	s_wait_alu 0xfffd
	v_cndmask_b32_e32 v76, 0x7f800000, v92, vcc_lo
	s_delay_alu instid0(VALU_DEP_1) | instskip(SKIP_1) | instid1(VALU_DEP_1)
	v_fmac_f32_e32 v67, v68, v76
	v_cvt_f16_f32_e32 v68, v76
	v_and_b32_e32 v68, 0xffff, v68
	s_delay_alu instid0(VALU_DEP_1) | instskip(NEXT) | instid1(VALU_DEP_1)
	v_mul_u32_u24_e32 v68, 0x10001, v68
	v_pk_mul_f16 v76, v33, v68
	v_sub_f32_e32 v33, v106, v4
	s_delay_alu instid0(VALU_DEP_1) | instskip(SKIP_1) | instid1(VALU_DEP_2)
	v_mul_f32_e32 v68, 0x3fb8aa3b, v33
	v_cmp_ngt_f32_e32 vcc_lo, 0xc2ce8ed0, v33
	v_fma_f32 v92, 0x3fb8aa3b, v33, -v68
	v_rndne_f32_e32 v93, v68
	s_delay_alu instid0(VALU_DEP_2) | instskip(NEXT) | instid1(VALU_DEP_2)
	v_fmac_f32_e32 v92, 0x32a5705f, v33
	v_sub_f32_e32 v68, v68, v93
	s_delay_alu instid0(VALU_DEP_1) | instskip(SKIP_1) | instid1(VALU_DEP_2)
	v_add_f32_e32 v68, v68, v92
	v_cvt_i32_f32_e32 v92, v93
	v_exp_f32_e32 v68, v68
	s_delay_alu instid0(TRANS32_DEP_1) | instskip(SKIP_1) | instid1(VALU_DEP_1)
	v_ldexp_f32 v68, v68, v92
	s_wait_alu 0xfffd
	v_cndmask_b32_e32 v68, 0, v68, vcc_lo
	v_cmp_nlt_f32_e32 vcc_lo, 0x42b17218, v33
	s_wait_alu 0xfffd
	s_delay_alu instid0(VALU_DEP_2) | instskip(SKIP_1) | instid1(VALU_DEP_2)
	v_cndmask_b32_e32 v33, 0x7f800000, v68, vcc_lo
	v_sub_f32_e32 v68, v91, v4
	v_cvt_f16_f32_e32 v92, v33
	s_delay_alu instid0(VALU_DEP_2) | instskip(SKIP_1) | instid1(VALU_DEP_2)
	v_mul_f32_e32 v91, 0x3fb8aa3b, v68
	v_cmp_ngt_f32_e32 vcc_lo, 0xc2ce8ed0, v68
	v_fma_f32 v93, 0x3fb8aa3b, v68, -v91
	v_rndne_f32_e32 v94, v91
	s_delay_alu instid0(VALU_DEP_2) | instskip(NEXT) | instid1(VALU_DEP_2)
	v_fmac_f32_e32 v93, 0x32a5705f, v68
	v_sub_f32_e32 v91, v91, v94
	v_cvt_f16_f32_e32 v80, v80
	s_delay_alu instid0(VALU_DEP_2) | instskip(SKIP_1) | instid1(VALU_DEP_2)
	v_add_f32_e32 v91, v91, v93
	v_cvt_i32_f32_e32 v93, v94
	v_exp_f32_e32 v91, v91
	s_delay_alu instid0(TRANS32_DEP_1) | instskip(SKIP_1) | instid1(VALU_DEP_1)
	v_ldexp_f32 v91, v91, v93
	s_wait_alu 0xfffd
	v_cndmask_b32_e32 v91, 0, v91, vcc_lo
	v_cmp_nlt_f32_e32 vcc_lo, 0x42b17218, v68
	s_wait_alu 0xfffd
	s_delay_alu instid0(VALU_DEP_2) | instskip(SKIP_1) | instid1(VALU_DEP_2)
	v_cndmask_b32_e32 v91, 0x7f800000, v91, vcc_lo
	v_cmp_ngt_f32_e32 vcc_lo, 0xc2ce8ed0, v75
	v_add_f32_e32 v68, v33, v91
	v_cvt_f16_f32_e32 v33, v91
	v_mul_f32_e32 v91, 0x3fb8aa3b, v75
	s_delay_alu instid0(VALU_DEP_1) | instskip(SKIP_1) | instid1(VALU_DEP_2)
	v_fma_f32 v93, 0x3fb8aa3b, v75, -v91
	v_rndne_f32_e32 v94, v91
	v_fmac_f32_e32 v93, 0x32a5705f, v75
	s_delay_alu instid0(VALU_DEP_2) | instskip(NEXT) | instid1(VALU_DEP_1)
	v_sub_f32_e32 v91, v91, v94
	v_add_f32_e32 v91, v91, v93
	v_cvt_i32_f32_e32 v93, v94
	s_delay_alu instid0(VALU_DEP_2) | instskip(NEXT) | instid1(TRANS32_DEP_1)
	v_exp_f32_e32 v91, v91
	v_ldexp_f32 v91, v91, v93
	s_wait_alu 0xfffd
	s_delay_alu instid0(VALU_DEP_1) | instskip(SKIP_2) | instid1(VALU_DEP_2)
	v_cndmask_b32_e32 v91, 0, v91, vcc_lo
	v_cmp_nlt_f32_e32 vcc_lo, 0x42b17218, v75
	s_wait_alu 0xfffd
	v_cndmask_b32_e32 v75, 0x7f800000, v91, vcc_lo
	s_delay_alu instid0(VALU_DEP_1) | instskip(SKIP_1) | instid1(VALU_DEP_1)
	v_fmac_f32_e32 v68, v69, v75
	v_cvt_f16_f32_e32 v69, v75
	v_and_b32_e32 v69, 0xffff, v69
	s_delay_alu instid0(VALU_DEP_1) | instskip(NEXT) | instid1(VALU_DEP_1)
	v_mul_u32_u24_e32 v69, 0x10001, v69
	v_pk_mul_f16 v75, v32, v69
	v_sub_f32_e32 v69, v90, v5
	v_sub_f32_e32 v32, v74, v5
	s_delay_alu instid0(VALU_DEP_2) | instskip(SKIP_1) | instid1(VALU_DEP_2)
	v_mul_f32_e32 v74, 0x3fb8aa3b, v69
	v_cmp_ngt_f32_e32 vcc_lo, 0xc2ce8ed0, v69
	v_fma_f32 v90, 0x3fb8aa3b, v69, -v74
	v_rndne_f32_e32 v91, v74
	s_delay_alu instid0(VALU_DEP_2) | instskip(NEXT) | instid1(VALU_DEP_2)
	v_fmac_f32_e32 v90, 0x32a5705f, v69
	v_sub_f32_e32 v74, v74, v91
	s_delay_alu instid0(VALU_DEP_1) | instskip(SKIP_1) | instid1(VALU_DEP_2)
	v_add_f32_e32 v74, v74, v90
	v_cvt_i32_f32_e32 v90, v91
	v_exp_f32_e32 v74, v74
	s_delay_alu instid0(TRANS32_DEP_1) | instskip(SKIP_1) | instid1(VALU_DEP_1)
	v_ldexp_f32 v74, v74, v90
	s_wait_alu 0xfffd
	v_cndmask_b32_e32 v74, 0, v74, vcc_lo
	v_cmp_nlt_f32_e32 vcc_lo, 0x42b17218, v69
	s_wait_alu 0xfffd
	s_delay_alu instid0(VALU_DEP_2) | instskip(NEXT) | instid1(VALU_DEP_1)
	v_dual_cndmask_b32 v69, 0x7f800000, v74 :: v_dual_sub_f32 v74, v89, v5
	v_cvt_f16_f32_e32 v90, v69
	s_delay_alu instid0(VALU_DEP_2) | instskip(SKIP_1) | instid1(VALU_DEP_2)
	v_mul_f32_e32 v89, 0x3fb8aa3b, v74
	v_cmp_ngt_f32_e32 vcc_lo, 0xc2ce8ed0, v74
	v_fma_f32 v91, 0x3fb8aa3b, v74, -v89
	v_rndne_f32_e32 v93, v89
	s_delay_alu instid0(VALU_DEP_2) | instskip(NEXT) | instid1(VALU_DEP_2)
	v_fmac_f32_e32 v91, 0x32a5705f, v74
	v_sub_f32_e32 v89, v89, v93
	s_delay_alu instid0(VALU_DEP_1) | instskip(SKIP_1) | instid1(VALU_DEP_2)
	v_add_f32_e32 v89, v89, v91
	v_cvt_i32_f32_e32 v91, v93
	v_exp_f32_e32 v89, v89
	s_delay_alu instid0(TRANS32_DEP_1) | instskip(SKIP_1) | instid1(VALU_DEP_1)
	v_ldexp_f32 v89, v89, v91
	s_wait_alu 0xfffd
	v_cndmask_b32_e32 v89, 0, v89, vcc_lo
	v_cmp_nlt_f32_e32 vcc_lo, 0x42b17218, v74
	s_wait_alu 0xfffd
	s_delay_alu instid0(VALU_DEP_2) | instskip(SKIP_1) | instid1(VALU_DEP_2)
	v_cndmask_b32_e32 v74, 0x7f800000, v89, vcc_lo
	v_cmp_ngt_f32_e32 vcc_lo, 0xc2ce8ed0, v32
	v_add_f32_e32 v69, v69, v74
	v_cvt_f16_f32_e32 v89, v74
	v_mul_f32_e32 v74, 0x3fb8aa3b, v32
	s_delay_alu instid0(VALU_DEP_1) | instskip(SKIP_1) | instid1(VALU_DEP_1)
	v_fma_f32 v91, 0x3fb8aa3b, v32, -v74
	v_rndne_f32_e32 v93, v74
	v_dual_fmac_f32 v91, 0x32a5705f, v32 :: v_dual_sub_f32 v74, v74, v93
	s_delay_alu instid0(VALU_DEP_1) | instskip(SKIP_1) | instid1(VALU_DEP_2)
	v_add_f32_e32 v74, v74, v91
	v_cvt_i32_f32_e32 v91, v93
	v_exp_f32_e32 v74, v74
	s_delay_alu instid0(TRANS32_DEP_1) | instskip(SKIP_1) | instid1(VALU_DEP_1)
	v_ldexp_f32 v74, v74, v91
	s_wait_alu 0xfffd
	v_cndmask_b32_e32 v74, 0, v74, vcc_lo
	v_cmp_nlt_f32_e32 vcc_lo, 0x42b17218, v32
	s_wait_alu 0xfffd
	s_delay_alu instid0(VALU_DEP_2) | instskip(NEXT) | instid1(VALU_DEP_1)
	v_cndmask_b32_e32 v32, 0x7f800000, v74, vcc_lo
	v_fmac_f32_e32 v69, v70, v32
	v_cvt_f16_f32_e32 v32, v32
	s_delay_alu instid0(VALU_DEP_1) | instskip(NEXT) | instid1(VALU_DEP_1)
	v_and_b32_e32 v32, 0xffff, v32
	v_mul_u32_u24_e32 v32, 0x10001, v32
	s_delay_alu instid0(VALU_DEP_1) | instskip(SKIP_1) | instid1(VALU_DEP_1)
	v_pk_mul_f16 v74, v31, v32
	v_sub_f32_e32 v32, v88, v6
	v_dual_sub_f32 v31, v73, v6 :: v_dual_mul_f32 v70, 0x3fb8aa3b, v32
	v_cmp_ngt_f32_e32 vcc_lo, 0xc2ce8ed0, v32
	s_delay_alu instid0(VALU_DEP_2) | instskip(SKIP_1) | instid1(VALU_DEP_2)
	v_fma_f32 v73, 0x3fb8aa3b, v32, -v70
	v_rndne_f32_e32 v88, v70
	v_fmac_f32_e32 v73, 0x32a5705f, v32
	s_delay_alu instid0(VALU_DEP_2) | instskip(NEXT) | instid1(VALU_DEP_1)
	v_sub_f32_e32 v70, v70, v88
	v_add_f32_e32 v70, v70, v73
	v_cvt_i32_f32_e32 v73, v88
	s_delay_alu instid0(VALU_DEP_2) | instskip(NEXT) | instid1(TRANS32_DEP_1)
	v_exp_f32_e32 v70, v70
	v_ldexp_f32 v70, v70, v73
	s_wait_alu 0xfffd
	s_delay_alu instid0(VALU_DEP_1) | instskip(SKIP_2) | instid1(VALU_DEP_2)
	v_cndmask_b32_e32 v70, 0, v70, vcc_lo
	v_cmp_nlt_f32_e32 vcc_lo, 0x42b17218, v32
	s_wait_alu 0xfffd
	v_cndmask_b32_e32 v32, 0x7f800000, v70, vcc_lo
	v_sub_f32_e32 v70, v87, v6
	s_delay_alu instid0(VALU_DEP_2) | instskip(NEXT) | instid1(VALU_DEP_2)
	v_cvt_f16_f32_e32 v88, v32
	v_mul_f32_e32 v73, 0x3fb8aa3b, v70
	v_cmp_ngt_f32_e32 vcc_lo, 0xc2ce8ed0, v70
	s_delay_alu instid0(VALU_DEP_2) | instskip(SKIP_1) | instid1(VALU_DEP_2)
	v_fma_f32 v87, 0x3fb8aa3b, v70, -v73
	v_rndne_f32_e32 v91, v73
	v_fmac_f32_e32 v87, 0x32a5705f, v70
	s_delay_alu instid0(VALU_DEP_2) | instskip(NEXT) | instid1(VALU_DEP_1)
	v_sub_f32_e32 v73, v73, v91
	v_add_f32_e32 v73, v73, v87
	v_cvt_i32_f32_e32 v87, v91
	s_delay_alu instid0(VALU_DEP_2) | instskip(NEXT) | instid1(TRANS32_DEP_1)
	v_exp_f32_e32 v73, v73
	v_ldexp_f32 v73, v73, v87
	s_wait_alu 0xfffd
	s_delay_alu instid0(VALU_DEP_1) | instskip(SKIP_2) | instid1(VALU_DEP_2)
	v_cndmask_b32_e32 v73, 0, v73, vcc_lo
	v_cmp_nlt_f32_e32 vcc_lo, 0x42b17218, v70
	s_wait_alu 0xfffd
	v_cndmask_b32_e32 v73, 0x7f800000, v73, vcc_lo
	v_cmp_ngt_f32_e32 vcc_lo, 0xc2ce8ed0, v31
	s_delay_alu instid0(VALU_DEP_2) | instskip(SKIP_2) | instid1(VALU_DEP_1)
	v_add_f32_e32 v70, v32, v73
	v_cvt_f16_f32_e32 v32, v73
	v_mul_f32_e32 v73, 0x3fb8aa3b, v31
	v_fma_f32 v87, 0x3fb8aa3b, v31, -v73
	v_rndne_f32_e32 v91, v73
	s_delay_alu instid0(VALU_DEP_2) | instskip(NEXT) | instid1(VALU_DEP_2)
	v_fmac_f32_e32 v87, 0x32a5705f, v31
	v_sub_f32_e32 v73, v73, v91
	s_delay_alu instid0(VALU_DEP_1) | instskip(SKIP_1) | instid1(VALU_DEP_2)
	v_add_f32_e32 v73, v73, v87
	v_cvt_i32_f32_e32 v87, v91
	v_exp_f32_e32 v73, v73
	s_delay_alu instid0(TRANS32_DEP_1) | instskip(SKIP_1) | instid1(VALU_DEP_1)
	v_ldexp_f32 v73, v73, v87
	s_wait_alu 0xfffd
	v_cndmask_b32_e32 v73, 0, v73, vcc_lo
	v_cmp_nlt_f32_e32 vcc_lo, 0x42b17218, v31
	s_wait_alu 0xfffd
	s_delay_alu instid0(VALU_DEP_2) | instskip(NEXT) | instid1(VALU_DEP_1)
	v_cndmask_b32_e32 v31, 0x7f800000, v73, vcc_lo
	v_fmac_f32_e32 v70, v29, v31
	v_cvt_f16_f32_e32 v29, v31
	s_delay_alu instid0(VALU_DEP_1) | instskip(NEXT) | instid1(VALU_DEP_1)
	v_and_b32_e32 v29, 0xffff, v29
	v_mul_u32_u24_e32 v29, 0x10001, v29
	s_delay_alu instid0(VALU_DEP_1) | instskip(SKIP_2) | instid1(VALU_DEP_2)
	v_pk_mul_f16 v73, v30, v29
	v_sub_f32_e32 v30, v85, v7
	v_sub_f32_e32 v29, v72, v7
	v_mul_f32_e32 v31, 0x3fb8aa3b, v30
	v_cmp_ngt_f32_e32 vcc_lo, 0xc2ce8ed0, v30
	s_delay_alu instid0(VALU_DEP_2) | instskip(SKIP_1) | instid1(VALU_DEP_1)
	v_fma_f32 v72, 0x3fb8aa3b, v30, -v31
	v_rndne_f32_e32 v85, v31
	v_dual_fmac_f32 v72, 0x32a5705f, v30 :: v_dual_sub_f32 v31, v31, v85
	s_delay_alu instid0(VALU_DEP_1) | instskip(SKIP_1) | instid1(VALU_DEP_2)
	v_add_f32_e32 v31, v31, v72
	v_cvt_i32_f32_e32 v72, v85
	v_exp_f32_e32 v31, v31
	s_delay_alu instid0(TRANS32_DEP_1) | instskip(SKIP_2) | instid1(VALU_DEP_2)
	v_ldexp_f32 v31, v31, v72
	v_sub_f32_e32 v72, v83, v7
	s_wait_alu 0xfffd
	v_cndmask_b32_e32 v31, 0, v31, vcc_lo
	s_delay_alu instid0(VALU_DEP_2) | instskip(SKIP_1) | instid1(VALU_DEP_2)
	v_mul_f32_e32 v83, 0x3fb8aa3b, v72
	v_cmp_nlt_f32_e32 vcc_lo, 0x42b17218, v30
	v_fma_f32 v85, 0x3fb8aa3b, v72, -v83
	v_rndne_f32_e32 v87, v83
	s_wait_alu 0xfffd
	v_cndmask_b32_e32 v30, 0x7f800000, v31, vcc_lo
	v_cmp_ngt_f32_e32 vcc_lo, 0xc2ce8ed0, v72
	v_fmac_f32_e32 v85, 0x32a5705f, v72
	v_sub_f32_e32 v83, v83, v87
	s_delay_alu instid0(VALU_DEP_4) | instskip(NEXT) | instid1(VALU_DEP_2)
	v_cvt_f16_f32_e32 v31, v30
	v_add_f32_e32 v83, v83, v85
	v_cvt_i32_f32_e32 v85, v87
	s_delay_alu instid0(VALU_DEP_3) | instskip(NEXT) | instid1(VALU_DEP_3)
	v_pack_b32_f16 v31, v88, v31
	v_exp_f32_e32 v83, v83
	s_delay_alu instid0(TRANS32_DEP_1) | instskip(SKIP_1) | instid1(VALU_DEP_1)
	v_ldexp_f32 v83, v83, v85
	s_wait_alu 0xfffd
	v_cndmask_b32_e32 v83, 0, v83, vcc_lo
	v_cmp_nlt_f32_e32 vcc_lo, 0x42b17218, v72
	s_wait_alu 0xfffd
	s_delay_alu instid0(VALU_DEP_2) | instskip(SKIP_1) | instid1(VALU_DEP_2)
	v_cndmask_b32_e32 v72, 0x7f800000, v83, vcc_lo
	v_cmp_ngt_f32_e32 vcc_lo, 0xc2ce8ed0, v29
	v_add_f32_e32 v30, v30, v72
	v_cvt_f16_f32_e32 v83, v72
	v_mul_f32_e32 v72, 0x3fb8aa3b, v29
	s_delay_alu instid0(VALU_DEP_1) | instskip(SKIP_1) | instid1(VALU_DEP_1)
	v_fma_f32 v85, 0x3fb8aa3b, v29, -v72
	v_rndne_f32_e32 v87, v72
	v_dual_fmac_f32 v85, 0x32a5705f, v29 :: v_dual_sub_f32 v72, v72, v87
	s_delay_alu instid0(VALU_DEP_1) | instskip(SKIP_1) | instid1(VALU_DEP_2)
	v_add_f32_e32 v72, v72, v85
	v_cvt_i32_f32_e32 v85, v87
	v_exp_f32_e32 v72, v72
	s_delay_alu instid0(TRANS32_DEP_1) | instskip(SKIP_1) | instid1(VALU_DEP_1)
	v_ldexp_f32 v72, v72, v85
	s_wait_alu 0xfffd
	v_cndmask_b32_e32 v72, 0, v72, vcc_lo
	v_cmp_nlt_f32_e32 vcc_lo, 0x42b17218, v29
	s_wait_alu 0xfffd
	s_delay_alu instid0(VALU_DEP_2) | instskip(SKIP_2) | instid1(VALU_DEP_2)
	v_dual_cndmask_b32 v29, 0x7f800000, v72 :: v_dual_mov_b32 v72, v42
	v_mov_b32_e32 v42, v30
	v_pack_b32_f16 v30, v92, v90
	v_fmac_f32_e32 v42, v72, v29
	v_cvt_f16_f32_e32 v29, v29
	s_delay_alu instid0(VALU_DEP_1) | instskip(NEXT) | instid1(VALU_DEP_1)
	v_and_b32_e32 v29, 0xffff, v29
	v_mul_u32_u24_e32 v29, 0x10001, v29
	s_delay_alu instid0(VALU_DEP_1)
	v_pk_mul_f16 v72, v28, v29
	v_pack_b32_f16 v29, v84, v86
	v_pack_b32_f16 v28, v81, v82
	ds_store_b128 v56, v[28:31]
	v_pack_b32_f16 v31, v32, v83
	v_pack_b32_f16 v30, v33, v89
	;; [unrolled: 1-line block ×4, first 2 shown]
	ds_store_b128 v56, v[28:31] offset:512
	s_wait_alu 0xfffe
	v_add_co_u32 v28, vcc_lo, s26, v17
	s_wait_alu 0xfffd
	v_add_co_ci_u32_e64 v29, null, s27, v18, vcc_lo
	s_delay_alu instid0(VALU_DEP_2) | instskip(SKIP_1) | instid1(VALU_DEP_2)
	v_add_co_u32 v34, vcc_lo, v28, v55
	s_wait_alu 0xfffd
	v_add_co_ci_u32_e64 v35, null, 0, v29, vcc_lo
	v_add_co_u32 v28, vcc_lo, s26, v19
	s_wait_alu 0xfffd
	v_add_co_ci_u32_e64 v29, null, s27, v20, vcc_lo
	global_load_b128 v[79:82], v[34:35], off
	v_add_co_u32 v32, vcc_lo, v28, v55
	s_wait_alu 0xfffd
	v_add_co_ci_u32_e64 v33, null, 0, v29, vcc_lo
	v_add_co_u32 v28, vcc_lo, s26, v21
	s_wait_alu 0xfffd
	v_add_co_ci_u32_e64 v29, null, s27, v22, vcc_lo
	global_load_b128 v[32:35], v[32:33], off
	v_add_co_u32 v30, vcc_lo, v28, v55
	s_wait_alu 0xfffd
	v_add_co_ci_u32_e64 v31, null, 0, v29, vcc_lo
	v_add_co_u32 v28, vcc_lo, s26, v26
	s_wait_alu 0xfffd
	v_add_co_ci_u32_e64 v29, null, s27, v27, vcc_lo
	s_delay_alu instid0(VALU_DEP_2) | instskip(SKIP_1) | instid1(VALU_DEP_2)
	v_add_co_u32 v28, vcc_lo, v28, v55
	s_wait_alu 0xfffd
	v_add_co_ci_u32_e64 v29, null, 0, v29, vcc_lo
	s_wait_loadcnt 0x1
	ds_store_b128 v50, v[79:82]
	s_wait_loadcnt 0x0
	ds_store_b128 v52, v[32:35]
	global_load_b128 v[30:33], v[30:31], off
	s_wait_loadcnt 0x0
	ds_store_b128 v53, v[30:33]
	global_load_b128 v[28:31], v[28:29], off
	s_wait_loadcnt 0x0
	ds_store_b128 v54, v[28:31]
	s_wait_dscnt 0x0
	s_barrier_signal -1
	s_barrier_wait -1
	global_inv scope:SCOPE_SE
	ds_load_2addr_b32 v[87:88], v44 offset1:32
	ds_load_b128 v[28:31], v51
	ds_load_b128 v[32:35], v51 offset:16
	ds_load_b128 v[79:82], v51 offset:32
	;; [unrolled: 1-line block ×3, first 2 shown]
	s_wait_dscnt 0x3
	v_lshrrev_b32_e32 v91, 16, v30
	v_lshrrev_b32_e32 v92, 16, v31
	v_and_b32_e32 v30, 0xffff, v30
	v_and_b32_e32 v31, 0xffff, v31
	v_lshrrev_b32_e32 v89, 16, v28
	v_lshrrev_b32_e32 v90, 16, v29
	v_and_b32_e32 v28, 0xffff, v28
	v_and_b32_e32 v29, 0xffff, v29
	v_mul_u32_u24_e32 v30, 0x10001, v30
	v_mul_u32_u24_e32 v31, 0x10001, v31
	;; [unrolled: 1-line block ×8, first 2 shown]
	v_pk_fma_f16 v30, v87, v30, v75
	v_pk_fma_f16 v31, v87, v31, v73
	s_wait_dscnt 0x2
	v_lshrrev_b32_e32 v73, 16, v32
	v_lshrrev_b32_e32 v75, 16, v33
	v_and_b32_e32 v32, 0xffff, v32
	v_and_b32_e32 v33, 0xffff, v33
	v_pk_fma_f16 v28, v87, v28, v71
	v_pk_fma_f16 v29, v87, v29, v77
	;; [unrolled: 1-line block ×3, first 2 shown]
	v_lshrrev_b32_e32 v77, 16, v34
	v_lshrrev_b32_e32 v78, 16, v35
	v_and_b32_e32 v34, 0xffff, v34
	v_and_b32_e32 v35, 0xffff, v35
	v_pk_fma_f16 v76, v87, v90, v76
	v_pk_fma_f16 v74, v87, v91, v74
	;; [unrolled: 1-line block ×3, first 2 shown]
	v_mul_u32_u24_e32 v32, 0x10001, v32
	v_mul_u32_u24_e32 v33, 0x10001, v33
	v_mul_u32_u24_e32 v73, 0x10001, v73
	v_mul_u32_u24_e32 v75, 0x10001, v75
	v_mul_u32_u24_e32 v34, 0x10001, v34
	v_mul_u32_u24_e32 v77, 0x10001, v77
	v_mul_u32_u24_e32 v35, 0x10001, v35
	v_mul_u32_u24_e32 v78, 0x10001, v78
	v_pk_fma_f16 v32, v88, v32, v28
	v_pk_fma_f16 v33, v88, v33, v29
	ds_load_2addr_b32 v[28:29], v44 offset0:64 offset1:96
	v_pk_fma_f16 v71, v88, v73, v71
	v_pk_fma_f16 v73, v88, v75, v76
	v_pk_fma_f16 v30, v88, v34, v30
	v_pk_fma_f16 v34, v88, v77, v74
	v_pk_fma_f16 v31, v88, v35, v31
	v_pk_fma_f16 v35, v88, v78, v72
	s_wait_dscnt 0x2
	v_lshrrev_b32_e32 v72, 16, v79
	v_lshrrev_b32_e32 v74, 16, v80
	;; [unrolled: 1-line block ×4, first 2 shown]
	v_and_b32_e32 v77, 0xffff, v79
	v_and_b32_e32 v78, 0xffff, v80
	;; [unrolled: 1-line block ×4, first 2 shown]
	v_mul_u32_u24_e32 v72, 0x10001, v72
	v_mul_u32_u24_e32 v77, 0x10001, v77
	;; [unrolled: 1-line block ×8, first 2 shown]
	s_wait_dscnt 0x0
	v_pk_fma_f16 v32, v28, v77, v32
	v_pk_fma_f16 v71, v28, v72, v71
	;; [unrolled: 1-line block ×8, first 2 shown]
	v_lshrrev_b32_e32 v35, 16, v83
	v_lshrrev_b32_e32 v73, 16, v84
	;; [unrolled: 1-line block ×4, first 2 shown]
	v_and_b32_e32 v76, 0xffff, v83
	v_and_b32_e32 v77, 0xffff, v84
	;; [unrolled: 1-line block ×4, first 2 shown]
	v_mul_u32_u24_e32 v35, 0x10001, v35
	v_mul_u32_u24_e32 v76, 0x10001, v76
	;; [unrolled: 1-line block ×8, first 2 shown]
	v_pk_fma_f16 v76, v29, v76, v32
	v_pk_fma_f16 v35, v29, v35, v71
	;; [unrolled: 1-line block ×8, first 2 shown]
	ds_load_2addr_b32 v[32:33], v44 offset0:128 offset1:160
	ds_load_b128 v[28:31], v51 offset:64
	s_wait_dscnt 0x0
	v_lshrrev_b32_e32 v77, 16, v28
	v_lshrrev_b32_e32 v78, 16, v29
	v_lshrrev_b32_e32 v79, 16, v30
	v_lshrrev_b32_e32 v80, 16, v31
	v_and_b32_e32 v28, 0xffff, v28
	v_and_b32_e32 v29, 0xffff, v29
	;; [unrolled: 1-line block ×4, first 2 shown]
	v_mul_u32_u24_e32 v77, 0x10001, v77
	v_mul_u32_u24_e32 v28, 0x10001, v28
	;; [unrolled: 1-line block ×8, first 2 shown]
	v_pk_fma_f16 v76, v32, v28, v76
	v_pk_fma_f16 v71, v32, v29, v71
	;; [unrolled: 1-line block ×4, first 2 shown]
	ds_load_b128 v[28:31], v51 offset:80
	v_pk_fma_f16 v35, v32, v77, v35
	v_pk_fma_f16 v72, v32, v78, v72
	;; [unrolled: 1-line block ×4, first 2 shown]
	s_wait_dscnt 0x0
	v_lshrrev_b32_e32 v75, 16, v28
	v_lshrrev_b32_e32 v77, 16, v29
	;; [unrolled: 1-line block ×4, first 2 shown]
	v_and_b32_e32 v28, 0xffff, v28
	v_and_b32_e32 v29, 0xffff, v29
	;; [unrolled: 1-line block ×4, first 2 shown]
	v_mul_u32_u24_e32 v75, 0x10001, v75
	v_mul_u32_u24_e32 v28, 0x10001, v28
	;; [unrolled: 1-line block ×8, first 2 shown]
	v_pk_fma_f16 v76, v33, v28, v76
	v_pk_fma_f16 v35, v33, v75, v35
	;; [unrolled: 1-line block ×8, first 2 shown]
	ds_load_2addr_b32 v[32:33], v44 offset0:192 offset1:224
	ds_load_b128 v[28:31], v51 offset:96
	s_wait_dscnt 0x0
	v_lshrrev_b32_e32 v77, 16, v28
	v_lshrrev_b32_e32 v78, 16, v29
	;; [unrolled: 1-line block ×4, first 2 shown]
	v_and_b32_e32 v28, 0xffff, v28
	v_and_b32_e32 v29, 0xffff, v29
	v_and_b32_e32 v30, 0xffff, v30
	v_and_b32_e32 v31, 0xffff, v31
	v_mul_u32_u24_e32 v77, 0x10001, v77
	v_mul_u32_u24_e32 v28, 0x10001, v28
	;; [unrolled: 1-line block ×8, first 2 shown]
	v_pk_fma_f16 v76, v32, v28, v76
	v_pk_fma_f16 v71, v32, v29, v71
	;; [unrolled: 1-line block ×4, first 2 shown]
	ds_load_b128 v[28:31], v51 offset:112
	v_pk_fma_f16 v35, v32, v77, v35
	v_pk_fma_f16 v72, v32, v78, v72
	;; [unrolled: 1-line block ×4, first 2 shown]
	s_wait_dscnt 0x0
	v_lshrrev_b32_e32 v75, 16, v28
	v_lshrrev_b32_e32 v77, 16, v29
	;; [unrolled: 1-line block ×4, first 2 shown]
	v_and_b32_e32 v28, 0xffff, v28
	v_and_b32_e32 v29, 0xffff, v29
	v_and_b32_e32 v30, 0xffff, v30
	v_and_b32_e32 v31, 0xffff, v31
	v_mul_u32_u24_e32 v75, 0x10001, v75
	v_mul_u32_u24_e32 v28, 0x10001, v28
	;; [unrolled: 1-line block ×8, first 2 shown]
	v_pk_fma_f16 v76, v33, v28, v76
	v_pk_fma_f16 v35, v33, v75, v35
	;; [unrolled: 1-line block ×8, first 2 shown]
	ds_load_2addr_b32 v[32:33], v57 offset1:32
	ds_load_b128 v[28:31], v51 offset:128
	s_wait_dscnt 0x0
	v_lshrrev_b32_e32 v77, 16, v28
	v_lshrrev_b32_e32 v78, 16, v29
	v_lshrrev_b32_e32 v79, 16, v30
	v_lshrrev_b32_e32 v80, 16, v31
	v_and_b32_e32 v28, 0xffff, v28
	v_and_b32_e32 v29, 0xffff, v29
	v_and_b32_e32 v30, 0xffff, v30
	v_and_b32_e32 v31, 0xffff, v31
	v_mul_u32_u24_e32 v77, 0x10001, v77
	v_mul_u32_u24_e32 v28, 0x10001, v28
	v_mul_u32_u24_e32 v29, 0x10001, v29
	v_mul_u32_u24_e32 v30, 0x10001, v30
	v_mul_u32_u24_e32 v31, 0x10001, v31
	v_mul_u32_u24_e32 v78, 0x10001, v78
	v_mul_u32_u24_e32 v79, 0x10001, v79
	v_mul_u32_u24_e32 v80, 0x10001, v80
	v_pk_fma_f16 v76, v32, v28, v76
	v_pk_fma_f16 v71, v32, v29, v71
	v_pk_fma_f16 v73, v32, v30, v73
	v_pk_fma_f16 v74, v32, v31, v74
	ds_load_b128 v[28:31], v51 offset:144
	v_pk_fma_f16 v35, v32, v77, v35
	v_pk_fma_f16 v72, v32, v78, v72
	v_pk_fma_f16 v34, v32, v79, v34
	v_pk_fma_f16 v32, v32, v80, v75
	s_wait_dscnt 0x0
	v_lshrrev_b32_e32 v75, 16, v28
	v_lshrrev_b32_e32 v77, 16, v29
	v_lshrrev_b32_e32 v78, 16, v30
	v_lshrrev_b32_e32 v79, 16, v31
	v_and_b32_e32 v28, 0xffff, v28
	v_and_b32_e32 v29, 0xffff, v29
	v_and_b32_e32 v30, 0xffff, v30
	v_and_b32_e32 v31, 0xffff, v31
	v_mul_u32_u24_e32 v75, 0x10001, v75
	v_mul_u32_u24_e32 v28, 0x10001, v28
	v_mul_u32_u24_e32 v29, 0x10001, v29
	v_mul_u32_u24_e32 v77, 0x10001, v77
	v_mul_u32_u24_e32 v30, 0x10001, v30
	v_mul_u32_u24_e32 v78, 0x10001, v78
	v_mul_u32_u24_e32 v31, 0x10001, v31
	v_mul_u32_u24_e32 v79, 0x10001, v79
	v_pk_fma_f16 v76, v33, v28, v76
	v_pk_fma_f16 v35, v33, v75, v35
	v_pk_fma_f16 v71, v33, v29, v71
	v_pk_fma_f16 v72, v33, v77, v72
	v_pk_fma_f16 v73, v33, v30, v73
	v_pk_fma_f16 v34, v33, v78, v34
	v_pk_fma_f16 v74, v33, v31, v74
	v_pk_fma_f16 v75, v33, v79, v32
	ds_load_2addr_b32 v[32:33], v57 offset0:64 offset1:96
	ds_load_b128 v[28:31], v51 offset:160
	s_wait_dscnt 0x0
	v_lshrrev_b32_e32 v77, 16, v28
	v_lshrrev_b32_e32 v78, 16, v29
	v_lshrrev_b32_e32 v79, 16, v30
	v_lshrrev_b32_e32 v80, 16, v31
	v_and_b32_e32 v28, 0xffff, v28
	v_and_b32_e32 v29, 0xffff, v29
	v_and_b32_e32 v30, 0xffff, v30
	v_and_b32_e32 v31, 0xffff, v31
	v_mul_u32_u24_e32 v77, 0x10001, v77
	v_mul_u32_u24_e32 v28, 0x10001, v28
	v_mul_u32_u24_e32 v29, 0x10001, v29
	v_mul_u32_u24_e32 v30, 0x10001, v30
	v_mul_u32_u24_e32 v31, 0x10001, v31
	v_mul_u32_u24_e32 v78, 0x10001, v78
	v_mul_u32_u24_e32 v79, 0x10001, v79
	v_mul_u32_u24_e32 v80, 0x10001, v80
	v_pk_fma_f16 v76, v32, v28, v76
	v_pk_fma_f16 v71, v32, v29, v71
	v_pk_fma_f16 v73, v32, v30, v73
	v_pk_fma_f16 v74, v32, v31, v74
	ds_load_b128 v[28:31], v51 offset:176
	v_pk_fma_f16 v35, v32, v77, v35
	v_pk_fma_f16 v72, v32, v78, v72
	v_pk_fma_f16 v34, v32, v79, v34
	v_pk_fma_f16 v32, v32, v80, v75
	s_wait_dscnt 0x0
	v_lshrrev_b32_e32 v75, 16, v28
	v_lshrrev_b32_e32 v77, 16, v29
	v_lshrrev_b32_e32 v78, 16, v30
	v_lshrrev_b32_e32 v79, 16, v31
	v_and_b32_e32 v28, 0xffff, v28
	v_and_b32_e32 v29, 0xffff, v29
	v_and_b32_e32 v30, 0xffff, v30
	v_and_b32_e32 v31, 0xffff, v31
	v_mul_u32_u24_e32 v75, 0x10001, v75
	v_mul_u32_u24_e32 v28, 0x10001, v28
	v_mul_u32_u24_e32 v29, 0x10001, v29
	v_mul_u32_u24_e32 v77, 0x10001, v77
	v_mul_u32_u24_e32 v30, 0x10001, v30
	v_mul_u32_u24_e32 v78, 0x10001, v78
	v_mul_u32_u24_e32 v31, 0x10001, v31
	v_mul_u32_u24_e32 v79, 0x10001, v79
	v_pk_fma_f16 v76, v33, v28, v76
	v_pk_fma_f16 v35, v33, v75, v35
	v_pk_fma_f16 v71, v33, v29, v71
	v_pk_fma_f16 v72, v33, v77, v72
	v_pk_fma_f16 v73, v33, v30, v73
	v_pk_fma_f16 v34, v33, v78, v34
	v_pk_fma_f16 v74, v33, v31, v74
	v_pk_fma_f16 v75, v33, v79, v32
	ds_load_2addr_b32 v[32:33], v57 offset0:128 offset1:160
	;; [unrolled: 53-line block ×3, first 2 shown]
	ds_load_b128 v[28:31], v51 offset:224
	s_wait_dscnt 0x0
	v_lshrrev_b32_e32 v77, 16, v28
	v_lshrrev_b32_e32 v78, 16, v29
	;; [unrolled: 1-line block ×4, first 2 shown]
	v_and_b32_e32 v28, 0xffff, v28
	v_and_b32_e32 v29, 0xffff, v29
	;; [unrolled: 1-line block ×4, first 2 shown]
	v_mul_u32_u24_e32 v77, 0x10001, v77
	v_mul_u32_u24_e32 v28, 0x10001, v28
	;; [unrolled: 1-line block ×8, first 2 shown]
	v_pk_fma_f16 v76, v32, v28, v76
	v_pk_fma_f16 v71, v32, v29, v71
	;; [unrolled: 1-line block ×4, first 2 shown]
	ds_load_b128 v[28:31], v51 offset:240
	v_pk_fma_f16 v35, v32, v77, v35
	v_pk_fma_f16 v72, v32, v78, v72
	;; [unrolled: 1-line block ×4, first 2 shown]
	s_wait_dscnt 0x0
	v_lshrrev_b32_e32 v75, 16, v28
	v_lshrrev_b32_e32 v77, 16, v29
	;; [unrolled: 1-line block ×4, first 2 shown]
	v_and_b32_e32 v28, 0xffff, v28
	v_and_b32_e32 v29, 0xffff, v29
	;; [unrolled: 1-line block ×4, first 2 shown]
	v_mul_u32_u24_e32 v75, 0x10001, v75
	v_mul_u32_u24_e32 v28, 0x10001, v28
	;; [unrolled: 1-line block ×8, first 2 shown]
	v_pk_fma_f16 v76, v33, v28, v76
	v_pk_fma_f16 v35, v33, v75, v35
	;; [unrolled: 1-line block ×8, first 2 shown]
	ds_load_2addr_b32 v[32:33], v58 offset1:32
	ds_load_b128 v[28:31], v51 offset:256
	s_wait_dscnt 0x0
	v_lshrrev_b32_e32 v77, 16, v28
	v_lshrrev_b32_e32 v78, 16, v29
	v_lshrrev_b32_e32 v79, 16, v30
	v_lshrrev_b32_e32 v80, 16, v31
	v_and_b32_e32 v28, 0xffff, v28
	v_and_b32_e32 v29, 0xffff, v29
	v_and_b32_e32 v30, 0xffff, v30
	v_and_b32_e32 v31, 0xffff, v31
	v_mul_u32_u24_e32 v77, 0x10001, v77
	v_mul_u32_u24_e32 v28, 0x10001, v28
	v_mul_u32_u24_e32 v29, 0x10001, v29
	v_mul_u32_u24_e32 v30, 0x10001, v30
	v_mul_u32_u24_e32 v31, 0x10001, v31
	v_mul_u32_u24_e32 v78, 0x10001, v78
	v_mul_u32_u24_e32 v79, 0x10001, v79
	v_mul_u32_u24_e32 v80, 0x10001, v80
	v_pk_fma_f16 v76, v32, v28, v76
	v_pk_fma_f16 v71, v32, v29, v71
	v_pk_fma_f16 v73, v32, v30, v73
	v_pk_fma_f16 v74, v32, v31, v74
	ds_load_b128 v[28:31], v51 offset:272
	v_pk_fma_f16 v35, v32, v77, v35
	v_pk_fma_f16 v72, v32, v78, v72
	v_pk_fma_f16 v34, v32, v79, v34
	v_pk_fma_f16 v32, v32, v80, v75
	s_wait_dscnt 0x0
	v_lshrrev_b32_e32 v75, 16, v28
	v_lshrrev_b32_e32 v77, 16, v29
	v_lshrrev_b32_e32 v78, 16, v30
	v_lshrrev_b32_e32 v79, 16, v31
	v_and_b32_e32 v28, 0xffff, v28
	v_and_b32_e32 v29, 0xffff, v29
	v_and_b32_e32 v30, 0xffff, v30
	v_and_b32_e32 v31, 0xffff, v31
	v_mul_u32_u24_e32 v75, 0x10001, v75
	v_mul_u32_u24_e32 v28, 0x10001, v28
	v_mul_u32_u24_e32 v29, 0x10001, v29
	v_mul_u32_u24_e32 v77, 0x10001, v77
	v_mul_u32_u24_e32 v30, 0x10001, v30
	v_mul_u32_u24_e32 v78, 0x10001, v78
	v_mul_u32_u24_e32 v31, 0x10001, v31
	v_mul_u32_u24_e32 v79, 0x10001, v79
	v_pk_fma_f16 v76, v33, v28, v76
	v_pk_fma_f16 v35, v33, v75, v35
	v_pk_fma_f16 v71, v33, v29, v71
	v_pk_fma_f16 v72, v33, v77, v72
	v_pk_fma_f16 v73, v33, v30, v73
	v_pk_fma_f16 v34, v33, v78, v34
	v_pk_fma_f16 v74, v33, v31, v74
	v_pk_fma_f16 v75, v33, v79, v32
	ds_load_2addr_b32 v[32:33], v58 offset0:64 offset1:96
	ds_load_b128 v[28:31], v51 offset:288
	s_wait_dscnt 0x0
	v_lshrrev_b32_e32 v77, 16, v28
	v_lshrrev_b32_e32 v78, 16, v29
	v_lshrrev_b32_e32 v79, 16, v30
	v_lshrrev_b32_e32 v80, 16, v31
	v_and_b32_e32 v28, 0xffff, v28
	v_and_b32_e32 v29, 0xffff, v29
	v_and_b32_e32 v30, 0xffff, v30
	v_and_b32_e32 v31, 0xffff, v31
	v_mul_u32_u24_e32 v77, 0x10001, v77
	v_mul_u32_u24_e32 v28, 0x10001, v28
	v_mul_u32_u24_e32 v29, 0x10001, v29
	v_mul_u32_u24_e32 v30, 0x10001, v30
	v_mul_u32_u24_e32 v31, 0x10001, v31
	v_mul_u32_u24_e32 v78, 0x10001, v78
	v_mul_u32_u24_e32 v79, 0x10001, v79
	v_mul_u32_u24_e32 v80, 0x10001, v80
	v_pk_fma_f16 v76, v32, v28, v76
	v_pk_fma_f16 v71, v32, v29, v71
	v_pk_fma_f16 v73, v32, v30, v73
	v_pk_fma_f16 v74, v32, v31, v74
	ds_load_b128 v[28:31], v51 offset:304
	v_pk_fma_f16 v35, v32, v77, v35
	v_pk_fma_f16 v72, v32, v78, v72
	v_pk_fma_f16 v34, v32, v79, v34
	v_pk_fma_f16 v32, v32, v80, v75
	s_wait_dscnt 0x0
	v_lshrrev_b32_e32 v75, 16, v28
	v_lshrrev_b32_e32 v77, 16, v29
	v_lshrrev_b32_e32 v78, 16, v30
	v_lshrrev_b32_e32 v79, 16, v31
	v_and_b32_e32 v28, 0xffff, v28
	v_and_b32_e32 v29, 0xffff, v29
	v_and_b32_e32 v30, 0xffff, v30
	v_and_b32_e32 v31, 0xffff, v31
	v_mul_u32_u24_e32 v75, 0x10001, v75
	v_mul_u32_u24_e32 v28, 0x10001, v28
	v_mul_u32_u24_e32 v29, 0x10001, v29
	v_mul_u32_u24_e32 v77, 0x10001, v77
	v_mul_u32_u24_e32 v30, 0x10001, v30
	v_mul_u32_u24_e32 v78, 0x10001, v78
	v_mul_u32_u24_e32 v31, 0x10001, v31
	v_mul_u32_u24_e32 v79, 0x10001, v79
	v_pk_fma_f16 v76, v33, v28, v76
	v_pk_fma_f16 v35, v33, v75, v35
	v_pk_fma_f16 v71, v33, v29, v71
	v_pk_fma_f16 v72, v33, v77, v72
	v_pk_fma_f16 v73, v33, v30, v73
	v_pk_fma_f16 v34, v33, v78, v34
	v_pk_fma_f16 v74, v33, v31, v74
	v_pk_fma_f16 v75, v33, v79, v32
	ds_load_2addr_b32 v[32:33], v58 offset0:128 offset1:160
	;; [unrolled: 53-line block ×3, first 2 shown]
	ds_load_b128 v[28:31], v51 offset:352
	s_wait_dscnt 0x0
	v_lshrrev_b32_e32 v77, 16, v28
	v_lshrrev_b32_e32 v78, 16, v29
	;; [unrolled: 1-line block ×4, first 2 shown]
	v_and_b32_e32 v28, 0xffff, v28
	v_and_b32_e32 v29, 0xffff, v29
	;; [unrolled: 1-line block ×4, first 2 shown]
	v_mul_u32_u24_e32 v77, 0x10001, v77
	v_mul_u32_u24_e32 v28, 0x10001, v28
	;; [unrolled: 1-line block ×6, first 2 shown]
	v_pk_fma_f16 v76, v32, v28, v76
	v_pk_fma_f16 v71, v32, v29, v71
	;; [unrolled: 1-line block ×4, first 2 shown]
	ds_load_b128 v[28:31], v51 offset:368
	v_mul_u32_u24_e32 v79, 0x10001, v79
	v_mul_u32_u24_e32 v80, 0x10001, v80
	v_pk_fma_f16 v35, v32, v77, v35
	v_pk_fma_f16 v72, v32, v78, v72
	s_delay_alu instid0(VALU_DEP_4) | instskip(NEXT) | instid1(VALU_DEP_4)
	v_pk_fma_f16 v34, v32, v79, v34
	v_pk_fma_f16 v32, v32, v80, v75
	s_wait_dscnt 0x0
	v_lshrrev_b32_e32 v75, 16, v28
	v_lshrrev_b32_e32 v77, 16, v29
	;; [unrolled: 1-line block ×4, first 2 shown]
	v_and_b32_e32 v28, 0xffff, v28
	v_and_b32_e32 v29, 0xffff, v29
	;; [unrolled: 1-line block ×4, first 2 shown]
	v_mul_u32_u24_e32 v75, 0x10001, v75
	v_mul_u32_u24_e32 v28, 0x10001, v28
	v_mul_u32_u24_e32 v29, 0x10001, v29
	v_mul_u32_u24_e32 v77, 0x10001, v77
	v_mul_u32_u24_e32 v30, 0x10001, v30
	v_mul_u32_u24_e32 v78, 0x10001, v78
	v_mul_u32_u24_e32 v31, 0x10001, v31
	v_mul_u32_u24_e32 v79, 0x10001, v79
	v_pk_fma_f16 v76, v33, v28, v76
	v_pk_fma_f16 v35, v33, v75, v35
	;; [unrolled: 1-line block ×8, first 2 shown]
	ds_load_2addr_b32 v[32:33], v59 offset1:32
	ds_load_b128 v[28:31], v51 offset:384
	s_wait_dscnt 0x0
	v_lshrrev_b32_e32 v77, 16, v28
	v_lshrrev_b32_e32 v78, 16, v29
	v_lshrrev_b32_e32 v79, 16, v30
	v_lshrrev_b32_e32 v80, 16, v31
	v_and_b32_e32 v28, 0xffff, v28
	v_and_b32_e32 v29, 0xffff, v29
	v_and_b32_e32 v30, 0xffff, v30
	v_and_b32_e32 v31, 0xffff, v31
	v_mul_u32_u24_e32 v77, 0x10001, v77
	v_mul_u32_u24_e32 v28, 0x10001, v28
	v_mul_u32_u24_e32 v29, 0x10001, v29
	v_mul_u32_u24_e32 v30, 0x10001, v30
	v_mul_u32_u24_e32 v31, 0x10001, v31
	v_mul_u32_u24_e32 v78, 0x10001, v78
	v_pk_fma_f16 v76, v32, v28, v76
	v_pk_fma_f16 v71, v32, v29, v71
	v_pk_fma_f16 v73, v32, v30, v73
	v_pk_fma_f16 v74, v32, v31, v74
	ds_load_b128 v[28:31], v51 offset:400
	v_mul_u32_u24_e32 v79, 0x10001, v79
	v_mul_u32_u24_e32 v80, 0x10001, v80
	v_pk_fma_f16 v35, v32, v77, v35
	v_pk_fma_f16 v72, v32, v78, v72
	s_delay_alu instid0(VALU_DEP_4) | instskip(NEXT) | instid1(VALU_DEP_4)
	v_pk_fma_f16 v34, v32, v79, v34
	v_pk_fma_f16 v32, v32, v80, v75
	s_wait_dscnt 0x0
	v_lshrrev_b32_e32 v75, 16, v28
	v_lshrrev_b32_e32 v77, 16, v29
	v_lshrrev_b32_e32 v78, 16, v30
	v_lshrrev_b32_e32 v79, 16, v31
	v_and_b32_e32 v28, 0xffff, v28
	v_and_b32_e32 v29, 0xffff, v29
	v_and_b32_e32 v30, 0xffff, v30
	v_and_b32_e32 v31, 0xffff, v31
	v_mul_u32_u24_e32 v75, 0x10001, v75
	v_mul_u32_u24_e32 v28, 0x10001, v28
	v_mul_u32_u24_e32 v29, 0x10001, v29
	v_mul_u32_u24_e32 v77, 0x10001, v77
	v_mul_u32_u24_e32 v30, 0x10001, v30
	v_mul_u32_u24_e32 v78, 0x10001, v78
	v_mul_u32_u24_e32 v31, 0x10001, v31
	v_mul_u32_u24_e32 v79, 0x10001, v79
	v_pk_fma_f16 v76, v33, v28, v76
	v_pk_fma_f16 v35, v33, v75, v35
	v_pk_fma_f16 v71, v33, v29, v71
	v_pk_fma_f16 v72, v33, v77, v72
	v_pk_fma_f16 v73, v33, v30, v73
	v_pk_fma_f16 v34, v33, v78, v34
	v_pk_fma_f16 v74, v33, v31, v74
	v_pk_fma_f16 v75, v33, v79, v32
	ds_load_2addr_b32 v[32:33], v59 offset0:64 offset1:96
	ds_load_b128 v[28:31], v51 offset:416
	s_wait_dscnt 0x0
	v_lshrrev_b32_e32 v77, 16, v28
	v_lshrrev_b32_e32 v78, 16, v29
	v_lshrrev_b32_e32 v79, 16, v30
	v_lshrrev_b32_e32 v80, 16, v31
	v_and_b32_e32 v28, 0xffff, v28
	v_and_b32_e32 v29, 0xffff, v29
	v_and_b32_e32 v30, 0xffff, v30
	v_and_b32_e32 v31, 0xffff, v31
	v_mul_u32_u24_e32 v77, 0x10001, v77
	v_mul_u32_u24_e32 v28, 0x10001, v28
	v_mul_u32_u24_e32 v29, 0x10001, v29
	v_mul_u32_u24_e32 v30, 0x10001, v30
	v_mul_u32_u24_e32 v31, 0x10001, v31
	v_mul_u32_u24_e32 v78, 0x10001, v78
	v_pk_fma_f16 v76, v32, v28, v76
	v_pk_fma_f16 v71, v32, v29, v71
	v_pk_fma_f16 v73, v32, v30, v73
	v_pk_fma_f16 v74, v32, v31, v74
	ds_load_b128 v[28:31], v51 offset:432
	v_mul_u32_u24_e32 v79, 0x10001, v79
	v_mul_u32_u24_e32 v80, 0x10001, v80
	v_pk_fma_f16 v35, v32, v77, v35
	v_pk_fma_f16 v72, v32, v78, v72
	s_delay_alu instid0(VALU_DEP_4) | instskip(NEXT) | instid1(VALU_DEP_4)
	v_pk_fma_f16 v34, v32, v79, v34
	v_pk_fma_f16 v32, v32, v80, v75
	s_wait_dscnt 0x0
	v_lshrrev_b32_e32 v75, 16, v28
	v_lshrrev_b32_e32 v77, 16, v29
	v_lshrrev_b32_e32 v78, 16, v30
	v_lshrrev_b32_e32 v79, 16, v31
	v_and_b32_e32 v28, 0xffff, v28
	v_and_b32_e32 v29, 0xffff, v29
	v_and_b32_e32 v30, 0xffff, v30
	v_and_b32_e32 v31, 0xffff, v31
	v_mul_u32_u24_e32 v75, 0x10001, v75
	v_mul_u32_u24_e32 v28, 0x10001, v28
	v_mul_u32_u24_e32 v29, 0x10001, v29
	v_mul_u32_u24_e32 v77, 0x10001, v77
	v_mul_u32_u24_e32 v30, 0x10001, v30
	v_mul_u32_u24_e32 v78, 0x10001, v78
	v_mul_u32_u24_e32 v31, 0x10001, v31
	v_mul_u32_u24_e32 v79, 0x10001, v79
	v_pk_fma_f16 v76, v33, v28, v76
	v_pk_fma_f16 v35, v33, v75, v35
	v_pk_fma_f16 v71, v33, v29, v71
	v_pk_fma_f16 v72, v33, v77, v72
	v_pk_fma_f16 v73, v33, v30, v73
	v_pk_fma_f16 v34, v33, v78, v34
	v_pk_fma_f16 v74, v33, v31, v74
	v_pk_fma_f16 v75, v33, v79, v32
	ds_load_2addr_b32 v[32:33], v59 offset0:128 offset1:160
	;; [unrolled: 54-line block ×3, first 2 shown]
	ds_load_b128 v[28:31], v51 offset:480
	s_wait_dscnt 0x0
	v_lshrrev_b32_e32 v77, 16, v28
	v_lshrrev_b32_e32 v78, 16, v29
	;; [unrolled: 1-line block ×4, first 2 shown]
	v_and_b32_e32 v28, 0xffff, v28
	v_and_b32_e32 v29, 0xffff, v29
	;; [unrolled: 1-line block ×4, first 2 shown]
	v_mul_u32_u24_e32 v77, 0x10001, v77
	v_mul_u32_u24_e32 v28, 0x10001, v28
	;; [unrolled: 1-line block ×6, first 2 shown]
	v_pk_fma_f16 v76, v32, v28, v76
	v_pk_fma_f16 v71, v32, v29, v71
	;; [unrolled: 1-line block ×4, first 2 shown]
	ds_load_b128 v[28:31], v51 offset:496
	v_mul_u32_u24_e32 v79, 0x10001, v79
	v_mul_u32_u24_e32 v80, 0x10001, v80
	v_pk_fma_f16 v35, v32, v77, v35
	v_pk_fma_f16 v72, v32, v78, v72
	s_delay_alu instid0(VALU_DEP_4) | instskip(NEXT) | instid1(VALU_DEP_4)
	v_pk_fma_f16 v34, v32, v79, v34
	v_pk_fma_f16 v32, v32, v80, v75
	s_wait_dscnt 0x0
	v_lshrrev_b32_e32 v75, 16, v28
	v_lshrrev_b32_e32 v77, 16, v29
	;; [unrolled: 1-line block ×4, first 2 shown]
	v_and_b32_e32 v28, 0xffff, v28
	v_and_b32_e32 v29, 0xffff, v29
	;; [unrolled: 1-line block ×4, first 2 shown]
	v_mul_u32_u24_e32 v75, 0x10001, v75
	v_mul_u32_u24_e32 v28, 0x10001, v28
	;; [unrolled: 1-line block ×8, first 2 shown]
	v_pk_fma_f16 v76, v33, v28, v76
	v_pk_fma_f16 v35, v33, v75, v35
	;; [unrolled: 1-line block ×8, first 2 shown]
	ds_load_2addr_b32 v[32:33], v60 offset1:32
	ds_load_b128 v[28:31], v51 offset:512
	s_wait_dscnt 0x0
	v_lshrrev_b32_e32 v77, 16, v28
	v_lshrrev_b32_e32 v78, 16, v29
	v_lshrrev_b32_e32 v79, 16, v30
	v_lshrrev_b32_e32 v80, 16, v31
	v_and_b32_e32 v28, 0xffff, v28
	v_and_b32_e32 v29, 0xffff, v29
	v_and_b32_e32 v30, 0xffff, v30
	v_and_b32_e32 v31, 0xffff, v31
	v_mul_u32_u24_e32 v77, 0x10001, v77
	v_mul_u32_u24_e32 v28, 0x10001, v28
	v_mul_u32_u24_e32 v29, 0x10001, v29
	v_mul_u32_u24_e32 v30, 0x10001, v30
	v_mul_u32_u24_e32 v31, 0x10001, v31
	v_mul_u32_u24_e32 v78, 0x10001, v78
	v_pk_fma_f16 v76, v32, v28, v76
	v_pk_fma_f16 v71, v32, v29, v71
	v_pk_fma_f16 v73, v32, v30, v73
	v_pk_fma_f16 v74, v32, v31, v74
	ds_load_b128 v[28:31], v51 offset:528
	v_mul_u32_u24_e32 v79, 0x10001, v79
	v_mul_u32_u24_e32 v80, 0x10001, v80
	v_pk_fma_f16 v35, v32, v77, v35
	v_pk_fma_f16 v72, v32, v78, v72
	s_delay_alu instid0(VALU_DEP_4) | instskip(NEXT) | instid1(VALU_DEP_4)
	v_pk_fma_f16 v34, v32, v79, v34
	v_pk_fma_f16 v32, v32, v80, v75
	s_wait_dscnt 0x0
	v_lshrrev_b32_e32 v75, 16, v28
	v_lshrrev_b32_e32 v77, 16, v29
	v_lshrrev_b32_e32 v78, 16, v30
	v_lshrrev_b32_e32 v79, 16, v31
	v_and_b32_e32 v28, 0xffff, v28
	v_and_b32_e32 v29, 0xffff, v29
	v_and_b32_e32 v30, 0xffff, v30
	v_and_b32_e32 v31, 0xffff, v31
	v_mul_u32_u24_e32 v75, 0x10001, v75
	v_mul_u32_u24_e32 v28, 0x10001, v28
	v_mul_u32_u24_e32 v29, 0x10001, v29
	v_mul_u32_u24_e32 v77, 0x10001, v77
	v_mul_u32_u24_e32 v30, 0x10001, v30
	v_mul_u32_u24_e32 v78, 0x10001, v78
	v_mul_u32_u24_e32 v31, 0x10001, v31
	v_mul_u32_u24_e32 v79, 0x10001, v79
	v_pk_fma_f16 v76, v33, v28, v76
	v_pk_fma_f16 v35, v33, v75, v35
	v_pk_fma_f16 v71, v33, v29, v71
	v_pk_fma_f16 v72, v33, v77, v72
	v_pk_fma_f16 v73, v33, v30, v73
	v_pk_fma_f16 v34, v33, v78, v34
	v_pk_fma_f16 v74, v33, v31, v74
	v_pk_fma_f16 v75, v33, v79, v32
	ds_load_2addr_b32 v[32:33], v60 offset0:64 offset1:96
	ds_load_b128 v[28:31], v51 offset:544
	s_wait_dscnt 0x0
	v_lshrrev_b32_e32 v77, 16, v28
	v_lshrrev_b32_e32 v78, 16, v29
	v_lshrrev_b32_e32 v79, 16, v30
	v_lshrrev_b32_e32 v80, 16, v31
	v_and_b32_e32 v28, 0xffff, v28
	v_and_b32_e32 v29, 0xffff, v29
	v_and_b32_e32 v30, 0xffff, v30
	v_and_b32_e32 v31, 0xffff, v31
	v_mul_u32_u24_e32 v77, 0x10001, v77
	v_mul_u32_u24_e32 v28, 0x10001, v28
	v_mul_u32_u24_e32 v29, 0x10001, v29
	v_mul_u32_u24_e32 v30, 0x10001, v30
	v_mul_u32_u24_e32 v31, 0x10001, v31
	v_mul_u32_u24_e32 v78, 0x10001, v78
	v_pk_fma_f16 v76, v32, v28, v76
	v_pk_fma_f16 v71, v32, v29, v71
	v_pk_fma_f16 v73, v32, v30, v73
	v_pk_fma_f16 v74, v32, v31, v74
	ds_load_b128 v[28:31], v51 offset:560
	v_mul_u32_u24_e32 v79, 0x10001, v79
	v_mul_u32_u24_e32 v80, 0x10001, v80
	v_pk_fma_f16 v35, v32, v77, v35
	v_pk_fma_f16 v72, v32, v78, v72
	s_delay_alu instid0(VALU_DEP_4) | instskip(NEXT) | instid1(VALU_DEP_4)
	v_pk_fma_f16 v34, v32, v79, v34
	v_pk_fma_f16 v32, v32, v80, v75
	s_wait_dscnt 0x0
	v_lshrrev_b32_e32 v75, 16, v28
	v_lshrrev_b32_e32 v77, 16, v29
	v_lshrrev_b32_e32 v78, 16, v30
	v_lshrrev_b32_e32 v79, 16, v31
	v_and_b32_e32 v28, 0xffff, v28
	v_and_b32_e32 v29, 0xffff, v29
	v_and_b32_e32 v30, 0xffff, v30
	v_and_b32_e32 v31, 0xffff, v31
	v_mul_u32_u24_e32 v75, 0x10001, v75
	v_mul_u32_u24_e32 v28, 0x10001, v28
	v_mul_u32_u24_e32 v29, 0x10001, v29
	v_mul_u32_u24_e32 v77, 0x10001, v77
	v_mul_u32_u24_e32 v30, 0x10001, v30
	v_mul_u32_u24_e32 v78, 0x10001, v78
	v_mul_u32_u24_e32 v31, 0x10001, v31
	v_mul_u32_u24_e32 v79, 0x10001, v79
	v_pk_fma_f16 v76, v33, v28, v76
	v_pk_fma_f16 v35, v33, v75, v35
	v_pk_fma_f16 v71, v33, v29, v71
	v_pk_fma_f16 v72, v33, v77, v72
	v_pk_fma_f16 v73, v33, v30, v73
	v_pk_fma_f16 v34, v33, v78, v34
	v_pk_fma_f16 v74, v33, v31, v74
	v_pk_fma_f16 v75, v33, v79, v32
	ds_load_2addr_b32 v[32:33], v60 offset0:128 offset1:160
	;; [unrolled: 54-line block ×3, first 2 shown]
	ds_load_b128 v[28:31], v51 offset:608
	s_wait_dscnt 0x0
	v_lshrrev_b32_e32 v77, 16, v28
	v_lshrrev_b32_e32 v78, 16, v29
	;; [unrolled: 1-line block ×4, first 2 shown]
	v_and_b32_e32 v28, 0xffff, v28
	v_and_b32_e32 v29, 0xffff, v29
	;; [unrolled: 1-line block ×4, first 2 shown]
	v_mul_u32_u24_e32 v77, 0x10001, v77
	v_mul_u32_u24_e32 v28, 0x10001, v28
	;; [unrolled: 1-line block ×6, first 2 shown]
	v_pk_fma_f16 v76, v32, v28, v76
	v_pk_fma_f16 v71, v32, v29, v71
	;; [unrolled: 1-line block ×4, first 2 shown]
	ds_load_b128 v[28:31], v51 offset:624
	v_mul_u32_u24_e32 v79, 0x10001, v79
	v_mul_u32_u24_e32 v80, 0x10001, v80
	v_pk_fma_f16 v35, v32, v77, v35
	v_pk_fma_f16 v72, v32, v78, v72
	s_delay_alu instid0(VALU_DEP_4) | instskip(NEXT) | instid1(VALU_DEP_4)
	v_pk_fma_f16 v34, v32, v79, v34
	v_pk_fma_f16 v32, v32, v80, v75
	s_wait_dscnt 0x0
	v_lshrrev_b32_e32 v75, 16, v28
	v_lshrrev_b32_e32 v77, 16, v29
	;; [unrolled: 1-line block ×4, first 2 shown]
	v_and_b32_e32 v28, 0xffff, v28
	v_and_b32_e32 v29, 0xffff, v29
	;; [unrolled: 1-line block ×4, first 2 shown]
	v_mul_u32_u24_e32 v75, 0x10001, v75
	v_mul_u32_u24_e32 v28, 0x10001, v28
	;; [unrolled: 1-line block ×8, first 2 shown]
	v_pk_fma_f16 v76, v33, v28, v76
	v_pk_fma_f16 v35, v33, v75, v35
	;; [unrolled: 1-line block ×8, first 2 shown]
	ds_load_2addr_b32 v[32:33], v61 offset1:32
	ds_load_b128 v[28:31], v51 offset:640
	s_wait_dscnt 0x0
	v_lshrrev_b32_e32 v77, 16, v28
	v_lshrrev_b32_e32 v78, 16, v29
	v_lshrrev_b32_e32 v79, 16, v30
	v_lshrrev_b32_e32 v80, 16, v31
	v_and_b32_e32 v28, 0xffff, v28
	v_and_b32_e32 v29, 0xffff, v29
	v_and_b32_e32 v30, 0xffff, v30
	v_and_b32_e32 v31, 0xffff, v31
	v_mul_u32_u24_e32 v77, 0x10001, v77
	v_mul_u32_u24_e32 v28, 0x10001, v28
	v_mul_u32_u24_e32 v29, 0x10001, v29
	v_mul_u32_u24_e32 v30, 0x10001, v30
	v_mul_u32_u24_e32 v31, 0x10001, v31
	v_mul_u32_u24_e32 v78, 0x10001, v78
	v_pk_fma_f16 v76, v32, v28, v76
	v_pk_fma_f16 v71, v32, v29, v71
	v_pk_fma_f16 v73, v32, v30, v73
	v_pk_fma_f16 v74, v32, v31, v74
	ds_load_b128 v[28:31], v51 offset:656
	v_mul_u32_u24_e32 v79, 0x10001, v79
	v_mul_u32_u24_e32 v80, 0x10001, v80
	v_pk_fma_f16 v35, v32, v77, v35
	v_pk_fma_f16 v72, v32, v78, v72
	s_delay_alu instid0(VALU_DEP_4) | instskip(NEXT) | instid1(VALU_DEP_4)
	v_pk_fma_f16 v34, v32, v79, v34
	v_pk_fma_f16 v32, v32, v80, v75
	s_wait_dscnt 0x0
	v_lshrrev_b32_e32 v75, 16, v28
	v_lshrrev_b32_e32 v77, 16, v29
	v_lshrrev_b32_e32 v78, 16, v30
	v_lshrrev_b32_e32 v79, 16, v31
	v_and_b32_e32 v28, 0xffff, v28
	v_and_b32_e32 v29, 0xffff, v29
	v_and_b32_e32 v30, 0xffff, v30
	v_and_b32_e32 v31, 0xffff, v31
	v_mul_u32_u24_e32 v75, 0x10001, v75
	v_mul_u32_u24_e32 v28, 0x10001, v28
	v_mul_u32_u24_e32 v29, 0x10001, v29
	v_mul_u32_u24_e32 v77, 0x10001, v77
	v_mul_u32_u24_e32 v30, 0x10001, v30
	v_mul_u32_u24_e32 v78, 0x10001, v78
	v_mul_u32_u24_e32 v31, 0x10001, v31
	v_mul_u32_u24_e32 v79, 0x10001, v79
	v_pk_fma_f16 v76, v33, v28, v76
	v_pk_fma_f16 v35, v33, v75, v35
	v_pk_fma_f16 v71, v33, v29, v71
	v_pk_fma_f16 v72, v33, v77, v72
	v_pk_fma_f16 v73, v33, v30, v73
	v_pk_fma_f16 v34, v33, v78, v34
	v_pk_fma_f16 v74, v33, v31, v74
	v_pk_fma_f16 v75, v33, v79, v32
	ds_load_2addr_b32 v[32:33], v61 offset0:64 offset1:96
	ds_load_b128 v[28:31], v51 offset:672
	s_wait_dscnt 0x0
	v_lshrrev_b32_e32 v77, 16, v28
	v_lshrrev_b32_e32 v78, 16, v29
	v_lshrrev_b32_e32 v79, 16, v30
	v_lshrrev_b32_e32 v80, 16, v31
	v_and_b32_e32 v28, 0xffff, v28
	v_and_b32_e32 v29, 0xffff, v29
	v_and_b32_e32 v30, 0xffff, v30
	v_and_b32_e32 v31, 0xffff, v31
	v_mul_u32_u24_e32 v77, 0x10001, v77
	v_mul_u32_u24_e32 v28, 0x10001, v28
	v_mul_u32_u24_e32 v29, 0x10001, v29
	v_mul_u32_u24_e32 v30, 0x10001, v30
	v_mul_u32_u24_e32 v31, 0x10001, v31
	v_mul_u32_u24_e32 v78, 0x10001, v78
	v_pk_fma_f16 v76, v32, v28, v76
	v_pk_fma_f16 v71, v32, v29, v71
	v_pk_fma_f16 v73, v32, v30, v73
	v_pk_fma_f16 v74, v32, v31, v74
	ds_load_b128 v[28:31], v51 offset:688
	v_mul_u32_u24_e32 v79, 0x10001, v79
	v_mul_u32_u24_e32 v80, 0x10001, v80
	v_pk_fma_f16 v35, v32, v77, v35
	v_pk_fma_f16 v72, v32, v78, v72
	s_delay_alu instid0(VALU_DEP_4) | instskip(NEXT) | instid1(VALU_DEP_4)
	v_pk_fma_f16 v34, v32, v79, v34
	v_pk_fma_f16 v32, v32, v80, v75
	s_wait_dscnt 0x0
	v_lshrrev_b32_e32 v75, 16, v28
	v_lshrrev_b32_e32 v77, 16, v29
	v_lshrrev_b32_e32 v78, 16, v30
	v_lshrrev_b32_e32 v79, 16, v31
	v_and_b32_e32 v28, 0xffff, v28
	v_and_b32_e32 v29, 0xffff, v29
	v_and_b32_e32 v30, 0xffff, v30
	v_and_b32_e32 v31, 0xffff, v31
	v_mul_u32_u24_e32 v75, 0x10001, v75
	v_mul_u32_u24_e32 v28, 0x10001, v28
	v_mul_u32_u24_e32 v29, 0x10001, v29
	v_mul_u32_u24_e32 v77, 0x10001, v77
	v_mul_u32_u24_e32 v30, 0x10001, v30
	v_mul_u32_u24_e32 v78, 0x10001, v78
	v_mul_u32_u24_e32 v31, 0x10001, v31
	v_mul_u32_u24_e32 v79, 0x10001, v79
	v_pk_fma_f16 v76, v33, v28, v76
	v_pk_fma_f16 v35, v33, v75, v35
	v_pk_fma_f16 v71, v33, v29, v71
	v_pk_fma_f16 v72, v33, v77, v72
	v_pk_fma_f16 v73, v33, v30, v73
	v_pk_fma_f16 v34, v33, v78, v34
	v_pk_fma_f16 v74, v33, v31, v74
	v_pk_fma_f16 v75, v33, v79, v32
	ds_load_2addr_b32 v[32:33], v61 offset0:128 offset1:160
	;; [unrolled: 54-line block ×3, first 2 shown]
	ds_load_b128 v[28:31], v51 offset:736
	s_wait_dscnt 0x0
	v_lshrrev_b32_e32 v77, 16, v28
	v_lshrrev_b32_e32 v78, 16, v29
	;; [unrolled: 1-line block ×4, first 2 shown]
	v_and_b32_e32 v28, 0xffff, v28
	v_and_b32_e32 v29, 0xffff, v29
	;; [unrolled: 1-line block ×4, first 2 shown]
	v_mul_u32_u24_e32 v77, 0x10001, v77
	v_mul_u32_u24_e32 v28, 0x10001, v28
	;; [unrolled: 1-line block ×6, first 2 shown]
	v_pk_fma_f16 v76, v32, v28, v76
	v_pk_fma_f16 v71, v32, v29, v71
	;; [unrolled: 1-line block ×4, first 2 shown]
	ds_load_b128 v[28:31], v51 offset:752
	v_mul_u32_u24_e32 v79, 0x10001, v79
	v_mul_u32_u24_e32 v80, 0x10001, v80
	v_pk_fma_f16 v35, v32, v77, v35
	v_pk_fma_f16 v72, v32, v78, v72
	s_delay_alu instid0(VALU_DEP_4) | instskip(NEXT) | instid1(VALU_DEP_4)
	v_pk_fma_f16 v34, v32, v79, v34
	v_pk_fma_f16 v32, v32, v80, v75
	s_wait_dscnt 0x0
	v_lshrrev_b32_e32 v75, 16, v28
	v_lshrrev_b32_e32 v77, 16, v29
	v_lshrrev_b32_e32 v78, 16, v30
	v_lshrrev_b32_e32 v79, 16, v31
	v_and_b32_e32 v28, 0xffff, v28
	v_and_b32_e32 v29, 0xffff, v29
	v_and_b32_e32 v30, 0xffff, v30
	v_and_b32_e32 v31, 0xffff, v31
	v_mul_u32_u24_e32 v75, 0x10001, v75
	v_mul_u32_u24_e32 v28, 0x10001, v28
	;; [unrolled: 1-line block ×8, first 2 shown]
	v_pk_fma_f16 v76, v33, v28, v76
	v_pk_fma_f16 v35, v33, v75, v35
	;; [unrolled: 1-line block ×8, first 2 shown]
	ds_load_2addr_b32 v[32:33], v62 offset1:32
	ds_load_b128 v[28:31], v51 offset:768
	s_wait_dscnt 0x0
	v_lshrrev_b32_e32 v77, 16, v28
	v_lshrrev_b32_e32 v78, 16, v29
	v_lshrrev_b32_e32 v79, 16, v30
	v_lshrrev_b32_e32 v80, 16, v31
	v_and_b32_e32 v28, 0xffff, v28
	v_and_b32_e32 v29, 0xffff, v29
	v_and_b32_e32 v30, 0xffff, v30
	v_and_b32_e32 v31, 0xffff, v31
	v_mul_u32_u24_e32 v77, 0x10001, v77
	v_mul_u32_u24_e32 v28, 0x10001, v28
	v_mul_u32_u24_e32 v29, 0x10001, v29
	v_mul_u32_u24_e32 v30, 0x10001, v30
	v_mul_u32_u24_e32 v31, 0x10001, v31
	v_mul_u32_u24_e32 v78, 0x10001, v78
	v_pk_fma_f16 v76, v32, v28, v76
	v_pk_fma_f16 v71, v32, v29, v71
	v_pk_fma_f16 v73, v32, v30, v73
	v_pk_fma_f16 v74, v32, v31, v74
	ds_load_b128 v[28:31], v51 offset:784
	v_mul_u32_u24_e32 v79, 0x10001, v79
	v_mul_u32_u24_e32 v80, 0x10001, v80
	v_pk_fma_f16 v35, v32, v77, v35
	v_pk_fma_f16 v72, v32, v78, v72
	s_delay_alu instid0(VALU_DEP_4) | instskip(NEXT) | instid1(VALU_DEP_4)
	v_pk_fma_f16 v34, v32, v79, v34
	v_pk_fma_f16 v32, v32, v80, v75
	s_wait_dscnt 0x0
	v_lshrrev_b32_e32 v75, 16, v28
	v_lshrrev_b32_e32 v77, 16, v29
	v_lshrrev_b32_e32 v78, 16, v30
	v_lshrrev_b32_e32 v79, 16, v31
	v_and_b32_e32 v28, 0xffff, v28
	v_and_b32_e32 v29, 0xffff, v29
	v_and_b32_e32 v30, 0xffff, v30
	v_and_b32_e32 v31, 0xffff, v31
	v_mul_u32_u24_e32 v75, 0x10001, v75
	v_mul_u32_u24_e32 v28, 0x10001, v28
	v_mul_u32_u24_e32 v29, 0x10001, v29
	v_mul_u32_u24_e32 v77, 0x10001, v77
	v_mul_u32_u24_e32 v30, 0x10001, v30
	v_mul_u32_u24_e32 v78, 0x10001, v78
	v_mul_u32_u24_e32 v31, 0x10001, v31
	v_mul_u32_u24_e32 v79, 0x10001, v79
	v_pk_fma_f16 v76, v33, v28, v76
	v_pk_fma_f16 v35, v33, v75, v35
	v_pk_fma_f16 v71, v33, v29, v71
	v_pk_fma_f16 v72, v33, v77, v72
	v_pk_fma_f16 v73, v33, v30, v73
	v_pk_fma_f16 v34, v33, v78, v34
	v_pk_fma_f16 v74, v33, v31, v74
	v_pk_fma_f16 v75, v33, v79, v32
	ds_load_2addr_b32 v[32:33], v62 offset0:64 offset1:96
	ds_load_b128 v[28:31], v51 offset:800
	s_wait_dscnt 0x0
	v_lshrrev_b32_e32 v77, 16, v28
	v_lshrrev_b32_e32 v78, 16, v29
	v_lshrrev_b32_e32 v79, 16, v30
	v_lshrrev_b32_e32 v80, 16, v31
	v_and_b32_e32 v28, 0xffff, v28
	v_and_b32_e32 v29, 0xffff, v29
	v_and_b32_e32 v30, 0xffff, v30
	v_and_b32_e32 v31, 0xffff, v31
	v_mul_u32_u24_e32 v77, 0x10001, v77
	v_mul_u32_u24_e32 v28, 0x10001, v28
	v_mul_u32_u24_e32 v29, 0x10001, v29
	v_mul_u32_u24_e32 v30, 0x10001, v30
	v_mul_u32_u24_e32 v31, 0x10001, v31
	v_mul_u32_u24_e32 v78, 0x10001, v78
	v_pk_fma_f16 v76, v32, v28, v76
	v_pk_fma_f16 v71, v32, v29, v71
	v_pk_fma_f16 v73, v32, v30, v73
	v_pk_fma_f16 v74, v32, v31, v74
	ds_load_b128 v[28:31], v51 offset:816
	v_mul_u32_u24_e32 v79, 0x10001, v79
	v_mul_u32_u24_e32 v80, 0x10001, v80
	v_pk_fma_f16 v35, v32, v77, v35
	v_pk_fma_f16 v72, v32, v78, v72
	s_delay_alu instid0(VALU_DEP_4) | instskip(NEXT) | instid1(VALU_DEP_4)
	v_pk_fma_f16 v34, v32, v79, v34
	v_pk_fma_f16 v32, v32, v80, v75
	s_wait_dscnt 0x0
	v_lshrrev_b32_e32 v75, 16, v28
	v_lshrrev_b32_e32 v77, 16, v29
	v_lshrrev_b32_e32 v78, 16, v30
	v_lshrrev_b32_e32 v79, 16, v31
	v_and_b32_e32 v28, 0xffff, v28
	v_and_b32_e32 v29, 0xffff, v29
	v_and_b32_e32 v30, 0xffff, v30
	v_and_b32_e32 v31, 0xffff, v31
	v_mul_u32_u24_e32 v75, 0x10001, v75
	v_mul_u32_u24_e32 v28, 0x10001, v28
	v_mul_u32_u24_e32 v29, 0x10001, v29
	v_mul_u32_u24_e32 v77, 0x10001, v77
	v_mul_u32_u24_e32 v30, 0x10001, v30
	v_mul_u32_u24_e32 v78, 0x10001, v78
	v_mul_u32_u24_e32 v31, 0x10001, v31
	v_mul_u32_u24_e32 v79, 0x10001, v79
	v_pk_fma_f16 v76, v33, v28, v76
	v_pk_fma_f16 v35, v33, v75, v35
	v_pk_fma_f16 v71, v33, v29, v71
	v_pk_fma_f16 v72, v33, v77, v72
	v_pk_fma_f16 v73, v33, v30, v73
	v_pk_fma_f16 v34, v33, v78, v34
	v_pk_fma_f16 v74, v33, v31, v74
	v_pk_fma_f16 v75, v33, v79, v32
	ds_load_2addr_b32 v[32:33], v62 offset0:128 offset1:160
	;; [unrolled: 54-line block ×3, first 2 shown]
	ds_load_b128 v[28:31], v51 offset:864
	s_wait_dscnt 0x0
	v_lshrrev_b32_e32 v77, 16, v28
	v_lshrrev_b32_e32 v78, 16, v29
	;; [unrolled: 1-line block ×4, first 2 shown]
	v_and_b32_e32 v28, 0xffff, v28
	v_and_b32_e32 v29, 0xffff, v29
	;; [unrolled: 1-line block ×4, first 2 shown]
	v_mul_u32_u24_e32 v77, 0x10001, v77
	v_mul_u32_u24_e32 v28, 0x10001, v28
	v_mul_u32_u24_e32 v29, 0x10001, v29
	v_mul_u32_u24_e32 v30, 0x10001, v30
	v_mul_u32_u24_e32 v31, 0x10001, v31
	v_mul_u32_u24_e32 v78, 0x10001, v78
	v_pk_fma_f16 v76, v32, v28, v76
	v_pk_fma_f16 v71, v32, v29, v71
	;; [unrolled: 1-line block ×4, first 2 shown]
	ds_load_b128 v[28:31], v51 offset:880
	v_mul_u32_u24_e32 v79, 0x10001, v79
	v_mul_u32_u24_e32 v80, 0x10001, v80
	v_pk_fma_f16 v35, v32, v77, v35
	v_pk_fma_f16 v72, v32, v78, v72
	s_delay_alu instid0(VALU_DEP_4) | instskip(NEXT) | instid1(VALU_DEP_4)
	v_pk_fma_f16 v34, v32, v79, v34
	v_pk_fma_f16 v32, v32, v80, v75
	s_wait_dscnt 0x0
	v_lshrrev_b32_e32 v75, 16, v28
	v_lshrrev_b32_e32 v77, 16, v29
	;; [unrolled: 1-line block ×4, first 2 shown]
	v_and_b32_e32 v28, 0xffff, v28
	v_and_b32_e32 v29, 0xffff, v29
	;; [unrolled: 1-line block ×4, first 2 shown]
	v_mul_u32_u24_e32 v75, 0x10001, v75
	v_mul_u32_u24_e32 v28, 0x10001, v28
	;; [unrolled: 1-line block ×8, first 2 shown]
	v_pk_fma_f16 v76, v33, v28, v76
	v_pk_fma_f16 v35, v33, v75, v35
	;; [unrolled: 1-line block ×8, first 2 shown]
	ds_load_2addr_b32 v[32:33], v63 offset1:32
	ds_load_b128 v[28:31], v51 offset:896
	s_wait_dscnt 0x0
	v_lshrrev_b32_e32 v77, 16, v28
	v_lshrrev_b32_e32 v78, 16, v29
	v_lshrrev_b32_e32 v79, 16, v30
	v_lshrrev_b32_e32 v80, 16, v31
	v_and_b32_e32 v28, 0xffff, v28
	v_and_b32_e32 v29, 0xffff, v29
	v_and_b32_e32 v30, 0xffff, v30
	v_and_b32_e32 v31, 0xffff, v31
	v_mul_u32_u24_e32 v77, 0x10001, v77
	v_mul_u32_u24_e32 v28, 0x10001, v28
	v_mul_u32_u24_e32 v29, 0x10001, v29
	v_mul_u32_u24_e32 v30, 0x10001, v30
	v_mul_u32_u24_e32 v31, 0x10001, v31
	v_mul_u32_u24_e32 v78, 0x10001, v78
	v_pk_fma_f16 v76, v32, v28, v76
	v_pk_fma_f16 v71, v32, v29, v71
	v_pk_fma_f16 v73, v32, v30, v73
	v_pk_fma_f16 v74, v32, v31, v74
	ds_load_b128 v[28:31], v51 offset:912
	v_mul_u32_u24_e32 v79, 0x10001, v79
	v_mul_u32_u24_e32 v80, 0x10001, v80
	v_pk_fma_f16 v35, v32, v77, v35
	v_pk_fma_f16 v72, v32, v78, v72
	s_delay_alu instid0(VALU_DEP_4) | instskip(NEXT) | instid1(VALU_DEP_4)
	v_pk_fma_f16 v34, v32, v79, v34
	v_pk_fma_f16 v32, v32, v80, v75
	s_wait_dscnt 0x0
	v_lshrrev_b32_e32 v75, 16, v28
	v_lshrrev_b32_e32 v77, 16, v29
	v_lshrrev_b32_e32 v78, 16, v30
	v_lshrrev_b32_e32 v79, 16, v31
	v_and_b32_e32 v28, 0xffff, v28
	v_and_b32_e32 v29, 0xffff, v29
	v_and_b32_e32 v30, 0xffff, v30
	v_and_b32_e32 v31, 0xffff, v31
	v_mul_u32_u24_e32 v75, 0x10001, v75
	v_mul_u32_u24_e32 v28, 0x10001, v28
	v_mul_u32_u24_e32 v29, 0x10001, v29
	v_mul_u32_u24_e32 v77, 0x10001, v77
	v_mul_u32_u24_e32 v30, 0x10001, v30
	v_mul_u32_u24_e32 v78, 0x10001, v78
	v_mul_u32_u24_e32 v31, 0x10001, v31
	v_mul_u32_u24_e32 v79, 0x10001, v79
	v_pk_fma_f16 v76, v33, v28, v76
	v_pk_fma_f16 v35, v33, v75, v35
	v_pk_fma_f16 v71, v33, v29, v71
	v_pk_fma_f16 v72, v33, v77, v72
	v_pk_fma_f16 v73, v33, v30, v73
	v_pk_fma_f16 v34, v33, v78, v34
	v_pk_fma_f16 v74, v33, v31, v74
	v_pk_fma_f16 v75, v33, v79, v32
	ds_load_2addr_b32 v[32:33], v63 offset0:64 offset1:96
	ds_load_b128 v[28:31], v51 offset:928
	s_wait_dscnt 0x0
	v_lshrrev_b32_e32 v77, 16, v28
	v_lshrrev_b32_e32 v78, 16, v29
	v_lshrrev_b32_e32 v79, 16, v30
	v_lshrrev_b32_e32 v80, 16, v31
	v_and_b32_e32 v28, 0xffff, v28
	v_and_b32_e32 v29, 0xffff, v29
	v_and_b32_e32 v30, 0xffff, v30
	v_and_b32_e32 v31, 0xffff, v31
	v_mul_u32_u24_e32 v77, 0x10001, v77
	v_mul_u32_u24_e32 v28, 0x10001, v28
	v_mul_u32_u24_e32 v29, 0x10001, v29
	v_mul_u32_u24_e32 v30, 0x10001, v30
	v_mul_u32_u24_e32 v31, 0x10001, v31
	v_mul_u32_u24_e32 v78, 0x10001, v78
	v_pk_fma_f16 v76, v32, v28, v76
	v_pk_fma_f16 v71, v32, v29, v71
	v_pk_fma_f16 v73, v32, v30, v73
	v_pk_fma_f16 v74, v32, v31, v74
	ds_load_b128 v[28:31], v51 offset:944
	v_mul_u32_u24_e32 v79, 0x10001, v79
	v_mul_u32_u24_e32 v80, 0x10001, v80
	v_pk_fma_f16 v35, v32, v77, v35
	v_pk_fma_f16 v72, v32, v78, v72
	s_delay_alu instid0(VALU_DEP_4) | instskip(NEXT) | instid1(VALU_DEP_4)
	v_pk_fma_f16 v34, v32, v79, v34
	v_pk_fma_f16 v32, v32, v80, v75
	s_wait_dscnt 0x0
	v_lshrrev_b32_e32 v75, 16, v28
	v_lshrrev_b32_e32 v77, 16, v29
	v_lshrrev_b32_e32 v78, 16, v30
	v_lshrrev_b32_e32 v79, 16, v31
	v_and_b32_e32 v28, 0xffff, v28
	v_and_b32_e32 v29, 0xffff, v29
	v_and_b32_e32 v30, 0xffff, v30
	v_and_b32_e32 v31, 0xffff, v31
	v_mul_u32_u24_e32 v75, 0x10001, v75
	v_mul_u32_u24_e32 v28, 0x10001, v28
	v_mul_u32_u24_e32 v29, 0x10001, v29
	v_mul_u32_u24_e32 v77, 0x10001, v77
	v_mul_u32_u24_e32 v30, 0x10001, v30
	v_mul_u32_u24_e32 v78, 0x10001, v78
	v_mul_u32_u24_e32 v31, 0x10001, v31
	v_mul_u32_u24_e32 v79, 0x10001, v79
	v_pk_fma_f16 v76, v33, v28, v76
	v_pk_fma_f16 v35, v33, v75, v35
	v_pk_fma_f16 v71, v33, v29, v71
	v_pk_fma_f16 v72, v33, v77, v72
	v_pk_fma_f16 v73, v33, v30, v73
	v_pk_fma_f16 v34, v33, v78, v34
	v_pk_fma_f16 v74, v33, v31, v74
	v_pk_fma_f16 v75, v33, v79, v32
	ds_load_2addr_b32 v[32:33], v63 offset0:128 offset1:160
	;; [unrolled: 54-line block ×3, first 2 shown]
	ds_load_b128 v[30:33], v51 offset:992
	s_wait_dscnt 0x0
	v_lshrrev_b32_e32 v34, 16, v30
	v_lshrrev_b32_e32 v71, 16, v31
	;; [unrolled: 1-line block ×4, first 2 shown]
	v_and_b32_e32 v30, 0xffff, v30
	v_and_b32_e32 v31, 0xffff, v31
	;; [unrolled: 1-line block ×4, first 2 shown]
	v_mul_u32_u24_e32 v34, 0x10001, v34
	v_mul_u32_u24_e32 v30, 0x10001, v30
	;; [unrolled: 1-line block ×8, first 2 shown]
	v_pk_fma_f16 v71, v28, v30, v76
	v_pk_fma_f16 v35, v28, v34, v35
	;; [unrolled: 1-line block ×8, first 2 shown]
	ds_load_b128 v[75:78], v51 offset:1008
	s_wait_loadcnt_dscnt 0x0
	s_barrier_signal -1
	s_barrier_wait -1
	global_inv scope:SCOPE_SE
	s_load_b32 s3, s[24:25], 0x4
	v_lshrrev_b32_e32 v72, 16, v75
	v_lshrrev_b32_e32 v74, 16, v76
	;; [unrolled: 1-line block ×4, first 2 shown]
	v_and_b32_e32 v73, 0xffff, v75
	v_and_b32_e32 v75, 0xffff, v76
	;; [unrolled: 1-line block ×4, first 2 shown]
	v_mul_u32_u24_e32 v72, 0x10001, v72
	v_mul_u32_u24_e32 v73, 0x10001, v73
	;; [unrolled: 1-line block ×8, first 2 shown]
	s_wait_kmcnt 0x0
	s_lshl_b32 s3, s3, 6
	v_pk_fma_f16 v71, v29, v73, v71
	v_pk_fma_f16 v35, v29, v72, v35
	;; [unrolled: 1-line block ×8, first 2 shown]
	s_wait_alu 0xfffe
	s_add_co_i32 s10, s3, s10
	s_wait_alu 0xfffe
	s_cmp_ge_i32 s10, s30
	s_cbranch_scc0 .LBB5_9
; %bb.10:
	v_dual_mov_b32 v8, v39 :: v_dual_lshlrev_b32 v27, 1, v24
.LBB5_11:
	v_cmp_lt_i32_e32 vcc_lo, v43, v36
	s_cmp_lg_u64 s[12:13], 0
	s_cselect_b32 s3, -1, 0
	s_cmp_eq_u32 s4, 0
	s_wait_alu 0xfffd
	v_cndmask_b32_e32 v9, v8, v43, vcc_lo
	v_cmp_lt_i32_e32 vcc_lo, v41, v36
	s_cselect_b32 s5, -1, 0
	s_wait_alu 0xfffe
	s_and_b32 s3, s5, s3
	v_lshlrev_b32_e32 v9, 2, v9
	ds_bpermute_b32 v10, v9, v64
	s_wait_dscnt 0x0
	v_add_f32_e32 v10, v64, v10
	ds_bpermute_b32 v16, v9, v70
	ds_bpermute_b32 v14, v9, v68
	;; [unrolled: 1-line block ×3, first 2 shown]
	s_wait_alu 0xfffd
	v_cndmask_b32_e32 v17, v8, v41, vcc_lo
	ds_bpermute_b32 v11, v9, v65
	ds_bpermute_b32 v13, v9, v67
	;; [unrolled: 1-line block ×4, first 2 shown]
	v_cmp_lt_i32_e32 vcc_lo, v40, v36
	s_wait_dscnt 0x6
	v_dual_add_f32 v16, v70, v16 :: v_dual_lshlrev_b32 v17, 2, v17
	s_wait_dscnt 0x5
	v_add_f32_e32 v14, v68, v14
	s_wait_dscnt 0x4
	v_add_f32_e32 v12, v66, v12
	ds_bpermute_b32 v18, v17, v10
	s_wait_dscnt 0x4
	v_add_f32_e32 v11, v65, v11
	ds_bpermute_b32 v20, v17, v12
	ds_bpermute_b32 v22, v17, v14
	;; [unrolled: 1-line block ×3, first 2 shown]
	s_wait_dscnt 0x6
	v_add_f32_e32 v13, v67, v13
	s_wait_dscnt 0x5
	v_add_f32_e32 v15, v69, v15
	;; [unrolled: 2-line block ×4, first 2 shown]
	ds_bpermute_b32 v19, v17, v11
	s_wait_alu 0xfffd
	v_cndmask_b32_e32 v29, v8, v40, vcc_lo
	s_wait_dscnt 0x3
	v_add_f32_e32 v12, v12, v20
	ds_bpermute_b32 v21, v17, v13
	s_wait_dscnt 0x3
	v_add_f32_e32 v14, v14, v22
	ds_bpermute_b32 v23, v17, v15
	s_wait_dscnt 0x3
	v_dual_add_f32 v16, v16, v26 :: v_dual_lshlrev_b32 v29, 2, v29
	ds_bpermute_b32 v17, v17, v9
	v_cmp_lt_i32_e32 vcc_lo, v38, v36
	s_wait_dscnt 0x3
	v_add_f32_e32 v11, v11, v19
	ds_bpermute_b32 v19, v29, v12
	s_wait_dscnt 0x2
	v_add_f32_e32 v15, v15, v23
	s_wait_dscnt 0x0
	v_dual_add_f32 v9, v9, v17 :: v_dual_add_f32 v12, v12, v19
	ds_bpermute_b32 v17, v29, v10
	ds_bpermute_b32 v23, v29, v16
	v_add_f32_e32 v13, v13, v21
	ds_bpermute_b32 v21, v29, v14
	ds_bpermute_b32 v22, v29, v15
	;; [unrolled: 1-line block ×3, first 2 shown]
	s_wait_dscnt 0x4
	v_add_f32_e32 v10, v10, v17
	s_wait_dscnt 0x3
	v_add_f32_e32 v16, v16, v23
	ds_bpermute_b32 v20, v29, v13
	s_wait_dscnt 0x3
	v_add_f32_e32 v14, v14, v21
	ds_bpermute_b32 v18, v29, v11
	s_wait_alu 0xfffd
	v_cndmask_b32_e32 v29, v8, v38, vcc_lo
	v_cmp_lt_i32_e32 vcc_lo, v37, v36
	s_delay_alu instid0(VALU_DEP_2)
	v_lshlrev_b32_e32 v29, 2, v29
	s_wait_alu 0xfffd
	v_cndmask_b32_e32 v8, v8, v37, vcc_lo
	s_wait_alu 0xfffe
	s_and_b32 vcc_lo, exec_lo, s3
	ds_bpermute_b32 v19, v29, v12
	v_lshlrev_b32_e32 v8, 2, v8
	s_wait_dscnt 0x0
	v_add_f32_e32 v12, v12, v19
	ds_bpermute_b32 v17, v29, v10
	ds_bpermute_b32 v21, v29, v14
	;; [unrolled: 1-line block ×3, first 2 shown]
	v_add_f32_e32 v11, v11, v18
	ds_bpermute_b32 v19, v8, v12
	v_add_f32_e32 v9, v9, v26
	v_add_f32_e32 v13, v13, v20
	ds_bpermute_b32 v26, v29, v9
	s_wait_dscnt 0x4
	v_add_f32_e32 v10, v10, v17
	s_wait_dscnt 0x3
	v_add_f32_e32 v14, v14, v21
	ds_bpermute_b32 v18, v29, v11
	s_wait_dscnt 0x3
	v_add_f32_e32 v16, v16, v23
	ds_bpermute_b32 v20, v29, v13
	ds_bpermute_b32 v21, v8, v14
	ds_bpermute_b32 v23, v8, v16
	s_wait_dscnt 0x4
	v_add_f32_e32 v17, v9, v26
	ds_bpermute_b32 v9, v8, v10
	v_add_f32_e32 v15, v15, v22
	ds_bpermute_b32 v26, v8, v17
	ds_bpermute_b32 v22, v29, v15
	s_wait_dscnt 0x6
	v_add_f32_e32 v11, v11, v18
	s_wait_dscnt 0x5
	v_add_f32_e32 v13, v13, v20
	ds_bpermute_b32 v18, v8, v11
	ds_bpermute_b32 v20, v8, v13
	s_wait_dscnt 0x2
	v_add_f32_e32 v15, v15, v22
	ds_bpermute_b32 v22, v8, v15
	v_add_f32_e32 v8, v10, v9
	v_add_f32_e32 v10, v12, v19
	;; [unrolled: 1-line block ×3, first 2 shown]
	s_wait_dscnt 0x2
	v_dual_add_f32 v14, v16, v23 :: v_dual_add_f32 v9, v11, v18
	s_wait_dscnt 0x1
	v_add_f32_e32 v11, v13, v20
	s_wait_dscnt 0x0
	v_add_f32_e32 v13, v15, v22
	v_add_f32_e32 v15, v17, v26
	s_wait_alu 0xfffe
	s_cbranch_vccz .LBB5_14
; %bb.12:
	s_ashr_i32 s29, s28, 31
	v_dual_mov_b32 v16, 0 :: v_dual_max_num_f32 v17, v1, v1
	s_lshl_b64 s[6:7], s[28:29], 2
	v_dual_max_num_f32 v18, v2, v2 :: v_dual_max_num_f32 v21, v5, v5
	s_add_nc_u64 s[6:7], s[12:13], s[6:7]
	s_clause 0x1
	global_load_b128 v[36:39], v16, s[6:7]
	global_load_b128 v[40:43], v16, s[6:7] offset:16
	v_dual_max_num_f32 v16, v0, v0 :: v_dual_max_num_f32 v19, v3, v3
	v_dual_max_num_f32 v20, v4, v4 :: v_dual_max_num_f32 v23, v7, v7
	s_wait_loadcnt 0x1
	v_dual_max_num_f32 v22, v6, v6 :: v_dual_max_num_f32 v29, v37, v37
	v_dual_max_num_f32 v26, v36, v36 :: v_dual_max_num_f32 v45, v39, v39
	s_wait_loadcnt 0x0
	v_dual_max_num_f32 v44, v38, v38 :: v_dual_max_num_f32 v47, v41, v41
	v_dual_max_num_f32 v46, v40, v40 :: v_dual_max_num_f32 v49, v43, v43
	;; [unrolled: 1-line block ×4, first 2 shown]
	s_delay_alu instid0(VALU_DEP_4) | instskip(NEXT) | instid1(VALU_DEP_4)
	v_dual_max_num_f32 v18, v18, v44 :: v_dual_max_num_f32 v21, v21, v47
	v_dual_max_num_f32 v20, v20, v46 :: v_dual_max_num_f32 v23, v23, v49
	s_delay_alu instid0(VALU_DEP_4) | instskip(NEXT) | instid1(VALU_DEP_4)
	v_dual_max_num_f32 v22, v22, v48 :: v_dual_sub_f32 v37, v37, v17
	v_dual_sub_f32 v26, v0, v16 :: v_dual_sub_f32 v45, v3, v19
	v_dual_sub_f32 v29, v36, v16 :: v_dual_sub_f32 v36, v1, v17
	;; [unrolled: 1-line block ×7, first 2 shown]
	v_dual_mov_b32 v0, v16 :: v_dual_mov_b32 v3, v19
	v_dual_sub_f32 v42, v42, v22 :: v_dual_mov_b32 v1, v17
	v_dual_mov_b32 v2, v18 :: v_dual_mov_b32 v5, v21
	v_dual_mov_b32 v4, v20 :: v_dual_mov_b32 v7, v23
	v_dual_mov_b32 v6, v22 :: v_dual_mul_f32 v17, 0x3fb8aa3b, v29
	v_dual_mul_f32 v16, 0x3fb8aa3b, v26 :: v_dual_mul_f32 v19, 0x3fb8aa3b, v37
	v_dual_mul_f32 v54, 0x3fb8aa3b, v48 :: v_dual_mul_f32 v57, 0x3fb8aa3b, v43
	;; [unrolled: 1-line block ×3, first 2 shown]
	s_delay_alu instid0(VALU_DEP_3)
	v_fma_f32 v58, 0x3fb8aa3b, v26, -v16
	v_rndne_f32_e32 v59, v16
	v_dual_mul_f32 v20, 0x3fb8aa3b, v44 :: v_dual_mul_f32 v23, 0x3fb8aa3b, v39
	v_dual_mul_f32 v50, 0x3fb8aa3b, v46 :: v_dual_mul_f32 v53, 0x3fb8aa3b, v41
	v_fma_f32 v60, 0x3fb8aa3b, v29, -v17
	v_rndne_f32_e32 v61, v17
	v_rndne_f32_e32 v65, v19
	v_fma_f32 v83, 0x3fb8aa3b, v48, -v54
	v_fmac_f32_e32 v58, 0x32a5705f, v26
	v_sub_f32_e32 v16, v16, v59
	v_fma_f32 v62, 0x3fb8aa3b, v36, -v18
	v_rndne_f32_e32 v63, v18
	v_fma_f32 v64, 0x3fb8aa3b, v37, -v19
	v_rndne_f32_e32 v69, v21
	v_fma_f32 v73, 0x3fb8aa3b, v39, -v23
	v_fma_f32 v75, 0x3fb8aa3b, v46, -v50
	v_fmac_f32_e32 v60, 0x32a5705f, v29
	v_sub_f32_e32 v17, v17, v61
	v_sub_f32_e32 v19, v19, v65
	v_dual_fmac_f32 v83, 0x32a5705f, v48 :: v_dual_add_f32 v16, v16, v58
	v_dual_mul_f32 v22, 0x3fb8aa3b, v45 :: v_dual_mul_f32 v51, 0x3fb8aa3b, v40
	v_fma_f32 v68, 0x3fb8aa3b, v38, -v21
	v_rndne_f32_e32 v74, v23
	v_mul_f32_e32 v56, 0x3fb8aa3b, v49
	v_dual_fmac_f32 v62, 0x32a5705f, v36 :: v_dual_sub_f32 v21, v21, v69
	v_dual_sub_f32 v18, v18, v63 :: v_dual_fmac_f32 v75, 0x32a5705f, v46
	v_fmac_f32_e32 v73, 0x32a5705f, v39
	v_add_f32_e32 v17, v17, v60
	v_exp_f32_e32 v16, v16
	v_fma_f32 v66, 0x3fb8aa3b, v44, -v20
	v_rndne_f32_e32 v67, v20
	v_fma_f32 v77, 0x3fb8aa3b, v40, -v51
	v_rndne_f32_e32 v78, v51
	;; [unrolled: 2-line block ×4, first 2 shown]
	v_cvt_i32_f32_e32 v59, v59
	v_dual_fmac_f32 v64, 0x32a5705f, v37 :: v_dual_fmac_f32 v77, 0x32a5705f, v40
	v_sub_f32_e32 v23, v23, v74
	v_rndne_f32_e32 v88, v56
	v_add_f32_e32 v18, v18, v62
	v_exp_f32_e32 v17, v17
	v_dual_mul_f32 v52, 0x3fb8aa3b, v47 :: v_dual_mul_f32 v55, 0x3fb8aa3b, v42
	v_fma_f32 v87, 0x3fb8aa3b, v49, -v56
	v_cvt_i32_f32_e32 v61, v61
	v_dual_fmac_f32 v66, 0x32a5705f, v44 :: v_dual_sub_f32 v51, v51, v78
	v_dual_sub_f32 v20, v20, v67 :: v_dual_fmac_f32 v81, 0x32a5705f, v41
	v_dual_sub_f32 v54, v54, v84 :: v_dual_fmac_f32 v89, 0x32a5705f, v43
	v_dual_sub_f32 v56, v56, v88 :: v_dual_sub_f32 v57, v57, v90
	s_delay_alu instid0(VALU_DEP_3)
	v_dual_add_f32 v19, v19, v64 :: v_dual_add_f32 v20, v20, v66
	v_exp_f32_e32 v18, v18
	v_ldexp_f32 v16, v16, v59
	v_cmp_ngt_f32_e32 vcc_lo, 0xc2ce8ed0, v26
	v_fma_f32 v70, 0x3fb8aa3b, v45, -v22
	v_rndne_f32_e32 v72, v22
	v_fma_f32 v79, 0x3fb8aa3b, v47, -v52
	v_rndne_f32_e32 v82, v53
	v_fma_f32 v85, 0x3fb8aa3b, v42, -v55
	v_cvt_i32_f32_e32 v63, v63
	s_delay_alu instid0(VALU_DEP_4)
	v_dual_fmac_f32 v68, 0x32a5705f, v38 :: v_dual_fmac_f32 v79, 0x32a5705f, v47
	s_wait_alu 0xfffd
	v_dual_add_f32 v57, v57, v89 :: v_dual_cndmask_b32 v16, 0, v16
	v_exp_f32_e32 v19, v19
	v_ldexp_f32 v17, v17, v61
	v_cmp_ngt_f32_e32 vcc_lo, 0xc2ce8ed0, v29
	v_cvt_i32_f32_e32 v65, v65
	v_dual_fmac_f32 v70, 0x32a5705f, v45 :: v_dual_sub_f32 v53, v53, v82
	v_dual_sub_f32 v22, v22, v72 :: v_dual_fmac_f32 v85, 0x32a5705f, v42
	v_add_f32_e32 v21, v21, v68
	v_exp_f32_e32 v20, v20
	v_ldexp_f32 v18, v18, v63
	s_wait_alu 0xfffd
	v_cndmask_b32_e32 v17, 0, v17, vcc_lo
	v_cmp_ngt_f32_e32 vcc_lo, 0xc2ce8ed0, v36
	v_rndne_f32_e32 v76, v50
	v_rndne_f32_e32 v86, v55
	v_cvt_i32_f32_e32 v67, v67
	v_add_f32_e32 v22, v22, v70
	v_exp_f32_e32 v21, v21
	v_ldexp_f32 v19, v19, v65
	s_wait_alu 0xfffd
	v_cndmask_b32_e32 v18, 0, v18, vcc_lo
	v_cmp_ngt_f32_e32 vcc_lo, 0xc2ce8ed0, v37
	v_cvt_i32_f32_e32 v69, v69
	v_dual_sub_f32 v50, v50, v76 :: v_dual_sub_f32 v55, v55, v86
	v_add_f32_e32 v23, v23, v73
	v_exp_f32_e32 v22, v22
	v_ldexp_f32 v20, v20, v67
	s_wait_alu 0xfffd
	v_cndmask_b32_e32 v19, 0, v19, vcc_lo
	v_cmp_ngt_f32_e32 vcc_lo, 0xc2ce8ed0, v44
	v_rndne_f32_e32 v80, v52
	v_cvt_i32_f32_e32 v72, v72
	v_add_f32_e32 v50, v50, v75
	v_exp_f32_e32 v23, v23
	v_ldexp_f32 v21, v21, v69
	s_wait_alu 0xfffd
	v_cndmask_b32_e32 v20, 0, v20, vcc_lo
	v_cmp_ngt_f32_e32 vcc_lo, 0xc2ce8ed0, v38
	v_cvt_i32_f32_e32 v74, v74
	v_dual_sub_f32 v52, v52, v80 :: v_dual_fmac_f32 v87, 0x32a5705f, v49
	v_add_f32_e32 v51, v51, v77
	v_exp_f32_e32 v50, v50
	v_ldexp_f32 v22, v22, v72
	s_wait_alu 0xfffd
	v_cndmask_b32_e32 v21, 0, v21, vcc_lo
	v_cmp_ngt_f32_e32 vcc_lo, 0xc2ce8ed0, v45
	v_cvt_i32_f32_e32 v76, v76
	v_add_f32_e32 v52, v52, v79
	v_exp_f32_e32 v51, v51
	v_ldexp_f32 v23, v23, v74
	s_wait_alu 0xfffd
	v_cndmask_b32_e32 v22, 0, v22, vcc_lo
	v_cmp_ngt_f32_e32 vcc_lo, 0xc2ce8ed0, v39
	v_cvt_i32_f32_e32 v78, v78
	v_dual_add_f32 v53, v53, v81 :: v_dual_add_f32 v54, v54, v83
	v_exp_f32_e32 v52, v52
	v_ldexp_f32 v50, v50, v76
	s_wait_alu 0xfffd
	v_cndmask_b32_e32 v23, 0, v23, vcc_lo
	v_cmp_ngt_f32_e32 vcc_lo, 0xc2ce8ed0, v46
	v_cvt_i32_f32_e32 v80, v80
	v_exp_f32_e32 v53, v53
	v_ldexp_f32 v51, v51, v78
	v_cvt_i32_f32_e32 v82, v82
	s_wait_alu 0xfffd
	v_cndmask_b32_e32 v50, 0, v50, vcc_lo
	v_cmp_ngt_f32_e32 vcc_lo, 0xc2ce8ed0, v40
	v_dual_add_f32 v55, v55, v85 :: v_dual_add_f32 v56, v56, v87
	v_exp_f32_e32 v54, v54
	v_ldexp_f32 v52, v52, v80
	s_wait_alu 0xfffd
	v_cndmask_b32_e32 v51, 0, v51, vcc_lo
	v_cmp_ngt_f32_e32 vcc_lo, 0xc2ce8ed0, v47
	v_cvt_i32_f32_e32 v84, v84
	v_exp_f32_e32 v55, v55
	v_ldexp_f32 v53, v53, v82
	v_cvt_i32_f32_e32 v86, v86
	s_wait_alu 0xfffd
	v_cndmask_b32_e32 v52, 0, v52, vcc_lo
	v_cmp_ngt_f32_e32 vcc_lo, 0xc2ce8ed0, v41
	v_exp_f32_e32 v56, v56
	v_ldexp_f32 v54, v54, v84
	v_cvt_i32_f32_e32 v88, v88
	v_exp_f32_e32 v57, v57
	s_wait_alu 0xfffd
	v_cndmask_b32_e32 v53, 0, v53, vcc_lo
	v_cmp_ngt_f32_e32 vcc_lo, 0xc2ce8ed0, v48
	v_ldexp_f32 v55, v55, v86
	v_cvt_i32_f32_e32 v90, v90
	s_wait_alu 0xfffd
	v_cndmask_b32_e32 v54, 0, v54, vcc_lo
	v_cmp_ngt_f32_e32 vcc_lo, 0xc2ce8ed0, v42
	v_ldexp_f32 v56, v56, v88
	v_ldexp_f32 v57, v57, v90
	s_wait_alu 0xfffd
	v_cndmask_b32_e32 v55, 0, v55, vcc_lo
	v_cmp_ngt_f32_e32 vcc_lo, 0xc2ce8ed0, v49
	s_wait_alu 0xfffd
	v_cndmask_b32_e32 v56, 0, v56, vcc_lo
	v_cmp_ngt_f32_e32 vcc_lo, 0xc2ce8ed0, v43
	s_wait_alu 0xfffd
	v_cndmask_b32_e32 v57, 0, v57, vcc_lo
	v_cmp_nlt_f32_e32 vcc_lo, 0x42b17218, v26
	s_wait_alu 0xfffd
	v_cndmask_b32_e32 v26, 0x7f800000, v16, vcc_lo
	v_cmp_nlt_f32_e32 vcc_lo, 0x42b17218, v29
	;; [unrolled: 3-line block ×15, first 2 shown]
	s_delay_alu instid0(VALU_DEP_2)
	v_dual_fmac_f32 v22, v14, v40 :: v_dual_fmac_f32 v19, v11, v37
	v_fmac_f32_e32 v18, v10, v36
	v_cvt_f16_f32_e32 v10, v36
	s_wait_alu 0xfffd
	v_cndmask_b32_e32 v41, 0x7f800000, v56, vcc_lo
	v_cmp_nlt_f32_e32 vcc_lo, 0x42b17218, v43
	v_cvt_f16_f32_e32 v11, v37
	v_and_b32_e32 v36, 0xffff, v10
	v_dual_mov_b32 v10, v18 :: v_dual_fmac_f32 v21, v13, v39
	v_cvt_f16_f32_e32 v13, v39
	s_delay_alu instid0(VALU_DEP_4)
	v_and_b32_e32 v37, 0xffff, v11
	v_dual_mov_b32 v11, v19 :: v_dual_fmac_f32 v20, v12, v38
	v_dual_fmac_f32 v17, v9, v29 :: v_dual_fmac_f32 v16, v8, v26
	s_wait_alu 0xfffd
	v_cndmask_b32_e32 v23, 0x7f800000, v57, vcc_lo
	v_and_b32_e32 v39, 0xffff, v13
	v_mov_b32_e32 v13, v21
	v_cvt_f16_f32_e32 v14, v40
	v_cvt_f16_f32_e32 v8, v26
	;; [unrolled: 1-line block ×3, first 2 shown]
	v_mul_u32_u24_e32 v36, 0x10001, v36
	v_mul_u32_u24_e32 v37, 0x10001, v37
	v_and_b32_e32 v40, 0xffff, v14
	v_dual_mov_b32 v14, v22 :: v_dual_fmac_f32 v23, v15, v41
	v_cvt_f16_f32_e32 v12, v38
	v_cvt_f16_f32_e32 v15, v41
	v_and_b32_e32 v26, 0xffff, v8
	v_and_b32_e32 v29, 0xffff, v9
	v_mul_u32_u24_e32 v39, 0x10001, v39
	v_and_b32_e32 v38, 0xffff, v12
	v_and_b32_e32 v15, 0xffff, v15
	v_mul_u32_u24_e32 v26, 0x10001, v26
	v_mul_u32_u24_e32 v29, 0x10001, v29
	;; [unrolled: 1-line block ×5, first 2 shown]
	v_dual_mov_b32 v8, v16 :: v_dual_mov_b32 v9, v17
	v_mov_b32_e32 v12, v20
	v_pk_mul_f16 v71, v71, v26
	v_pk_mul_f16 v35, v35, v29
	;; [unrolled: 1-line block ×8, first 2 shown]
	v_mov_b32_e32 v15, v23
	s_mov_b32 s3, exec_lo
	v_cmpx_gt_i32_e64 s22, v25
	s_cbranch_execnz .LBB5_15
.LBB5_13:
	s_nop 0
	s_sendmsg sendmsg(MSG_DEALLOC_VGPRS)
	s_endpgm
.LBB5_14:
	s_delay_alu instid0(VALU_DEP_1)
	v_dual_mov_b32 v23, v15 :: v_dual_mov_b32 v22, v14
	v_dual_mov_b32 v21, v13 :: v_dual_mov_b32 v20, v12
	;; [unrolled: 1-line block ×4, first 2 shown]
	s_mov_b32 s3, exec_lo
	v_cmpx_gt_i32_e64 s22, v25
	s_cbranch_execz .LBB5_13
.LBB5_15:
	s_load_b32 s1, s[0:1], 0xd4
	v_mov_b32_e32 v29, 1.0
	s_wait_kmcnt 0x0
	s_cmp_lg_u32 s1, 1
	s_cselect_b32 s5, -1, 0
	s_cmp_eq_u32 s1, 1
	s_cselect_b32 s3, -1, 0
	s_wait_alu 0xfffe
	s_and_b32 vcc_lo, exec_lo, s5
	s_wait_alu 0xfffe
	s_cbranch_vccnz .LBB5_17
; %bb.16:
	v_div_scale_f32 v26, null, v8, v8, 1.0
	s_delay_alu instid0(VALU_DEP_1) | instskip(NEXT) | instid1(TRANS32_DEP_1)
	v_rcp_f32_e32 v29, v26
	v_fma_f32 v36, -v26, v29, 1.0
	s_delay_alu instid0(VALU_DEP_1) | instskip(SKIP_1) | instid1(VALU_DEP_1)
	v_fmac_f32_e32 v29, v36, v29
	v_div_scale_f32 v36, vcc_lo, 1.0, v8, 1.0
	v_mul_f32_e32 v37, v36, v29
	s_delay_alu instid0(VALU_DEP_1) | instskip(NEXT) | instid1(VALU_DEP_1)
	v_fma_f32 v38, -v26, v37, v36
	v_fmac_f32_e32 v37, v38, v29
	s_delay_alu instid0(VALU_DEP_1) | instskip(SKIP_1) | instid1(VALU_DEP_1)
	v_fma_f32 v26, -v26, v37, v36
	s_wait_alu 0xfffd
	v_div_fmas_f32 v26, v26, v29, v37
	s_delay_alu instid0(VALU_DEP_1)
	v_div_fixup_f32 v29, v26, v8, 1.0
.LBB5_17:
	v_mad_co_u64_u32 v[25:26], null, s2, s22, v[25:26]
	v_lshrrev_b32_e32 v8, 16, v71
	v_cmp_eq_u32_e32 vcc_lo, 0, v24
	s_delay_alu instid0(VALU_DEP_2) | instskip(NEXT) | instid1(VALU_DEP_4)
	v_cvt_f32_f16_e32 v8, v8
	v_mad_co_u64_u32 v[25:26], null, v25, s23, s[28:29]
	s_delay_alu instid0(VALU_DEP_2) | instskip(NEXT) | instid1(VALU_DEP_2)
	v_mul_f32_e32 v39, v29, v8
	v_mad_co_u64_u32 v[25:26], null, s1, v25, s[4:5]
	v_cvt_f32_f16_e32 v26, v71
	s_delay_alu instid0(VALU_DEP_1) | instskip(NEXT) | instid1(VALU_DEP_3)
	v_dual_mov_b32 v37, 0 :: v_dual_mul_f32 v38, v29, v26
	v_lshl_add_u32 v36, v25, 6, v27
	s_delay_alu instid0(VALU_DEP_1) | instskip(NEXT) | instid1(VALU_DEP_1)
	v_lshlrev_b64_e32 v[36:37], 2, v[36:37]
	v_add_co_u32 v36, s0, s16, v36
	s_wait_alu 0xf1ff
	s_delay_alu instid0(VALU_DEP_2)
	v_add_co_ci_u32_e64 v37, null, s17, v37, s0
	s_and_b32 s0, vcc_lo, s5
	global_store_b64 v[36:37], v[38:39], off
	s_wait_alu 0xfffe
	s_and_saveexec_b32 s2, s0
	s_cbranch_execz .LBB5_19
; %bb.18:
	v_ashrrev_i32_e32 v26, 31, v25
	v_dual_mov_b32 v38, v0 :: v_dual_mov_b32 v39, v16
	s_delay_alu instid0(VALU_DEP_2) | instskip(NEXT) | instid1(VALU_DEP_1)
	v_lshlrev_b64_e32 v[36:37], 3, v[25:26]
	v_add_co_u32 v36, vcc_lo, s18, v36
	s_wait_alu 0xfffd
	s_delay_alu instid0(VALU_DEP_2)
	v_add_co_ci_u32_e64 v37, null, s19, v37, vcc_lo
	global_store_b64 v[36:37], v[38:39], off
.LBB5_19:
	s_wait_alu 0xfffe
	s_or_b32 exec_lo, exec_lo, s2
	v_cndmask_b32_e64 v24, 0, 1, s3
	v_mov_b32_e32 v0, 1.0
	s_and_not1_b32 vcc_lo, exec_lo, s3
	s_wait_alu 0xfffe
	s_cbranch_vccnz .LBB5_21
; %bb.20:
	v_div_scale_f32 v0, null, v9, v9, 1.0
	s_delay_alu instid0(VALU_DEP_1) | instskip(NEXT) | instid1(TRANS32_DEP_1)
	v_rcp_f32_e32 v8, v0
	v_fma_f32 v16, -v0, v8, 1.0
	s_delay_alu instid0(VALU_DEP_1) | instskip(SKIP_1) | instid1(VALU_DEP_1)
	v_fmac_f32_e32 v8, v16, v8
	v_div_scale_f32 v16, vcc_lo, 1.0, v9, 1.0
	v_mul_f32_e32 v26, v16, v8
	s_delay_alu instid0(VALU_DEP_1) | instskip(NEXT) | instid1(VALU_DEP_1)
	v_fma_f32 v29, -v0, v26, v16
	v_fmac_f32_e32 v26, v29, v8
	s_delay_alu instid0(VALU_DEP_1) | instskip(SKIP_1) | instid1(VALU_DEP_1)
	v_fma_f32 v0, -v0, v26, v16
	s_wait_alu 0xfffd
	v_div_fmas_f32 v0, v0, v8, v26
	s_delay_alu instid0(VALU_DEP_1)
	v_div_fixup_f32 v0, v0, v9, 1.0
.LBB5_21:
	v_cvt_f32_f16_e32 v16, v35
	v_add_nc_u32_e32 v8, s1, v25
	v_lshrrev_b32_e32 v9, 16, v35
	s_delay_alu instid0(VALU_DEP_3) | instskip(NEXT) | instid1(VALU_DEP_3)
	v_dual_mov_b32 v26, 0 :: v_dual_mul_f32 v35, v0, v16
	v_lshl_add_u32 v25, v8, 6, v27
	s_delay_alu instid0(VALU_DEP_3) | instskip(NEXT) | instid1(VALU_DEP_2)
	v_cvt_f32_f16_e32 v9, v9
	v_lshlrev_b64_e32 v[25:26], 2, v[25:26]
	s_delay_alu instid0(VALU_DEP_2) | instskip(NEXT) | instid1(VALU_DEP_2)
	v_mul_f32_e32 v36, v0, v9
	v_add_co_u32 v25, vcc_lo, s16, v25
	s_wait_alu 0xfffd
	s_delay_alu instid0(VALU_DEP_3)
	v_add_co_ci_u32_e64 v26, null, s17, v26, vcc_lo
	global_store_b64 v[25:26], v[35:36], off
	s_and_saveexec_b32 s2, s0
	s_cbranch_execz .LBB5_23
; %bb.22:
	v_ashrrev_i32_e32 v9, 31, v8
	v_mov_b32_e32 v16, v1
	s_delay_alu instid0(VALU_DEP_2) | instskip(NEXT) | instid1(VALU_DEP_1)
	v_lshlrev_b64_e32 v[25:26], 3, v[8:9]
	v_add_co_u32 v25, vcc_lo, s18, v25
	s_wait_alu 0xfffd
	s_delay_alu instid0(VALU_DEP_2)
	v_add_co_ci_u32_e64 v26, null, s19, v26, vcc_lo
	global_store_b64 v[25:26], v[16:17], off
.LBB5_23:
	s_wait_alu 0xfffe
	s_or_b32 exec_lo, exec_lo, s2
	v_cmp_ne_u32_e32 vcc_lo, 1, v24
	v_mov_b32_e32 v1, 1.0
	s_cbranch_vccnz .LBB5_25
; %bb.24:
	v_div_scale_f32 v0, null, v10, v10, 1.0
	s_delay_alu instid0(VALU_DEP_1) | instskip(NEXT) | instid1(TRANS32_DEP_1)
	v_rcp_f32_e32 v1, v0
	v_fma_f32 v9, -v0, v1, 1.0
	s_delay_alu instid0(VALU_DEP_1) | instskip(SKIP_1) | instid1(VALU_DEP_1)
	v_fmac_f32_e32 v1, v9, v1
	v_div_scale_f32 v9, vcc_lo, 1.0, v10, 1.0
	v_mul_f32_e32 v16, v9, v1
	s_delay_alu instid0(VALU_DEP_1) | instskip(NEXT) | instid1(VALU_DEP_1)
	v_fma_f32 v17, -v0, v16, v9
	v_fmac_f32_e32 v16, v17, v1
	s_delay_alu instid0(VALU_DEP_1) | instskip(SKIP_1) | instid1(VALU_DEP_1)
	v_fma_f32 v0, -v0, v16, v9
	s_wait_alu 0xfffd
	v_div_fmas_f32 v0, v0, v1, v16
	s_delay_alu instid0(VALU_DEP_1)
	v_div_fixup_f32 v1, v0, v10, 1.0
.LBB5_25:
	v_dual_mov_b32 v9, 0 :: v_dual_add_nc_u32 v0, s1, v8
	v_lshrrev_b32_e32 v10, 16, v34
	v_cvt_f32_f16_e32 v16, v34
	s_delay_alu instid0(VALU_DEP_3) | instskip(NEXT) | instid1(VALU_DEP_3)
	v_lshl_add_u32 v8, v0, 6, v27
	v_cvt_f32_f16_e32 v10, v10
	s_delay_alu instid0(VALU_DEP_3) | instskip(NEXT) | instid1(VALU_DEP_3)
	v_mul_f32_e32 v16, v1, v16
	v_lshlrev_b64_e32 v[8:9], 2, v[8:9]
	s_delay_alu instid0(VALU_DEP_3) | instskip(NEXT) | instid1(VALU_DEP_2)
	v_mul_f32_e32 v17, v1, v10
	v_add_co_u32 v8, vcc_lo, s16, v8
	s_wait_alu 0xfffd
	s_delay_alu instid0(VALU_DEP_3)
	v_add_co_ci_u32_e64 v9, null, s17, v9, vcc_lo
	global_store_b64 v[8:9], v[16:17], off
	s_and_saveexec_b32 s2, s0
	s_cbranch_execz .LBB5_27
; %bb.26:
	v_ashrrev_i32_e32 v1, 31, v0
	v_mov_b32_e32 v17, v2
	s_delay_alu instid0(VALU_DEP_2) | instskip(NEXT) | instid1(VALU_DEP_1)
	v_lshlrev_b64_e32 v[8:9], 3, v[0:1]
	v_add_co_u32 v8, vcc_lo, s18, v8
	s_wait_alu 0xfffd
	s_delay_alu instid0(VALU_DEP_2)
	v_add_co_ci_u32_e64 v9, null, s19, v9, vcc_lo
	global_store_b64 v[8:9], v[17:18], off
.LBB5_27:
	s_wait_alu 0xfffe
	s_or_b32 exec_lo, exec_lo, s2
	v_cmp_ne_u32_e32 vcc_lo, 1, v24
	v_mov_b32_e32 v1, 1.0
	s_cbranch_vccnz .LBB5_29
; %bb.28:
	v_div_scale_f32 v1, null, v11, v11, 1.0
	s_delay_alu instid0(VALU_DEP_1) | instskip(NEXT) | instid1(TRANS32_DEP_1)
	v_rcp_f32_e32 v2, v1
	v_fma_f32 v8, -v1, v2, 1.0
	s_delay_alu instid0(VALU_DEP_1) | instskip(SKIP_1) | instid1(VALU_DEP_1)
	v_fmac_f32_e32 v2, v8, v2
	v_div_scale_f32 v8, vcc_lo, 1.0, v11, 1.0
	v_mul_f32_e32 v9, v8, v2
	s_delay_alu instid0(VALU_DEP_1) | instskip(NEXT) | instid1(VALU_DEP_1)
	v_fma_f32 v10, -v1, v9, v8
	v_fmac_f32_e32 v9, v10, v2
	s_delay_alu instid0(VALU_DEP_1) | instskip(SKIP_1) | instid1(VALU_DEP_1)
	v_fma_f32 v1, -v1, v9, v8
	s_wait_alu 0xfffd
	v_div_fmas_f32 v1, v1, v2, v9
	s_delay_alu instid0(VALU_DEP_1)
	v_div_fixup_f32 v1, v1, v11, 1.0
.LBB5_29:
	v_dual_mov_b32 v9, 0 :: v_dual_add_nc_u32 v0, s1, v0
	v_lshrrev_b32_e32 v2, 16, v33
	v_cvt_f32_f16_e32 v10, v33
	s_delay_alu instid0(VALU_DEP_3) | instskip(NEXT) | instid1(VALU_DEP_3)
	v_lshl_add_u32 v8, v0, 6, v27
	v_cvt_f32_f16_e32 v2, v2
	s_delay_alu instid0(VALU_DEP_3) | instskip(NEXT) | instid1(VALU_DEP_3)
	v_mul_f32_e32 v10, v1, v10
	v_lshlrev_b64_e32 v[8:9], 2, v[8:9]
	s_delay_alu instid0(VALU_DEP_3) | instskip(NEXT) | instid1(VALU_DEP_2)
	;; [unrolled: 53-line block ×6, first 2 shown]
	v_mul_f32_e32 v5, v1, v6
	v_add_co_u32 v1, vcc_lo, s16, v2
	s_wait_alu 0xfffd
	s_delay_alu instid0(VALU_DEP_3)
	v_add_co_ci_u32_e64 v2, null, s17, v3, vcc_lo
	global_store_b64 v[1:2], v[4:5], off
	s_and_b32 exec_lo, exec_lo, s0
	s_cbranch_execz .LBB5_13
; %bb.46:
	v_ashrrev_i32_e32 v1, 31, v0
	v_mov_b32_e32 v22, v7
	s_delay_alu instid0(VALU_DEP_2) | instskip(NEXT) | instid1(VALU_DEP_1)
	v_lshlrev_b64_e32 v[0:1], 3, v[0:1]
	v_add_co_u32 v0, vcc_lo, s18, v0
	s_wait_alu 0xfffd
	s_delay_alu instid0(VALU_DEP_2)
	v_add_co_ci_u32_e64 v1, null, s19, v1, vcc_lo
	global_store_b64 v[0:1], v[22:23], off
	s_nop 0
	s_sendmsg sendmsg(MSG_DEALLOC_VGPRS)
	s_endpgm
	.section	.rodata,"a",@progbits
	.p2align	6, 0x0
	.amdhsa_kernel _ZL15flash_attn_tileILi64ELi64ELi4ELi8ELb0EEvPKcS1_S1_S1_S1_PKiPfP15HIP_vector_typeIfLj2EEffffjfiS5_IjLj3EEiiiiiiiiiiiliiliiiiil
		.amdhsa_group_segment_fixed_size 17408
		.amdhsa_private_segment_fixed_size 0
		.amdhsa_kernarg_size 464
		.amdhsa_user_sgpr_count 2
		.amdhsa_user_sgpr_dispatch_ptr 0
		.amdhsa_user_sgpr_queue_ptr 0
		.amdhsa_user_sgpr_kernarg_segment_ptr 1
		.amdhsa_user_sgpr_dispatch_id 0
		.amdhsa_user_sgpr_private_segment_size 0
		.amdhsa_wavefront_size32 1
		.amdhsa_uses_dynamic_stack 0
		.amdhsa_enable_private_segment 0
		.amdhsa_system_sgpr_workgroup_id_x 1
		.amdhsa_system_sgpr_workgroup_id_y 1
		.amdhsa_system_sgpr_workgroup_id_z 1
		.amdhsa_system_sgpr_workgroup_info 0
		.amdhsa_system_vgpr_workitem_id 1
		.amdhsa_next_free_vgpr 193
		.amdhsa_next_free_sgpr 44
		.amdhsa_reserve_vcc 1
		.amdhsa_float_round_mode_32 0
		.amdhsa_float_round_mode_16_64 0
		.amdhsa_float_denorm_mode_32 3
		.amdhsa_float_denorm_mode_16_64 3
		.amdhsa_fp16_overflow 0
		.amdhsa_workgroup_processor_mode 1
		.amdhsa_memory_ordered 1
		.amdhsa_forward_progress 1
		.amdhsa_inst_pref_size 204
		.amdhsa_round_robin_scheduling 0
		.amdhsa_exception_fp_ieee_invalid_op 0
		.amdhsa_exception_fp_denorm_src 0
		.amdhsa_exception_fp_ieee_div_zero 0
		.amdhsa_exception_fp_ieee_overflow 0
		.amdhsa_exception_fp_ieee_underflow 0
		.amdhsa_exception_fp_ieee_inexact 0
		.amdhsa_exception_int_div_zero 0
	.end_amdhsa_kernel
	.section	.text._ZL15flash_attn_tileILi64ELi64ELi4ELi8ELb0EEvPKcS1_S1_S1_S1_PKiPfP15HIP_vector_typeIfLj2EEffffjfiS5_IjLj3EEiiiiiiiiiiiliiliiiiil,"axG",@progbits,_ZL15flash_attn_tileILi64ELi64ELi4ELi8ELb0EEvPKcS1_S1_S1_S1_PKiPfP15HIP_vector_typeIfLj2EEffffjfiS5_IjLj3EEiiiiiiiiiiiliiliiiiil,comdat
.Lfunc_end5:
	.size	_ZL15flash_attn_tileILi64ELi64ELi4ELi8ELb0EEvPKcS1_S1_S1_S1_PKiPfP15HIP_vector_typeIfLj2EEffffjfiS5_IjLj3EEiiiiiiiiiiiliiliiiiil, .Lfunc_end5-_ZL15flash_attn_tileILi64ELi64ELi4ELi8ELb0EEvPKcS1_S1_S1_S1_PKiPfP15HIP_vector_typeIfLj2EEffffjfiS5_IjLj3EEiiiiiiiiiiiliiliiiiil
                                        ; -- End function
	.set _ZL15flash_attn_tileILi64ELi64ELi4ELi8ELb0EEvPKcS1_S1_S1_S1_PKiPfP15HIP_vector_typeIfLj2EEffffjfiS5_IjLj3EEiiiiiiiiiiiliiliiiiil.num_vgpr, 127
	.set _ZL15flash_attn_tileILi64ELi64ELi4ELi8ELb0EEvPKcS1_S1_S1_S1_PKiPfP15HIP_vector_typeIfLj2EEffffjfiS5_IjLj3EEiiiiiiiiiiiliiliiiiil.num_agpr, 0
	.set _ZL15flash_attn_tileILi64ELi64ELi4ELi8ELb0EEvPKcS1_S1_S1_S1_PKiPfP15HIP_vector_typeIfLj2EEffffjfiS5_IjLj3EEiiiiiiiiiiiliiliiiiil.numbered_sgpr, 44
	.set _ZL15flash_attn_tileILi64ELi64ELi4ELi8ELb0EEvPKcS1_S1_S1_S1_PKiPfP15HIP_vector_typeIfLj2EEffffjfiS5_IjLj3EEiiiiiiiiiiiliiliiiiil.num_named_barrier, 0
	.set _ZL15flash_attn_tileILi64ELi64ELi4ELi8ELb0EEvPKcS1_S1_S1_S1_PKiPfP15HIP_vector_typeIfLj2EEffffjfiS5_IjLj3EEiiiiiiiiiiiliiliiiiil.private_seg_size, 0
	.set _ZL15flash_attn_tileILi64ELi64ELi4ELi8ELb0EEvPKcS1_S1_S1_S1_PKiPfP15HIP_vector_typeIfLj2EEffffjfiS5_IjLj3EEiiiiiiiiiiiliiliiiiil.uses_vcc, 1
	.set _ZL15flash_attn_tileILi64ELi64ELi4ELi8ELb0EEvPKcS1_S1_S1_S1_PKiPfP15HIP_vector_typeIfLj2EEffffjfiS5_IjLj3EEiiiiiiiiiiiliiliiiiil.uses_flat_scratch, 0
	.set _ZL15flash_attn_tileILi64ELi64ELi4ELi8ELb0EEvPKcS1_S1_S1_S1_PKiPfP15HIP_vector_typeIfLj2EEffffjfiS5_IjLj3EEiiiiiiiiiiiliiliiiiil.has_dyn_sized_stack, 0
	.set _ZL15flash_attn_tileILi64ELi64ELi4ELi8ELb0EEvPKcS1_S1_S1_S1_PKiPfP15HIP_vector_typeIfLj2EEffffjfiS5_IjLj3EEiiiiiiiiiiiliiliiiiil.has_recursion, 0
	.set _ZL15flash_attn_tileILi64ELi64ELi4ELi8ELb0EEvPKcS1_S1_S1_S1_PKiPfP15HIP_vector_typeIfLj2EEffffjfiS5_IjLj3EEiiiiiiiiiiiliiliiiiil.has_indirect_call, 0
	.section	.AMDGPU.csdata,"",@progbits
; Kernel info:
; codeLenInByte = 26008
; TotalNumSgprs: 46
; NumVgprs: 127
; ScratchSize: 0
; MemoryBound: 0
; FloatMode: 240
; IeeeMode: 1
; LDSByteSize: 17408 bytes/workgroup (compile time only)
; SGPRBlocks: 0
; VGPRBlocks: 24
; NumSGPRsForWavesPerEU: 46
; NumVGPRsForWavesPerEU: 193
; Occupancy: 7
; WaveLimiterHint : 1
; COMPUTE_PGM_RSRC2:SCRATCH_EN: 0
; COMPUTE_PGM_RSRC2:USER_SGPR: 2
; COMPUTE_PGM_RSRC2:TRAP_HANDLER: 0
; COMPUTE_PGM_RSRC2:TGID_X_EN: 1
; COMPUTE_PGM_RSRC2:TGID_Y_EN: 1
; COMPUTE_PGM_RSRC2:TGID_Z_EN: 1
; COMPUTE_PGM_RSRC2:TIDIG_COMP_CNT: 1
	.section	.text._ZL25flash_attn_mask_to_KV_maxILi4EEvPK7__half2Piiii,"axG",@progbits,_ZL25flash_attn_mask_to_KV_maxILi4EEvPK7__half2Piiii,comdat
	.globl	_ZL25flash_attn_mask_to_KV_maxILi4EEvPK7__half2Piiii ; -- Begin function _ZL25flash_attn_mask_to_KV_maxILi4EEvPK7__half2Piiii
	.p2align	8
	.type	_ZL25flash_attn_mask_to_KV_maxILi4EEvPK7__half2Piiii,@function
_ZL25flash_attn_mask_to_KV_maxILi4EEvPK7__half2Piiii: ; @_ZL25flash_attn_mask_to_KV_maxILi4EEvPK7__half2Piiii
; %bb.0:
	s_load_b64 s[8:9], s[0:1], 0x0
	s_mov_b32 s2, exec_lo
	v_cmpx_gt_u32_e32 32, v0
; %bb.1:
	v_dual_mov_b32 v2, 1 :: v_dual_lshlrev_b32 v1, 2, v0
	ds_store_b32 v1, v2
; %bb.2:
	s_or_b32 exec_lo, exec_lo, s2
	s_clause 0x2
	s_load_b96 s[4:6], s[0:1], 0x10
	s_load_b64 s[2:3], s[0:1], 0x8
	s_load_b32 s1, s[0:1], 0x20
	v_dual_mov_b32 v2, 0 :: v_dual_and_b32 v1, 31, v0
	v_lshrrev_b32_e32 v5, 3, v0
	s_wait_dscnt 0x0
	s_barrier_signal -1
	s_delay_alu instid0(VALU_DEP_2)
	v_lshlrev_b32_e32 v6, 2, v1
	s_barrier_wait -1
	global_inv scope:SCOPE_SE
	s_wait_kmcnt 0x0
	s_mul_i32 s0, ttmp9, s5
	s_mul_i32 s6, s6, ttmp7
	s_lshl_b32 s0, s0, 2
	s_delay_alu instid0(SALU_CYCLE_1) | instskip(SKIP_2) | instid1(SALU_CYCLE_1)
	s_add_co_i32 s6, s6, s0
	v_cmp_eq_u32_e64 s0, 0, v1
	s_ashr_i32 s7, s6, 31
	s_lshl_b64 s[6:7], s[6:7], 2
	s_delay_alu instid0(SALU_CYCLE_1)
	s_add_nc_u64 s[6:7], s[8:9], s[6:7]
	s_lshl_b32 s8, s4, 8
	s_branch .LBB6_4
.LBB6_3:                                ;   in Loop: Header=BB6_4 Depth=1
	s_wait_alu 0xfffe
	s_or_b32 exec_lo, exec_lo, s9
	s_wait_dscnt 0x0
	s_barrier_signal -1
	s_barrier_wait -1
	global_inv scope:SCOPE_SE
	ds_load_b32 v1, v6
	s_wait_loadcnt_dscnt 0x0
	s_barrier_signal -1
	s_barrier_wait -1
	global_inv scope:SCOPE_SE
	v_cmp_ne_u32_e32 vcc_lo, 0, v1
	s_cmp_lg_u32 vcc_lo, exec_lo
	s_cselect_b32 s9, -1, 0
	s_wait_alu 0xfffe
	s_and_b32 vcc_lo, exec_lo, s9
	s_wait_alu 0xfffe
	s_cbranch_vccnz .LBB6_20
.LBB6_4:                                ; =>This Inner Loop Header: Depth=1
	s_mov_b32 s4, s8
	s_addk_co_i32 s8, 0xff00
	s_wait_alu 0xfffe
	s_cmp_lt_i32 s8, 0
	s_cbranch_scc1 .LBB6_19
; %bb.5:                                ;   in Loop: Header=BB6_4 Depth=1
	s_lshr_b32 s9, s8, 1
	s_wait_alu 0xfffe
	v_add_nc_u32_e32 v1, s9, v0
	s_delay_alu instid0(VALU_DEP_1) | instskip(NEXT) | instid1(VALU_DEP_1)
	v_lshlrev_b64_e32 v[3:4], 2, v[1:2]
	v_add_co_u32 v3, vcc_lo, s6, v3
	s_wait_alu 0xfffd
	s_delay_alu instid0(VALU_DEP_2) | instskip(SKIP_4) | instid1(VALU_DEP_2)
	v_add_co_ci_u32_e64 v4, null, s7, v4, vcc_lo
	global_load_b32 v3, v[3:4], off
	s_wait_loadcnt 0x0
	v_lshrrev_b32_e32 v4, 16, v3
	v_cmp_class_f16_e64 s9, v3, 0x204
	v_cmp_class_f16_e64 s10, v4, 0x204
	s_and_b32 s11, s9, s10
	s_mov_b32 s10, 0
	s_wait_alu 0xfffe
	s_and_saveexec_b32 s9, s11
	s_cbranch_execz .LBB6_17
; %bb.6:                                ;   in Loop: Header=BB6_4 Depth=1
	v_add_nc_u32_e32 v3, s5, v1
	s_mov_b32 s11, 0
	s_delay_alu instid0(VALU_DEP_1) | instskip(NEXT) | instid1(VALU_DEP_1)
	v_ashrrev_i32_e32 v4, 31, v3
	v_lshlrev_b64_e32 v[7:8], 2, v[3:4]
	s_delay_alu instid0(VALU_DEP_1) | instskip(SKIP_1) | instid1(VALU_DEP_2)
	v_add_co_u32 v7, vcc_lo, s6, v7
	s_wait_alu 0xfffd
	v_add_co_ci_u32_e64 v8, null, s7, v8, vcc_lo
	global_load_b32 v1, v[7:8], off
	s_wait_loadcnt 0x0
	v_cmp_class_f16_e64 s12, v1, 0x204
	s_and_saveexec_b32 s10, s12
	s_cbranch_execz .LBB6_16
; %bb.7:                                ;   in Loop: Header=BB6_4 Depth=1
	v_lshrrev_b32_e32 v1, 16, v1
	s_mov_b32 s12, 0
	s_delay_alu instid0(VALU_DEP_1)
	v_cmp_class_f16_e64 s13, v1, 0x204
	s_and_saveexec_b32 s11, s13
	s_cbranch_execz .LBB6_15
; %bb.8:                                ;   in Loop: Header=BB6_4 Depth=1
	v_add_nc_u32_e32 v3, s5, v3
	s_mov_b32 s13, 0
	s_delay_alu instid0(VALU_DEP_1) | instskip(NEXT) | instid1(VALU_DEP_1)
	v_ashrrev_i32_e32 v4, 31, v3
	v_lshlrev_b64_e32 v[7:8], 2, v[3:4]
	s_delay_alu instid0(VALU_DEP_1) | instskip(SKIP_1) | instid1(VALU_DEP_2)
	v_add_co_u32 v7, vcc_lo, s6, v7
	s_wait_alu 0xfffd
	v_add_co_ci_u32_e64 v8, null, s7, v8, vcc_lo
	global_load_b32 v1, v[7:8], off
	s_wait_loadcnt 0x0
	v_cmp_class_f16_e64 s14, v1, 0x204
	s_and_saveexec_b32 s12, s14
	s_cbranch_execz .LBB6_14
; %bb.9:                                ;   in Loop: Header=BB6_4 Depth=1
	v_lshrrev_b32_e32 v1, 16, v1
	s_mov_b32 s14, 0
	s_delay_alu instid0(VALU_DEP_1)
	v_cmp_class_f16_e64 s15, v1, 0x204
	s_and_saveexec_b32 s13, s15
	s_cbranch_execz .LBB6_13
; %bb.10:                               ;   in Loop: Header=BB6_4 Depth=1
	v_add_nc_u32_e32 v3, s5, v3
	s_delay_alu instid0(VALU_DEP_1) | instskip(NEXT) | instid1(VALU_DEP_1)
	v_ashrrev_i32_e32 v4, 31, v3
	v_lshlrev_b64_e32 v[3:4], 2, v[3:4]
	s_delay_alu instid0(VALU_DEP_1) | instskip(SKIP_1) | instid1(VALU_DEP_2)
	v_add_co_u32 v3, vcc_lo, s6, v3
	s_wait_alu 0xfffd
	v_add_co_ci_u32_e64 v4, null, s7, v4, vcc_lo
	global_load_b32 v1, v[3:4], off
	s_wait_loadcnt 0x0
	v_cmp_class_f16_e64 s16, v1, 0x204
	s_and_saveexec_b32 s15, s16
; %bb.11:                               ;   in Loop: Header=BB6_4 Depth=1
	v_lshrrev_b32_e32 v1, 16, v1
	s_delay_alu instid0(VALU_DEP_1)
	v_cmp_class_f16_e64 s14, v1, 0x204
	s_and_b32 s14, s14, exec_lo
; %bb.12:                               ;   in Loop: Header=BB6_4 Depth=1
	s_or_b32 exec_lo, exec_lo, s15
	s_delay_alu instid0(SALU_CYCLE_1)
	s_and_b32 s14, s14, exec_lo
.LBB6_13:                               ;   in Loop: Header=BB6_4 Depth=1
	s_or_b32 exec_lo, exec_lo, s13
	s_delay_alu instid0(SALU_CYCLE_1)
	s_and_b32 s13, s14, exec_lo
.LBB6_14:                               ;   in Loop: Header=BB6_4 Depth=1
	s_or_b32 exec_lo, exec_lo, s12
	s_delay_alu instid0(SALU_CYCLE_1)
	s_and_b32 s12, s13, exec_lo
.LBB6_15:                               ;   in Loop: Header=BB6_4 Depth=1
	s_wait_alu 0xfffe
	s_or_b32 exec_lo, exec_lo, s11
	s_delay_alu instid0(SALU_CYCLE_1)
	s_and_b32 s11, s12, exec_lo
.LBB6_16:                               ;   in Loop: Header=BB6_4 Depth=1
	s_wait_alu 0xfffe
	s_or_b32 exec_lo, exec_lo, s10
	s_delay_alu instid0(SALU_CYCLE_1)
	s_and_b32 s10, s11, exec_lo
.LBB6_17:                               ;   in Loop: Header=BB6_4 Depth=1
	s_wait_alu 0xfffe
	s_or_b32 exec_lo, exec_lo, s9
	v_cndmask_b32_e64 v1, 0, 1, s10
	s_mov_b32 s11, exec_lo
	s_delay_alu instid0(VALU_DEP_1)
	v_cmp_ne_u32_e32 vcc_lo, 0, v1
	s_and_saveexec_b32 s9, s0
	s_cbranch_execz .LBB6_3
; %bb.18:                               ;   in Loop: Header=BB6_4 Depth=1
	s_wait_alu 0xfffe
	s_cmp_eq_u32 vcc_lo, s11
	s_cselect_b32 s10, -1, 0
	s_wait_alu 0xfffe
	v_cndmask_b32_e64 v1, 0, 1, s10
	ds_store_b32 v5, v1
	s_branch .LBB6_3
.LBB6_19:                               ;   in Loop: Header=BB6_4 Depth=1
	s_cbranch_execz .LBB6_4
.LBB6_20:
	s_mov_b32 s0, exec_lo
	v_cmpx_eq_u32_e32 0, v0
	s_cbranch_execz .LBB6_22
; %bb.21:
	s_mul_i32 s0, s1, ttmp7
	v_dual_mov_b32 v0, 0 :: v_dual_mov_b32 v1, s4
	s_add_co_i32 s0, s0, ttmp9
	s_delay_alu instid0(SALU_CYCLE_1) | instskip(NEXT) | instid1(SALU_CYCLE_1)
	s_ashr_i32 s1, s0, 31
	s_lshl_b64 s[0:1], s[0:1], 2
	s_delay_alu instid0(SALU_CYCLE_1)
	s_add_nc_u64 s[0:1], s[2:3], s[0:1]
	global_store_b32 v0, v1, s[0:1]
.LBB6_22:
	s_endpgm
	.section	.rodata,"a",@progbits
	.p2align	6, 0x0
	.amdhsa_kernel _ZL25flash_attn_mask_to_KV_maxILi4EEvPK7__half2Piiii
		.amdhsa_group_segment_fixed_size 128
		.amdhsa_private_segment_fixed_size 0
		.amdhsa_kernarg_size 288
		.amdhsa_user_sgpr_count 2
		.amdhsa_user_sgpr_dispatch_ptr 0
		.amdhsa_user_sgpr_queue_ptr 0
		.amdhsa_user_sgpr_kernarg_segment_ptr 1
		.amdhsa_user_sgpr_dispatch_id 0
		.amdhsa_user_sgpr_private_segment_size 0
		.amdhsa_wavefront_size32 1
		.amdhsa_uses_dynamic_stack 0
		.amdhsa_enable_private_segment 0
		.amdhsa_system_sgpr_workgroup_id_x 1
		.amdhsa_system_sgpr_workgroup_id_y 1
		.amdhsa_system_sgpr_workgroup_id_z 0
		.amdhsa_system_sgpr_workgroup_info 0
		.amdhsa_system_vgpr_workitem_id 0
		.amdhsa_next_free_vgpr 9
		.amdhsa_next_free_sgpr 17
		.amdhsa_reserve_vcc 1
		.amdhsa_float_round_mode_32 0
		.amdhsa_float_round_mode_16_64 0
		.amdhsa_float_denorm_mode_32 3
		.amdhsa_float_denorm_mode_16_64 3
		.amdhsa_fp16_overflow 0
		.amdhsa_workgroup_processor_mode 1
		.amdhsa_memory_ordered 1
		.amdhsa_forward_progress 1
		.amdhsa_inst_pref_size 8
		.amdhsa_round_robin_scheduling 0
		.amdhsa_exception_fp_ieee_invalid_op 0
		.amdhsa_exception_fp_denorm_src 0
		.amdhsa_exception_fp_ieee_div_zero 0
		.amdhsa_exception_fp_ieee_overflow 0
		.amdhsa_exception_fp_ieee_underflow 0
		.amdhsa_exception_fp_ieee_inexact 0
		.amdhsa_exception_int_div_zero 0
	.end_amdhsa_kernel
	.section	.text._ZL25flash_attn_mask_to_KV_maxILi4EEvPK7__half2Piiii,"axG",@progbits,_ZL25flash_attn_mask_to_KV_maxILi4EEvPK7__half2Piiii,comdat
.Lfunc_end6:
	.size	_ZL25flash_attn_mask_to_KV_maxILi4EEvPK7__half2Piiii, .Lfunc_end6-_ZL25flash_attn_mask_to_KV_maxILi4EEvPK7__half2Piiii
                                        ; -- End function
	.set _ZL25flash_attn_mask_to_KV_maxILi4EEvPK7__half2Piiii.num_vgpr, 9
	.set _ZL25flash_attn_mask_to_KV_maxILi4EEvPK7__half2Piiii.num_agpr, 0
	.set _ZL25flash_attn_mask_to_KV_maxILi4EEvPK7__half2Piiii.numbered_sgpr, 17
	.set _ZL25flash_attn_mask_to_KV_maxILi4EEvPK7__half2Piiii.num_named_barrier, 0
	.set _ZL25flash_attn_mask_to_KV_maxILi4EEvPK7__half2Piiii.private_seg_size, 0
	.set _ZL25flash_attn_mask_to_KV_maxILi4EEvPK7__half2Piiii.uses_vcc, 1
	.set _ZL25flash_attn_mask_to_KV_maxILi4EEvPK7__half2Piiii.uses_flat_scratch, 0
	.set _ZL25flash_attn_mask_to_KV_maxILi4EEvPK7__half2Piiii.has_dyn_sized_stack, 0
	.set _ZL25flash_attn_mask_to_KV_maxILi4EEvPK7__half2Piiii.has_recursion, 0
	.set _ZL25flash_attn_mask_to_KV_maxILi4EEvPK7__half2Piiii.has_indirect_call, 0
	.section	.AMDGPU.csdata,"",@progbits
; Kernel info:
; codeLenInByte = 912
; TotalNumSgprs: 19
; NumVgprs: 9
; ScratchSize: 0
; MemoryBound: 0
; FloatMode: 240
; IeeeMode: 1
; LDSByteSize: 128 bytes/workgroup (compile time only)
; SGPRBlocks: 0
; VGPRBlocks: 1
; NumSGPRsForWavesPerEU: 19
; NumVGPRsForWavesPerEU: 9
; Occupancy: 16
; WaveLimiterHint : 0
; COMPUTE_PGM_RSRC2:SCRATCH_EN: 0
; COMPUTE_PGM_RSRC2:USER_SGPR: 2
; COMPUTE_PGM_RSRC2:TRAP_HANDLER: 0
; COMPUTE_PGM_RSRC2:TGID_X_EN: 1
; COMPUTE_PGM_RSRC2:TGID_Y_EN: 1
; COMPUTE_PGM_RSRC2:TGID_Z_EN: 0
; COMPUTE_PGM_RSRC2:TIDIG_COMP_CNT: 0
	.section	.text._ZL33flash_attn_stream_k_fixup_uniformILi64ELi4ELi8EEvPfPK15HIP_vector_typeIfLj2EEiiiiiiS1_IjLj3EES5_S5_,"axG",@progbits,_ZL33flash_attn_stream_k_fixup_uniformILi64ELi4ELi8EEvPfPK15HIP_vector_typeIfLj2EEiiiiiiS1_IjLj3EES5_S5_,comdat
	.globl	_ZL33flash_attn_stream_k_fixup_uniformILi64ELi4ELi8EEvPfPK15HIP_vector_typeIfLj2EEiiiiiiS1_IjLj3EES5_S5_ ; -- Begin function _ZL33flash_attn_stream_k_fixup_uniformILi64ELi4ELi8EEvPfPK15HIP_vector_typeIfLj2EEiiiiiiS1_IjLj3EES5_S5_
	.p2align	8
	.type	_ZL33flash_attn_stream_k_fixup_uniformILi64ELi4ELi8EEvPfPK15HIP_vector_typeIfLj2EEiiiiiiS1_IjLj3EES5_S5_,@function
_ZL33flash_attn_stream_k_fixup_uniformILi64ELi4ELi8EEvPfPK15HIP_vector_typeIfLj2EEiiiiiiS1_IjLj3EES5_S5_: ; @_ZL33flash_attn_stream_k_fixup_uniformILi64ELi4ELi8EEvPfPK15HIP_vector_typeIfLj2EEiiiiiiS1_IjLj3EES5_S5_
; %bb.0:
	s_clause 0x1
	s_load_b256 s[4:11], s[0:1], 0x1c
	s_load_b128 s[12:15], s[0:1], 0x3c
	s_wait_kmcnt 0x0
	s_mul_hi_u32 s2, s7, ttmp9
	s_delay_alu instid0(SALU_CYCLE_1) | instskip(NEXT) | instid1(SALU_CYCLE_1)
	s_add_co_i32 s2, ttmp9, s2
	s_lshr_b32 s2, s2, s8
	s_delay_alu instid0(SALU_CYCLE_1) | instskip(SKIP_2) | instid1(SALU_CYCLE_1)
	s_mul_i32 s3, s2, s9
	s_load_b64 s[8:9], s[0:1], 0x10
	s_sub_co_i32 s7, ttmp9, s3
	s_mul_hi_u32 s3, s7, s10
	s_delay_alu instid0(SALU_CYCLE_1) | instskip(NEXT) | instid1(SALU_CYCLE_1)
	s_add_co_i32 s3, s7, s3
	s_lshr_b32 s3, s3, s11
	s_delay_alu instid0(SALU_CYCLE_1) | instskip(NEXT) | instid1(SALU_CYCLE_1)
	s_mul_i32 s10, s3, s12
	s_sub_co_i32 s7, s7, s10
	s_delay_alu instid0(SALU_CYCLE_1) | instskip(NEXT) | instid1(SALU_CYCLE_1)
	s_mul_hi_u32 s10, s7, s13
	s_add_co_i32 s10, s7, s10
	s_delay_alu instid0(SALU_CYCLE_1) | instskip(NEXT) | instid1(SALU_CYCLE_1)
	s_lshr_b32 s12, s10, s14
	s_mul_i32 s10, s12, s15
	s_lshl_b32 s12, s12, 3
	s_sub_co_i32 s11, s7, s10
	s_and_b32 s7, ttmp7, 0xffff
	s_lshl_b32 s13, s11, 2
	s_lshr_b32 s10, ttmp7, 16
	s_add_co_i32 s13, s13, s7
	s_wait_kmcnt 0x0
	s_cmp_lt_i32 s13, s8
	s_cselect_b32 s13, -1, 0
	s_add_co_i32 s14, s12, s10
	s_delay_alu instid0(SALU_CYCLE_1) | instskip(SKIP_1) | instid1(SALU_CYCLE_1)
	s_cmp_lt_i32 s14, s5
	s_cselect_b32 s14, -1, 0
	s_and_b32 s13, s13, s14
	s_delay_alu instid0(SALU_CYCLE_1)
	s_and_not1_b32 vcc_lo, exec_lo, s13
	s_cbranch_vccnz .LBB7_6
; %bb.1:
	s_mul_i32 s2, s2, s8
	s_mul_i32 s5, s3, s5
	s_add_co_i32 s2, s2, s7
	s_delay_alu instid0(SALU_CYCLE_1) | instskip(NEXT) | instid1(SALU_CYCLE_1)
	s_mul_i32 s2, s2, s9
	s_add_co_i32 s8, s2, s10
	s_load_b128 s[0:3], s[0:1], 0x0
	s_add_co_i32 s5, s8, s5
	s_mul_i32 s8, s9, s11
	s_add_co_i32 s5, s5, s12
	s_lshl_b32 s8, s8, 8
	s_lshl_b32 s5, s5, 6
	s_delay_alu instid0(SALU_CYCLE_1)
	s_add_co_i32 s8, s8, s5
	s_lshl_b32 s5, s7, 3
	v_or_b32_e32 v1, s8, v0
	s_mul_i32 s8, s6, ttmp9
	s_wait_alu 0xfffe
	s_add_co_i32 s9, s8, s6
	s_wait_alu 0xfffe
	s_add_co_i32 s12, s9, -2
	v_ashrrev_i32_e32 v2, 31, v1
	s_delay_alu instid0(VALU_DEP_1) | instskip(SKIP_1) | instid1(VALU_DEP_1)
	v_lshlrev_b64_e32 v[1:2], 2, v[1:2]
	s_wait_kmcnt 0x0
	v_add_co_u32 v1, vcc_lo, s0, v1
	s_delay_alu instid0(VALU_DEP_1)
	v_add_co_ci_u32_e64 v2, null, s1, v2, vcc_lo
	s_add_co_i32 s0, s5, s10
	s_lshl_b32 s1, s9, 5
	global_load_b32 v5, v[1:2], off
	s_wait_alu 0xfffe
	s_add_co_i32 s0, s0, s1
	s_wait_alu 0xfffe
	s_sub_co_i32 s0, s0, 32
	s_wait_alu 0xfffe
	s_ashr_i32 s1, s0, 31
	s_wait_alu 0xfffe
	s_lshl_b64 s[0:1], s[0:1], 3
	s_cmp_lt_i32 s12, s8
	s_wait_alu 0xfffe
	s_add_nc_u64 s[0:1], s[2:3], s[0:1]
	s_load_b32 s11, s[0:1], 0x4
	s_cbranch_scc1 .LBB7_4
; %bb.2:
	s_load_b32 s0, s[0:1], 0x0
	s_add_co_i32 s13, ttmp9, 1
	s_lshl_b32 s12, s4, 7
	s_mul_i32 s1, s6, s13
	s_lshl_b32 s6, s7, 9
	s_lshl_b32 s7, s10, 6
	s_wait_alu 0xfffe
	s_lshl_b32 s14, s1, 11
	s_add_co_i32 s6, s7, s6
	s_lshl_b32 s1, s1, 5
	s_add_co_i32 s14, s6, s14
	s_wait_alu 0xfffe
	s_add_co_i32 s1, s10, s1
	v_or_b32_e32 v0, s14, v0
	s_lshl_b32 s4, s4, 5
	s_ashr_i32 s13, s12, 31
	s_wait_alu 0xfffe
	s_add_co_i32 s1, s1, s4
	s_wait_kmcnt 0x0
	v_dual_mov_b32 v6, s11 :: v_dual_add_nc_u32 v3, 0xfffff000, v0
	s_lshl_b64 s[6:7], s[12:13], 2
	s_wait_alu 0xfffe
	s_add_co_i32 s4, s1, s5
	s_add_nc_u64 s[6:7], s[2:3], s[6:7]
	s_add_co_i32 s1, s9, -1
	s_sub_co_i32 s4, s4, 64
.LBB7_3:                                ; =>This Inner Loop Header: Depth=1
	v_ashrrev_i32_e32 v4, 31, v3
	s_ashr_i32 s5, s4, 31
	v_mov_b32_e32 v10, v6
	s_lshl_b64 s[10:11], s[4:5], 3
	s_wait_loadcnt 0x0
	v_mov_b32_e32 v9, v5
	v_lshlrev_b64_e32 v[7:8], 2, v[3:4]
	s_wait_alu 0xfffe
	s_add_nc_u64 s[10:11], s[2:3], s[10:11]
	v_max_num_f32_e64 v4, s0, s0
	s_load_b64 s[10:11], s[10:11], 0x0
	v_add_nc_u32_e32 v3, 0xfffff800, v3
	v_add_co_u32 v7, vcc_lo, s6, v7
	s_wait_alu 0xfffd
	v_add_co_ci_u32_e64 v8, null, s7, v8, vcc_lo
	v_readfirstlane_b32 s5, v4
	global_load_b32 v0, v[7:8], off
	s_wait_kmcnt 0x0
	v_max_num_f32_e64 v4, s10, s10
	s_delay_alu instid0(VALU_DEP_1) | instskip(SKIP_1) | instid1(SALU_CYCLE_3)
	v_readfirstlane_b32 s9, v4
	s_max_num_f32 s5, s5, s9
	s_sub_f32 s0, s0, s5
	s_sub_f32 s9, s10, s5
	s_wait_alu 0xfffe
	s_delay_alu instid0(SALU_CYCLE_1) | instskip(NEXT) | instid1(SALU_CYCLE_1)
	s_mul_f32 s10, s0, 0x3fb8aa3b
	s_mul_f32 s12, s9, 0x3fb8aa3b
	s_wait_alu 0xfffe
	s_delay_alu instid0(SALU_CYCLE_1)
	s_xor_b32 s13, s10, 0x80000000
	s_rndne_f32 s14, s10
	s_fmamk_f32 s13, s0, 0x3fb8aa3b, s13
	s_cmp_nlt_f32 s0, 0xc2ce8ed0
	s_rndne_f32 s15, s12
	s_wait_alu 0xfffe
	s_sub_f32 s10, s10, s14
	s_fmamk_f32 s13, s0, 0x32a5705f, s13
	s_cvt_i32_f32 s14, s14
	s_cselect_b32 vcc_lo, -1, 0
	s_cmp_ngt_f32 s0, 0x42b17218
	s_wait_alu 0xfffe
	s_add_f32 s10, s10, s13
	s_sub_f32 s13, s12, s15
	s_wait_alu 0xfffe
	s_delay_alu instid0(SALU_CYCLE_1) | instskip(SKIP_1) | instid1(TRANS32_DEP_1)
	v_s_exp_f32 s10, s10
	s_wait_alu 0xf1ff
	v_ldexp_f32 v4, s10, s14
	s_cvt_i32_f32 s10, s15
	s_delay_alu instid0(VALU_DEP_1) | instskip(SKIP_3) | instid1(VALU_DEP_1)
	v_cndmask_b32_e32 v4, 0, v4, vcc_lo
	s_cselect_b32 vcc_lo, -1, 0
	s_cmp_ge_f32 s0, 0xc1a00000
	s_wait_alu 0xfffe
	v_cndmask_b32_e32 v4, 0x7f800000, v4, vcc_lo
	s_cselect_b32 vcc_lo, -1, 0
	s_xor_b32 s0, s12, 0x80000000
	s_cmp_nlt_f32 s9, 0xc2ce8ed0
	s_wait_alu 0xfffe
	s_fmamk_f32 s0, s9, 0x3fb8aa3b, s0
	s_wait_alu 0xfffe
	s_delay_alu instid0(SALU_CYCLE_2) | instskip(SKIP_1) | instid1(SALU_CYCLE_2)
	s_fmamk_f32 s0, s9, 0x32a5705f, s0
	s_wait_alu 0xfffe
	s_add_f32 s0, s13, s0
	s_wait_alu 0xfffe
	s_delay_alu instid0(SALU_CYCLE_2) | instskip(SKIP_1) | instid1(TRANS32_DEP_1)
	v_s_exp_f32 s0, s0
	s_wait_alu 0xf1ff
	v_ldexp_f32 v7, s0, s10
	s_cselect_b32 s0, -1, 0
	s_cmp_ngt_f32 s9, 0x42b17218
	s_wait_alu 0xfffe
	s_delay_alu instid0(VALU_DEP_1) | instskip(SKIP_3) | instid1(VALU_DEP_1)
	v_cndmask_b32_e64 v7, 0, v7, s0
	s_cselect_b32 s0, -1, 0
	s_cmp_ge_f32 s9, 0xc1a00000
	s_wait_alu 0xfffe
	v_cndmask_b32_e64 v7, 0x7f800000, v7, s0
	s_cselect_b32 s0, -1, 0
	s_add_co_i32 s1, s1, -1
	s_sub_co_i32 s4, s4, 32
	s_wait_alu 0xfffe
	s_cmp_le_i32 s1, s8
	v_cndmask_b32_e64 v7, 0, v7, s0
	s_mov_b32 s0, s5
	s_wait_loadcnt 0x0
	s_delay_alu instid0(VALU_DEP_1) | instskip(NEXT) | instid1(VALU_DEP_1)
	v_dual_mul_f32 v5, v0, v7 :: v_dual_cndmask_b32 v4, 0, v4
	v_dual_mul_f32 v8, s11, v7 :: v_dual_fmac_f32 v5, v9, v4
	s_delay_alu instid0(VALU_DEP_1) | instskip(NEXT) | instid1(VALU_DEP_1)
	v_mov_b32_e32 v6, v8
	v_fmac_f32_e32 v6, v10, v4
	s_cbranch_scc0 .LBB7_3
	s_branch .LBB7_5
.LBB7_4:
	s_wait_kmcnt 0x0
	v_mov_b32_e32 v6, s11
.LBB7_5:
	s_wait_loadcnt 0x0
	s_delay_alu instid0(VALU_DEP_1) | instskip(NEXT) | instid1(VALU_DEP_1)
	v_div_scale_f32 v0, null, v6, v6, v5
	v_rcp_f32_e32 v3, v0
	s_delay_alu instid0(TRANS32_DEP_1) | instskip(NEXT) | instid1(VALU_DEP_1)
	v_fma_f32 v4, -v0, v3, 1.0
	v_fmac_f32_e32 v3, v4, v3
	v_div_scale_f32 v4, vcc_lo, v5, v6, v5
	s_delay_alu instid0(VALU_DEP_1) | instskip(NEXT) | instid1(VALU_DEP_1)
	v_mul_f32_e32 v7, v4, v3
	v_fma_f32 v8, -v0, v7, v4
	s_delay_alu instid0(VALU_DEP_1) | instskip(NEXT) | instid1(VALU_DEP_1)
	v_fmac_f32_e32 v7, v8, v3
	v_fma_f32 v0, -v0, v7, v4
	s_wait_alu 0xfffd
	s_delay_alu instid0(VALU_DEP_1) | instskip(NEXT) | instid1(VALU_DEP_1)
	v_div_fmas_f32 v0, v0, v3, v7
	v_div_fixup_f32 v0, v0, v6, v5
	global_store_b32 v[1:2], v0, off
.LBB7_6:
	s_endpgm
	.section	.rodata,"a",@progbits
	.p2align	6, 0x0
	.amdhsa_kernel _ZL33flash_attn_stream_k_fixup_uniformILi64ELi4ELi8EEvPfPK15HIP_vector_typeIfLj2EEiiiiiiS1_IjLj3EES5_S5_
		.amdhsa_group_segment_fixed_size 0
		.amdhsa_private_segment_fixed_size 0
		.amdhsa_kernarg_size 76
		.amdhsa_user_sgpr_count 2
		.amdhsa_user_sgpr_dispatch_ptr 0
		.amdhsa_user_sgpr_queue_ptr 0
		.amdhsa_user_sgpr_kernarg_segment_ptr 1
		.amdhsa_user_sgpr_dispatch_id 0
		.amdhsa_user_sgpr_private_segment_size 0
		.amdhsa_wavefront_size32 1
		.amdhsa_uses_dynamic_stack 0
		.amdhsa_enable_private_segment 0
		.amdhsa_system_sgpr_workgroup_id_x 1
		.amdhsa_system_sgpr_workgroup_id_y 1
		.amdhsa_system_sgpr_workgroup_id_z 1
		.amdhsa_system_sgpr_workgroup_info 0
		.amdhsa_system_vgpr_workitem_id 0
		.amdhsa_next_free_vgpr 11
		.amdhsa_next_free_sgpr 16
		.amdhsa_reserve_vcc 1
		.amdhsa_float_round_mode_32 0
		.amdhsa_float_round_mode_16_64 0
		.amdhsa_float_denorm_mode_32 3
		.amdhsa_float_denorm_mode_16_64 3
		.amdhsa_fp16_overflow 0
		.amdhsa_workgroup_processor_mode 1
		.amdhsa_memory_ordered 1
		.amdhsa_forward_progress 1
		.amdhsa_inst_pref_size 9
		.amdhsa_round_robin_scheduling 0
		.amdhsa_exception_fp_ieee_invalid_op 0
		.amdhsa_exception_fp_denorm_src 0
		.amdhsa_exception_fp_ieee_div_zero 0
		.amdhsa_exception_fp_ieee_overflow 0
		.amdhsa_exception_fp_ieee_underflow 0
		.amdhsa_exception_fp_ieee_inexact 0
		.amdhsa_exception_int_div_zero 0
	.end_amdhsa_kernel
	.section	.text._ZL33flash_attn_stream_k_fixup_uniformILi64ELi4ELi8EEvPfPK15HIP_vector_typeIfLj2EEiiiiiiS1_IjLj3EES5_S5_,"axG",@progbits,_ZL33flash_attn_stream_k_fixup_uniformILi64ELi4ELi8EEvPfPK15HIP_vector_typeIfLj2EEiiiiiiS1_IjLj3EES5_S5_,comdat
.Lfunc_end7:
	.size	_ZL33flash_attn_stream_k_fixup_uniformILi64ELi4ELi8EEvPfPK15HIP_vector_typeIfLj2EEiiiiiiS1_IjLj3EES5_S5_, .Lfunc_end7-_ZL33flash_attn_stream_k_fixup_uniformILi64ELi4ELi8EEvPfPK15HIP_vector_typeIfLj2EEiiiiiiS1_IjLj3EES5_S5_
                                        ; -- End function
	.set _ZL33flash_attn_stream_k_fixup_uniformILi64ELi4ELi8EEvPfPK15HIP_vector_typeIfLj2EEiiiiiiS1_IjLj3EES5_S5_.num_vgpr, 11
	.set _ZL33flash_attn_stream_k_fixup_uniformILi64ELi4ELi8EEvPfPK15HIP_vector_typeIfLj2EEiiiiiiS1_IjLj3EES5_S5_.num_agpr, 0
	.set _ZL33flash_attn_stream_k_fixup_uniformILi64ELi4ELi8EEvPfPK15HIP_vector_typeIfLj2EEiiiiiiS1_IjLj3EES5_S5_.numbered_sgpr, 16
	.set _ZL33flash_attn_stream_k_fixup_uniformILi64ELi4ELi8EEvPfPK15HIP_vector_typeIfLj2EEiiiiiiS1_IjLj3EES5_S5_.num_named_barrier, 0
	.set _ZL33flash_attn_stream_k_fixup_uniformILi64ELi4ELi8EEvPfPK15HIP_vector_typeIfLj2EEiiiiiiS1_IjLj3EES5_S5_.private_seg_size, 0
	.set _ZL33flash_attn_stream_k_fixup_uniformILi64ELi4ELi8EEvPfPK15HIP_vector_typeIfLj2EEiiiiiiS1_IjLj3EES5_S5_.uses_vcc, 1
	.set _ZL33flash_attn_stream_k_fixup_uniformILi64ELi4ELi8EEvPfPK15HIP_vector_typeIfLj2EEiiiiiiS1_IjLj3EES5_S5_.uses_flat_scratch, 0
	.set _ZL33flash_attn_stream_k_fixup_uniformILi64ELi4ELi8EEvPfPK15HIP_vector_typeIfLj2EEiiiiiiS1_IjLj3EES5_S5_.has_dyn_sized_stack, 0
	.set _ZL33flash_attn_stream_k_fixup_uniformILi64ELi4ELi8EEvPfPK15HIP_vector_typeIfLj2EEiiiiiiS1_IjLj3EES5_S5_.has_recursion, 0
	.set _ZL33flash_attn_stream_k_fixup_uniformILi64ELi4ELi8EEvPfPK15HIP_vector_typeIfLj2EEiiiiiiS1_IjLj3EES5_S5_.has_indirect_call, 0
	.section	.AMDGPU.csdata,"",@progbits
; Kernel info:
; codeLenInByte = 1140
; TotalNumSgprs: 18
; NumVgprs: 11
; ScratchSize: 0
; MemoryBound: 0
; FloatMode: 240
; IeeeMode: 1
; LDSByteSize: 0 bytes/workgroup (compile time only)
; SGPRBlocks: 0
; VGPRBlocks: 1
; NumSGPRsForWavesPerEU: 18
; NumVGPRsForWavesPerEU: 11
; Occupancy: 16
; WaveLimiterHint : 0
; COMPUTE_PGM_RSRC2:SCRATCH_EN: 0
; COMPUTE_PGM_RSRC2:USER_SGPR: 2
; COMPUTE_PGM_RSRC2:TRAP_HANDLER: 0
; COMPUTE_PGM_RSRC2:TGID_X_EN: 1
; COMPUTE_PGM_RSRC2:TGID_Y_EN: 1
; COMPUTE_PGM_RSRC2:TGID_Z_EN: 1
; COMPUTE_PGM_RSRC2:TIDIG_COMP_CNT: 0
	.section	.text._ZL33flash_attn_stream_k_fixup_generalILi64ELi4ELi8EEvPfPK15HIP_vector_typeIfLj2EEiiiiS1_IjLj3EES5_S5_S5_,"axG",@progbits,_ZL33flash_attn_stream_k_fixup_generalILi64ELi4ELi8EEvPfPK15HIP_vector_typeIfLj2EEiiiiS1_IjLj3EES5_S5_S5_,comdat
	.globl	_ZL33flash_attn_stream_k_fixup_generalILi64ELi4ELi8EEvPfPK15HIP_vector_typeIfLj2EEiiiiS1_IjLj3EES5_S5_S5_ ; -- Begin function _ZL33flash_attn_stream_k_fixup_generalILi64ELi4ELi8EEvPfPK15HIP_vector_typeIfLj2EEiiiiS1_IjLj3EES5_S5_S5_
	.p2align	8
	.type	_ZL33flash_attn_stream_k_fixup_generalILi64ELi4ELi8EEvPfPK15HIP_vector_typeIfLj2EEiiiiS1_IjLj3EES5_S5_S5_,@function
_ZL33flash_attn_stream_k_fixup_generalILi64ELi4ELi8EEvPfPK15HIP_vector_typeIfLj2EEiiiiS1_IjLj3EES5_S5_S5_: ; @_ZL33flash_attn_stream_k_fixup_generalILi64ELi4ELi8EEvPfPK15HIP_vector_typeIfLj2EEiiiiS1_IjLj3EES5_S5_S5_
; %bb.0:
	s_clause 0x1
	s_load_b128 s[4:7], s[0:1], 0x10
	s_load_b32 s16, s[0:1], 0x50
	s_mov_b32 s2, ttmp9
	s_ashr_i32 s3, ttmp9, 31
	s_mov_b32 s17, 0
	s_delay_alu instid0(SALU_CYCLE_1) | instskip(SKIP_3) | instid1(SALU_CYCLE_1)
	s_mov_b32 s8, s17
	s_wait_kmcnt 0x0
	s_ashr_i32 s19, s7, 31
	s_mov_b32 s18, s7
	s_mul_u64 s[2:3], s[18:19], s[2:3]
	s_delay_alu instid0(SALU_CYCLE_1) | instskip(NEXT) | instid1(SALU_CYCLE_1)
	s_mov_b32 s9, s3
	s_cmp_lg_u64 s[8:9], 0
	s_cbranch_scc0 .LBB8_21
; %bb.1:
	s_add_nc_u64 s[8:9], s[16:17], 0
	s_mov_b32 s15, s17
	s_xor_b64 s[8:9], s[8:9], 0
	s_mov_b32 s23, s17
	s_cvt_f32_u32 s7, s8
	s_cvt_f32_u32 s10, s9
	s_sub_nc_u64 s[12:13], 0, s[8:9]
	s_delay_alu instid0(SALU_CYCLE_2) | instskip(NEXT) | instid1(SALU_CYCLE_3)
	s_fmamk_f32 s7, s10, 0x4f800000, s7
	v_s_rcp_f32 s7, s7
	s_delay_alu instid0(TRANS32_DEP_1) | instskip(SKIP_1) | instid1(SALU_CYCLE_2)
	s_mul_f32 s7, s7, 0x5f7ffffc
	s_wait_alu 0xfffe
	s_mul_f32 s10, s7, 0x2f800000
	s_delay_alu instid0(SALU_CYCLE_3) | instskip(NEXT) | instid1(SALU_CYCLE_3)
	s_trunc_f32 s10, s10
	s_fmamk_f32 s7, s10, 0xcf800000, s7
	s_cvt_u32_f32 s11, s10
	s_wait_alu 0xfffe
	s_delay_alu instid0(SALU_CYCLE_1) | instskip(NEXT) | instid1(SALU_CYCLE_3)
	s_cvt_u32_f32 s10, s7
	s_mul_u64 s[20:21], s[12:13], s[10:11]
	s_delay_alu instid0(SALU_CYCLE_1)
	s_mul_hi_u32 s25, s10, s21
	s_mul_i32 s24, s10, s21
	s_mul_hi_u32 s14, s10, s20
	s_mul_i32 s22, s11, s20
	s_add_nc_u64 s[14:15], s[14:15], s[24:25]
	s_mul_hi_u32 s7, s11, s20
	s_mul_hi_u32 s26, s11, s21
	s_add_co_u32 s14, s14, s22
	s_wait_alu 0xfffe
	s_add_co_ci_u32 s22, s15, s7
	s_mul_i32 s20, s11, s21
	s_add_co_ci_u32 s21, s26, 0
	s_delay_alu instid0(SALU_CYCLE_1)
	s_add_nc_u64 s[14:15], s[22:23], s[20:21]
	s_mov_b32 s21, s17
	s_add_co_u32 s10, s10, s14
	s_cselect_b32 s7, -1, 0
	s_wait_alu 0xfffe
	s_cmp_lg_u32 s7, 0
	s_add_co_ci_u32 s11, s11, s15
	s_mov_b32 s15, s17
	s_mul_u64 s[12:13], s[12:13], s[10:11]
	s_delay_alu instid0(SALU_CYCLE_1)
	s_mul_hi_u32 s23, s10, s13
	s_mul_i32 s22, s10, s13
	s_mul_hi_u32 s14, s10, s12
	s_mul_i32 s20, s11, s12
	s_add_nc_u64 s[14:15], s[14:15], s[22:23]
	s_mul_hi_u32 s7, s11, s12
	s_mul_hi_u32 s24, s11, s13
	s_mul_i32 s12, s11, s13
	s_add_co_u32 s13, s14, s20
	s_wait_alu 0xfffe
	s_add_co_ci_u32 s20, s15, s7
	s_add_co_ci_u32 s13, s24, 0
	s_mov_b32 s15, s17
	s_add_nc_u64 s[12:13], s[20:21], s[12:13]
	s_delay_alu instid0(SALU_CYCLE_1) | instskip(SKIP_1) | instid1(SALU_CYCLE_1)
	s_add_co_u32 s7, s10, s12
	s_cselect_b32 s10, -1, 0
	s_cmp_lg_u32 s10, 0
	s_add_co_ci_u32 s20, s11, s13
	s_ashr_i32 s10, s3, 31
	s_delay_alu instid0(SALU_CYCLE_1) | instskip(NEXT) | instid1(SALU_CYCLE_1)
	s_mov_b32 s11, s10
	s_add_nc_u64 s[12:13], s[2:3], s[10:11]
	s_delay_alu instid0(SALU_CYCLE_1) | instskip(NEXT) | instid1(SALU_CYCLE_1)
	s_xor_b64 s[12:13], s[12:13], s[10:11]
	s_mul_hi_u32 s23, s12, s20
	s_mul_i32 s22, s12, s20
	s_wait_alu 0xfffe
	s_mul_hi_u32 s14, s12, s7
	s_mul_hi_u32 s24, s13, s7
	s_mul_i32 s7, s13, s7
	s_add_nc_u64 s[14:15], s[14:15], s[22:23]
	s_mul_hi_u32 s3, s13, s20
	s_wait_alu 0xfffe
	s_add_co_u32 s7, s14, s7
	s_mul_i32 s22, s13, s20
	s_add_co_ci_u32 s20, s15, s24
	s_add_co_ci_u32 s23, s3, 0
	s_delay_alu instid0(SALU_CYCLE_1) | instskip(NEXT) | instid1(SALU_CYCLE_1)
	s_add_nc_u64 s[14:15], s[20:21], s[22:23]
	s_mul_u64 s[20:21], s[8:9], s[14:15]
	s_delay_alu instid0(SALU_CYCLE_1)
	s_sub_co_u32 s3, s12, s20
	s_cselect_b32 s7, -1, 0
	s_sub_co_i32 s12, s13, s21
	s_wait_alu 0xfffe
	s_cmp_lg_u32 s7, 0
	s_sub_co_ci_u32 s12, s12, s9
	s_sub_co_u32 s20, s3, s8
	s_cselect_b32 s22, -1, 0
	s_delay_alu instid0(SALU_CYCLE_1) | instskip(SKIP_2) | instid1(SALU_CYCLE_1)
	s_cmp_lg_u32 s22, 0
	s_add_nc_u64 s[22:23], s[14:15], 1
	s_sub_co_ci_u32 s12, s12, 0
	s_cmp_ge_u32 s12, s9
	s_cselect_b32 s24, -1, 0
	s_cmp_ge_u32 s20, s8
	s_cselect_b32 s20, -1, 0
	s_cmp_eq_u32 s12, s9
	s_cselect_b32 s12, s20, s24
	s_add_nc_u64 s[24:25], s[14:15], 2
	s_cmp_lg_u32 s12, 0
	s_cselect_b32 s12, s24, s22
	s_cselect_b32 s20, s25, s23
	s_cmp_lg_u32 s7, 0
	s_sub_co_ci_u32 s7, s13, s21
	s_wait_alu 0xfffe
	s_cmp_ge_u32 s7, s9
	s_cselect_b32 s13, -1, 0
	s_cmp_ge_u32 s3, s8
	s_cselect_b32 s3, -1, 0
	s_cmp_eq_u32 s7, s9
	s_cselect_b32 s3, s3, s13
	s_delay_alu instid0(SALU_CYCLE_1) | instskip(SKIP_4) | instid1(SALU_CYCLE_1)
	s_cmp_lg_u32 s3, 0
	s_mov_b32 s3, s17
	s_cselect_b32 s9, s20, s15
	s_cselect_b32 s8, s12, s14
	s_xor_b64 s[10:11], s[10:11], 0
	s_xor_b64 s[8:9], s[8:9], s[10:11]
	s_delay_alu instid0(SALU_CYCLE_1)
	s_sub_nc_u64 s[20:21], s[8:9], s[10:11]
	s_and_not1_b32 vcc_lo, exec_lo, s3
	s_cbranch_vccnz .LBB8_3
.LBB8_2:
	v_cvt_f32_u32_e32 v1, s16
	s_sub_co_i32 s7, 0, s16
	s_delay_alu instid0(VALU_DEP_1) | instskip(NEXT) | instid1(TRANS32_DEP_1)
	v_rcp_iflag_f32_e32 v1, v1
	v_mul_f32_e32 v1, 0x4f7ffffe, v1
	s_delay_alu instid0(VALU_DEP_1) | instskip(NEXT) | instid1(VALU_DEP_1)
	v_cvt_u32_f32_e32 v1, v1
	v_readfirstlane_b32 s3, v1
	s_wait_alu 0xfffe
	s_mul_i32 s7, s7, s3
	s_wait_alu 0xfffe
	s_mul_hi_u32 s7, s3, s7
	s_wait_alu 0xfffe
	s_add_co_i32 s3, s3, s7
	s_delay_alu instid0(SALU_CYCLE_1) | instskip(NEXT) | instid1(SALU_CYCLE_1)
	s_mul_hi_u32 s3, s2, s3
	s_mul_i32 s7, s3, s16
	s_wait_alu 0xfffe
	s_sub_co_i32 s2, s2, s7
	s_add_co_i32 s7, s3, 1
	s_sub_co_i32 s8, s2, s16
	s_cmp_ge_u32 s2, s16
	s_wait_alu 0xfffe
	s_cselect_b32 s3, s7, s3
	s_cselect_b32 s2, s8, s2
	s_add_co_i32 s7, s3, 1
	s_cmp_ge_u32 s2, s16
	s_wait_alu 0xfffe
	s_cselect_b32 s20, s7, s3
.LBB8_3:
	s_add_co_i32 s2, ttmp9, 1
	s_mov_b32 s8, 0
	s_ashr_i32 s3, s2, 31
	s_delay_alu instid0(SALU_CYCLE_1) | instskip(NEXT) | instid1(SALU_CYCLE_1)
	s_mul_u64 s[2:3], s[18:19], s[2:3]
	s_mov_b32 s9, s3
	s_delay_alu instid0(SALU_CYCLE_1)
	s_cmp_lg_u64 s[8:9], 0
	s_cbranch_scc0 .LBB8_22
; %bb.4:
	s_add_nc_u64 s[10:11], s[16:17], 0
	s_mov_b32 s23, s8
	s_xor_b64 s[10:11], s[10:11], 0
	s_mov_b32 s27, s8
	s_cvt_f32_u32 s7, s10
	s_cvt_f32_u32 s9, s11
	s_sub_nc_u64 s[14:15], 0, s[10:11]
	s_wait_alu 0xfffe
	s_delay_alu instid0(SALU_CYCLE_1) | instskip(SKIP_1) | instid1(SALU_CYCLE_2)
	s_fmamk_f32 s7, s9, 0x4f800000, s7
	s_wait_alu 0xfffe
	v_s_rcp_f32 s7, s7
	s_delay_alu instid0(TRANS32_DEP_1) | instskip(SKIP_1) | instid1(SALU_CYCLE_2)
	s_mul_f32 s7, s7, 0x5f7ffffc
	s_wait_alu 0xfffe
	s_mul_f32 s9, s7, 0x2f800000
	s_delay_alu instid0(SALU_CYCLE_3) | instskip(NEXT) | instid1(SALU_CYCLE_3)
	s_trunc_f32 s9, s9
	s_fmamk_f32 s7, s9, 0xcf800000, s7
	s_cvt_u32_f32 s13, s9
	s_wait_alu 0xfffe
	s_delay_alu instid0(SALU_CYCLE_1) | instskip(NEXT) | instid1(SALU_CYCLE_3)
	s_cvt_u32_f32 s12, s7
	s_mul_u64 s[24:25], s[14:15], s[12:13]
	s_delay_alu instid0(SALU_CYCLE_1)
	s_mul_hi_u32 s29, s12, s25
	s_mul_i32 s28, s12, s25
	s_mul_hi_u32 s22, s12, s24
	s_mul_i32 s9, s13, s24
	s_add_nc_u64 s[22:23], s[22:23], s[28:29]
	s_mul_hi_u32 s7, s13, s24
	s_mul_hi_u32 s21, s13, s25
	s_add_co_u32 s9, s22, s9
	s_wait_alu 0xfffe
	s_add_co_ci_u32 s26, s23, s7
	s_mul_i32 s24, s13, s25
	s_add_co_ci_u32 s25, s21, 0
	s_delay_alu instid0(SALU_CYCLE_1)
	s_add_nc_u64 s[22:23], s[26:27], s[24:25]
	s_mov_b32 s25, s8
	s_add_co_u32 s12, s12, s22
	s_cselect_b32 s7, -1, 0
	s_wait_alu 0xfffe
	s_cmp_lg_u32 s7, 0
	s_add_co_ci_u32 s13, s13, s23
	s_mov_b32 s23, s8
	s_mul_u64 s[14:15], s[14:15], s[12:13]
	s_delay_alu instid0(SALU_CYCLE_1)
	s_mul_hi_u32 s27, s12, s15
	s_mul_i32 s26, s12, s15
	s_mul_hi_u32 s22, s12, s14
	s_mul_i32 s9, s13, s14
	s_add_nc_u64 s[22:23], s[22:23], s[26:27]
	s_mul_hi_u32 s7, s13, s14
	s_mul_hi_u32 s21, s13, s15
	s_add_co_u32 s9, s22, s9
	s_wait_alu 0xfffe
	s_add_co_ci_u32 s24, s23, s7
	s_mul_i32 s14, s13, s15
	s_add_co_ci_u32 s15, s21, 0
	s_mov_b32 s23, s8
	s_add_nc_u64 s[14:15], s[24:25], s[14:15]
	s_delay_alu instid0(SALU_CYCLE_1) | instskip(SKIP_1) | instid1(SALU_CYCLE_1)
	s_add_co_u32 s7, s12, s14
	s_cselect_b32 s9, -1, 0
	s_cmp_lg_u32 s9, 0
	s_add_co_ci_u32 s9, s13, s15
	s_ashr_i32 s12, s3, 31
	s_delay_alu instid0(SALU_CYCLE_1) | instskip(NEXT) | instid1(SALU_CYCLE_1)
	s_mov_b32 s13, s12
	s_add_nc_u64 s[14:15], s[2:3], s[12:13]
	s_delay_alu instid0(SALU_CYCLE_1) | instskip(NEXT) | instid1(SALU_CYCLE_1)
	s_xor_b64 s[14:15], s[14:15], s[12:13]
	s_mul_hi_u32 s27, s14, s9
	s_mul_i32 s26, s14, s9
	s_wait_alu 0xfffe
	s_mul_hi_u32 s22, s14, s7
	s_mul_hi_u32 s21, s15, s7
	s_mul_i32 s7, s15, s7
	s_add_nc_u64 s[22:23], s[22:23], s[26:27]
	s_mul_hi_u32 s3, s15, s9
	s_wait_alu 0xfffe
	s_add_co_u32 s7, s22, s7
	s_add_co_ci_u32 s24, s23, s21
	s_mul_i32 s26, s15, s9
	s_add_co_ci_u32 s27, s3, 0
	s_delay_alu instid0(SALU_CYCLE_1) | instskip(NEXT) | instid1(SALU_CYCLE_1)
	s_add_nc_u64 s[22:23], s[24:25], s[26:27]
	s_mul_u64 s[24:25], s[10:11], s[22:23]
	s_add_nc_u64 s[26:27], s[22:23], 1
	s_sub_co_u32 s3, s14, s24
	s_cselect_b32 s7, -1, 0
	s_sub_co_i32 s9, s15, s25
	s_wait_alu 0xfffe
	s_cmp_lg_u32 s7, 0
	s_add_nc_u64 s[28:29], s[22:23], 2
	s_sub_co_ci_u32 s9, s9, s11
	s_sub_co_u32 s14, s3, s10
	s_cselect_b32 s21, -1, 0
	s_delay_alu instid0(SALU_CYCLE_1) | instskip(SKIP_1) | instid1(SALU_CYCLE_1)
	s_cmp_lg_u32 s21, 0
	s_sub_co_ci_u32 s9, s9, 0
	s_cmp_ge_u32 s9, s11
	s_cselect_b32 s21, -1, 0
	s_cmp_ge_u32 s14, s10
	s_cselect_b32 s14, -1, 0
	s_cmp_eq_u32 s9, s11
	s_cselect_b32 s9, s14, s21
	s_delay_alu instid0(SALU_CYCLE_1)
	s_cmp_lg_u32 s9, 0
	s_cselect_b32 s9, s28, s26
	s_cselect_b32 s14, s29, s27
	s_cmp_lg_u32 s7, 0
	s_sub_co_ci_u32 s7, s15, s25
	s_wait_alu 0xfffe
	s_cmp_ge_u32 s7, s11
	s_cselect_b32 s15, -1, 0
	s_cmp_ge_u32 s3, s10
	s_cselect_b32 s3, -1, 0
	s_cmp_eq_u32 s7, s11
	s_cselect_b32 s3, s3, s15
	s_delay_alu instid0(SALU_CYCLE_1) | instskip(SKIP_3) | instid1(SALU_CYCLE_1)
	s_cmp_lg_u32 s3, 0
	s_cselect_b32 s11, s14, s23
	s_cselect_b32 s10, s9, s22
	s_xor_b64 s[12:13], s[12:13], 0
	s_xor_b64 s[10:11], s[10:11], s[12:13]
	s_delay_alu instid0(SALU_CYCLE_1)
	s_sub_nc_u64 s[10:11], s[10:11], s[12:13]
	s_load_b96 s[12:14], s[0:1], 0x44
	s_and_not1_b32 vcc_lo, exec_lo, s8
	s_cbranch_vccnz .LBB8_6
.LBB8_5:
	v_cvt_f32_u32_e32 v1, s16
	s_sub_co_i32 s7, 0, s16
	s_delay_alu instid0(VALU_DEP_1) | instskip(NEXT) | instid1(TRANS32_DEP_1)
	v_rcp_iflag_f32_e32 v1, v1
	v_mul_f32_e32 v1, 0x4f7ffffe, v1
	s_delay_alu instid0(VALU_DEP_1) | instskip(NEXT) | instid1(VALU_DEP_1)
	v_cvt_u32_f32_e32 v1, v1
	v_readfirstlane_b32 s3, v1
	s_wait_alu 0xfffe
	s_mul_i32 s7, s7, s3
	s_wait_alu 0xfffe
	s_mul_hi_u32 s7, s3, s7
	s_wait_alu 0xfffe
	s_add_co_i32 s3, s3, s7
	s_delay_alu instid0(SALU_CYCLE_1) | instskip(NEXT) | instid1(SALU_CYCLE_1)
	s_mul_hi_u32 s3, s2, s3
	s_mul_i32 s7, s3, s16
	s_wait_alu 0xfffe
	s_sub_co_i32 s2, s2, s7
	s_add_co_i32 s7, s3, 1
	s_sub_co_i32 s8, s2, s16
	s_cmp_ge_u32 s2, s16
	s_wait_alu 0xfffe
	s_cselect_b32 s3, s7, s3
	s_cselect_b32 s2, s8, s2
	s_add_co_i32 s7, s3, 1
	s_cmp_ge_u32 s2, s16
	s_wait_alu 0xfffe
	s_cselect_b32 s10, s7, s3
.LBB8_6:
	s_mov_b32 s21, 0
	s_wait_kmcnt 0x0
	s_mov_b32 s22, s12
	s_mov_b32 s23, s21
	s_cmp_eq_u32 s20, s10
	s_mul_u64 s[2:3], s[20:21], s[22:23]
	s_cselect_b32 s7, -1, 0
	s_add_co_i32 s2, s3, s20
	s_mov_b32 s11, s21
	s_lshr_b32 s12, s2, s13
	s_mul_u64 s[2:3], s[10:11], s[22:23]
	s_mul_i32 s2, s12, s14
	s_delay_alu instid0(SALU_CYCLE_1) | instskip(SKIP_2) | instid1(SALU_CYCLE_1)
	s_cmp_eq_u32 s2, s20
	s_cselect_b32 s2, -1, 0
	s_add_co_i32 s3, s3, s10
	s_lshr_b32 s3, s3, s13
	s_delay_alu instid0(SALU_CYCLE_1)
	s_cmp_eq_u32 s12, s3
	s_mul_i32 s3, s3, s14
	s_cselect_b32 s8, -1, 0
	s_cmp_lg_u32 s3, s10
	s_cselect_b32 s3, -1, 0
	s_wait_alu 0xfffe
	s_or_b32 s2, s7, s2
	s_and_b32 s3, s8, s3
	s_delay_alu instid0(SALU_CYCLE_1) | instskip(NEXT) | instid1(SALU_CYCLE_1)
	s_or_b32 s2, s2, s3
	s_and_b32 vcc_lo, exec_lo, s2
	s_cbranch_vccnz .LBB8_24
; %bb.7:
	s_load_b256 s[24:31], s[0:1], 0x20
	s_mov_b32 s3, s21
	s_wait_kmcnt 0x0
	s_mov_b32 s2, s24
	s_delay_alu instid0(SALU_CYCLE_1) | instskip(NEXT) | instid1(SALU_CYCLE_1)
	s_mul_u64 s[2:3], s[20:21], s[2:3]
	s_add_co_i32 s2, s3, s20
	s_delay_alu instid0(SALU_CYCLE_1) | instskip(SKIP_2) | instid1(SALU_CYCLE_1)
	s_lshr_b32 s7, s2, s25
	s_load_b32 s2, s[0:1], 0x40
	s_mul_i32 s3, s7, s26
	s_sub_co_i32 s3, s20, s3
	s_delay_alu instid0(SALU_CYCLE_1) | instskip(NEXT) | instid1(SALU_CYCLE_1)
	s_mul_hi_u32 s8, s3, s27
	s_add_co_i32 s8, s3, s8
	s_delay_alu instid0(SALU_CYCLE_1) | instskip(NEXT) | instid1(SALU_CYCLE_1)
	s_lshr_b32 s8, s8, s28
	s_mul_i32 s9, s8, s29
	s_delay_alu instid0(SALU_CYCLE_1) | instskip(NEXT) | instid1(SALU_CYCLE_1)
	s_sub_co_i32 s9, s3, s9
	s_mul_hi_u32 s3, s9, s30
	s_delay_alu instid0(SALU_CYCLE_1) | instskip(NEXT) | instid1(SALU_CYCLE_1)
	s_add_co_i32 s3, s9, s3
	s_lshr_b32 s24, s3, s31
	s_mov_b32 s3, s21
	s_wait_kmcnt 0x0
	s_mul_i32 s2, s24, s2
	s_lshl_b32 s21, s24, 3
	s_sub_co_i32 s2, s9, s2
	s_delay_alu instid0(SALU_CYCLE_1) | instskip(SKIP_2) | instid1(SALU_CYCLE_1)
	s_mul_u64 s[10:11], s[2:3], s[22:23]
	s_lshr_b32 s3, ttmp7, 16
	s_add_co_i32 s2, s2, s11
	s_lshr_b32 s15, s2, s13
	s_and_b32 s2, ttmp7, 0xffff
	s_lshl_b32 s9, s15, 2
	s_delay_alu instid0(SALU_CYCLE_1) | instskip(NEXT) | instid1(SALU_CYCLE_1)
	s_add_co_i32 s9, s9, s2
	s_cmp_lt_i32 s9, s4
	s_cselect_b32 s9, -1, 0
	s_add_co_i32 s10, s21, s3
	s_delay_alu instid0(SALU_CYCLE_1) | instskip(SKIP_1) | instid1(SALU_CYCLE_1)
	s_cmp_lt_i32 s10, s6
	s_cselect_b32 s10, -1, 0
	s_and_b32 s9, s9, s10
	s_delay_alu instid0(SALU_CYCLE_1)
	s_and_not1_b32 vcc_lo, exec_lo, s9
	s_cbranch_vccnz .LBB8_24
; %bb.8:
	s_mul_i32 s4, s7, s4
	s_mul_i32 s6, s8, s6
	s_add_co_i32 s4, s4, s2
	s_load_b128 s[8:11], s[0:1], 0x0
	s_mul_i32 s4, s4, s5
	s_mul_i32 s1, s5, s15
	s_add_co_i32 s4, s4, s3
	s_lshl_b32 s1, s1, 8
	s_add_co_i32 s0, s4, s6
	s_lshl_b32 s15, s2, 3
	s_add_co_i32 s0, s0, s21
	s_add_co_i32 s15, s15, s3
	s_lshl_b32 s0, s0, 6
	v_cvt_f32_u32_e32 v4, s16
	s_add_co_i32 s1, s1, s0
	s_add_co_i32 s34, ttmp9, -1
	v_or_b32_e32 v1, s1, v0
	s_add_nc_u64 s[0:1], s[16:17], 0
	v_rcp_iflag_f32_e32 v4, v4
	s_wait_alu 0xfffe
	s_xor_b64 s[6:7], s[0:1], 0
	s_lshl_b32 s0, ttmp9, 5
	v_ashrrev_i32_e32 v2, 31, v1
	s_wait_alu 0xfffe
	s_cvt_f32_u32 s1, s6
	s_cvt_f32_u32 s2, s7
	s_add_co_i32 s0, s15, s0
	v_lshl_or_b32 v0, s15, 6, v0
	v_lshlrev_b64_e32 v[1:2], 2, v[1:2]
	s_wait_alu 0xfffe
	s_fmamk_f32 s2, s2, 0x4f800000, s1
	s_ashr_i32 s1, s0, 31
	s_sub_nc_u64 s[30:31], 0, s[6:7]
	s_wait_alu 0xfffe
	s_lshl_b64 s[0:1], s[0:1], 3
	v_s_rcp_f32 s2, s2
	s_wait_kmcnt 0x0
	v_add_co_u32 v1, vcc_lo, s8, v1
	s_delay_alu instid0(VALU_DEP_1)
	v_add_co_ci_u32_e64 v2, null, s9, v2, vcc_lo
	s_wait_alu 0xfffe
	s_add_nc_u64 s[0:1], s[10:11], s[0:1]
	s_mov_b32 s8, 0
	s_load_b64 s[26:27], s[0:1], 0x0
	global_load_b32 v3, v[1:2], off
	s_mul_f32 s2, s2, 0x5f7ffffc
	v_mul_f32_e32 v4, 0x4f7ffffe, v4
	s_lshl_b32 s0, s16, 7
	s_wait_alu 0xfffe
	s_mul_f32 s1, s2, 0x2f800000
	s_wait_alu 0xfffe
	s_delay_alu instid0(SALU_CYCLE_2)
	s_trunc_f32 s3, s1
	s_mov_b32 s1, s8
	s_wait_alu 0xfffe
	s_lshl_b64 s[0:1], s[0:1], 2
	s_fmamk_f32 s2, s3, 0xcf800000, s2
	s_cvt_u32_f32 s29, s3
	s_wait_alu 0xfffe
	s_add_nc_u64 s[24:25], s[10:11], s[0:1]
	s_cvt_u32_f32 s28, s2
	s_wait_kmcnt 0x0
	v_mov_b32_e32 v5, s27
	v_cvt_u32_f32_e32 v4, v4
.LBB8_9:                                ; =>This Inner Loop Header: Depth=1
	s_wait_alu 0xfffe
	s_ashr_i32 s35, s34, 31
	s_mov_b32 s2, -1
	s_wait_alu 0xfffe
	s_mul_u64 s[0:1], s[34:35], s[18:19]
                                        ; implicit-def: $sgpr38_sgpr39
	s_wait_alu 0xfffe
	s_mov_b32 s9, s1
	s_wait_alu 0xfffe
	s_cmp_lg_u64 s[8:9], 0
	s_cbranch_scc0 .LBB8_11
; %bb.10:                               ;   in Loop: Header=BB8_9 Depth=1
	s_mul_u64 s[2:3], s[30:31], s[28:29]
	s_mov_b32 s37, s8
	s_wait_alu 0xfffe
	s_mul_hi_u32 s5, s28, s3
	s_mul_i32 s4, s28, s3
	s_mul_hi_u32 s36, s28, s2
	s_mul_hi_u32 s9, s29, s2
	s_wait_alu 0xfffe
	s_add_nc_u64 s[4:5], s[36:37], s[4:5]
	s_mul_i32 s2, s29, s2
	s_mul_hi_u32 s17, s29, s3
	s_wait_alu 0xfffe
	s_add_co_u32 s2, s4, s2
	s_add_co_ci_u32 s2, s5, s9
	s_add_co_ci_u32 s5, s17, 0
	s_mul_i32 s4, s29, s3
	s_mov_b32 s3, s8
	s_mov_b32 s39, s8
	s_wait_alu 0xfffe
	s_add_nc_u64 s[2:3], s[2:3], s[4:5]
	s_wait_alu 0xfffe
	s_add_co_u32 s2, s28, s2
	s_cselect_b32 s4, -1, 0
	s_wait_alu 0xfffe
	s_cmp_lg_u32 s4, 0
	s_add_co_ci_u32 s3, s29, s3
	s_wait_alu 0xfffe
	s_mul_u64 s[4:5], s[30:31], s[2:3]
	s_wait_alu 0xfffe
	s_mul_hi_u32 s37, s2, s5
	s_mul_i32 s36, s2, s5
	s_mul_hi_u32 s38, s2, s4
	s_mul_hi_u32 s9, s3, s4
	s_mul_i32 s4, s3, s4
	s_wait_alu 0xfffe
	s_add_nc_u64 s[36:37], s[38:39], s[36:37]
	s_mul_hi_u32 s17, s3, s5
	s_wait_alu 0xfffe
	s_add_co_u32 s4, s36, s4
	s_add_co_ci_u32 s4, s37, s9
	s_add_co_ci_u32 s37, s17, 0
	s_mul_i32 s36, s3, s5
	s_mov_b32 s5, s8
	s_wait_alu 0xfffe
	s_add_nc_u64 s[4:5], s[4:5], s[36:37]
	s_mov_b32 s37, s8
	s_wait_alu 0xfffe
	s_add_co_u32 s9, s2, s4
	s_cselect_b32 s2, -1, 0
	s_wait_alu 0xfffe
	s_cmp_lg_u32 s2, 0
	s_add_co_ci_u32 s17, s3, s5
	s_ashr_i32 s2, s1, 31
	s_wait_alu 0xfffe
	s_mov_b32 s3, s2
	s_wait_alu 0xfffe
	s_add_nc_u64 s[4:5], s[0:1], s[2:3]
	s_wait_alu 0xfffe
	s_xor_b64 s[4:5], s[4:5], s[2:3]
	s_wait_alu 0xfffe
	s_mul_hi_u32 s39, s4, s17
	s_mul_i32 s38, s4, s17
	s_mul_hi_u32 s36, s4, s9
	s_mul_i32 s21, s5, s9
	s_wait_alu 0xfffe
	s_add_nc_u64 s[36:37], s[36:37], s[38:39]
	s_mul_hi_u32 s9, s5, s9
	s_mul_hi_u32 s1, s5, s17
	s_wait_alu 0xfffe
	s_add_co_u32 s21, s36, s21
	s_add_co_ci_u32 s36, s37, s9
	s_add_co_ci_u32 s39, s1, 0
	s_mul_i32 s38, s5, s17
	s_mov_b32 s37, s8
	s_wait_alu 0xfffe
	s_add_nc_u64 s[36:37], s[36:37], s[38:39]
	s_wait_alu 0xfffe
	s_mul_u64 s[38:39], s[6:7], s[36:37]
	s_add_nc_u64 s[40:41], s[36:37], 1
	s_sub_co_u32 s1, s4, s38
	s_cselect_b32 s4, -1, 0
	s_sub_co_i32 s9, s5, s39
	s_wait_alu 0xfffe
	s_cmp_lg_u32 s4, 0
	s_add_nc_u64 s[42:43], s[36:37], 2
	s_sub_co_ci_u32 s9, s9, s7
	s_sub_co_u32 s17, s1, s6
	s_cselect_b32 s21, -1, 0
	s_delay_alu instid0(SALU_CYCLE_1)
	s_cmp_lg_u32 s21, 0
	s_wait_alu 0xfffe
	s_sub_co_ci_u32 s9, s9, 0
	s_wait_alu 0xfffe
	s_cmp_ge_u32 s9, s7
	s_cselect_b32 s21, -1, 0
	s_cmp_ge_u32 s17, s6
	s_cselect_b32 s17, -1, 0
	s_cmp_eq_u32 s9, s7
	s_wait_alu 0xfffe
	s_cselect_b32 s9, s17, s21
	s_wait_alu 0xfffe
	s_cmp_lg_u32 s9, 0
	s_cselect_b32 s9, s42, s40
	s_cselect_b32 s17, s43, s41
	s_cmp_lg_u32 s4, 0
	s_sub_co_ci_u32 s4, s5, s39
	s_wait_alu 0xfffe
	s_cmp_ge_u32 s4, s7
	s_cselect_b32 s5, -1, 0
	s_cmp_ge_u32 s1, s6
	s_cselect_b32 s1, -1, 0
	s_cmp_eq_u32 s4, s7
	s_wait_alu 0xfffe
	s_cselect_b32 s1, s1, s5
	s_wait_alu 0xfffe
	s_cmp_lg_u32 s1, 0
	s_cselect_b32 s5, s17, s37
	s_cselect_b32 s4, s9, s36
	s_xor_b64 s[2:3], s[2:3], 0
	s_wait_alu 0xfffe
	s_xor_b64 s[4:5], s[4:5], s[2:3]
	s_wait_alu 0xfffe
	s_sub_nc_u64 s[38:39], s[4:5], s[2:3]
	s_mov_b32 s2, 0
.LBB8_11:                               ;   in Loop: Header=BB8_9 Depth=1
	s_wait_alu 0xfffe
	s_and_not1_b32 vcc_lo, exec_lo, s2
	s_wait_alu 0xfffe
	s_cbranch_vccnz .LBB8_13
; %bb.12:                               ;   in Loop: Header=BB8_9 Depth=1
	v_readfirstlane_b32 s1, v4
	s_sub_co_i32 s2, 0, s16
	s_wait_alu 0xfffe
	s_mul_i32 s2, s2, s1
	s_wait_alu 0xfffe
	s_mul_hi_u32 s2, s1, s2
	s_wait_alu 0xfffe
	s_add_co_i32 s1, s1, s2
	s_wait_alu 0xfffe
	s_mul_hi_u32 s1, s0, s1
	s_wait_alu 0xfffe
	s_mul_i32 s2, s1, s16
	s_wait_alu 0xfffe
	s_sub_co_i32 s0, s0, s2
	s_add_co_i32 s2, s1, 1
	s_wait_alu 0xfffe
	s_sub_co_i32 s3, s0, s16
	s_cmp_ge_u32 s0, s16
	s_cselect_b32 s1, s2, s1
	s_wait_alu 0xfffe
	s_cselect_b32 s0, s3, s0
	s_add_co_i32 s2, s1, 1
	s_wait_alu 0xfffe
	s_cmp_ge_u32 s0, s16
	s_cselect_b32 s38, s2, s1
.LBB8_13:                               ;   in Loop: Header=BB8_9 Depth=1
	v_readfirstlane_b32 s9, v0
	s_cmp_lg_u32 s20, s38
	s_mov_b32 s0, -1
                                        ; implicit-def: $sgpr21
                                        ; implicit-def: $vgpr6
                                        ; implicit-def: $vgpr7
                                        ; implicit-def: $sgpr17
                                        ; implicit-def: $sgpr27
	s_cbranch_scc1 .LBB8_16
; %bb.14:                               ;   in Loop: Header=BB8_9 Depth=1
	s_wait_alu 0xfffe
	s_and_not1_b32 vcc_lo, exec_lo, s0
	s_wait_alu 0xfffe
	s_cbranch_vccz .LBB8_19
.LBB8_15:                               ;   in Loop: Header=BB8_9 Depth=1
	s_and_not1_b32 vcc_lo, exec_lo, s21
	s_wait_alu 0xfffe
	s_cbranch_vccnz .LBB8_20
	s_branch .LBB8_23
.LBB8_16:                               ;   in Loop: Header=BB8_9 Depth=1
	s_add_co_i32 s0, s34, s16
	s_mov_b32 s1, s8
	s_wait_alu 0xfffe
	s_lshl_b32 s0, s0, 5
	v_max_num_f32_e64 v6, s26, s26
	s_wait_alu 0xfffe
	s_add_co_i32 s0, s0, s15
	s_mov_b32 s39, s8
	s_wait_alu 0xfffe
	s_lshl_b64 s[0:1], s[0:1], 3
	s_mul_u64 s[40:41], s[38:39], s[22:23]
	s_wait_alu 0xfffe
	s_add_nc_u64 s[0:1], s[10:11], s[0:1]
	s_mov_b32 s27, s20
	s_load_b64 s[36:37], s[0:1], 0x0
	v_readfirstlane_b32 s0, v6
	s_wait_kmcnt 0x0
	v_max_num_f32_e64 v7, s36, s36
	s_delay_alu instid0(VALU_DEP_1) | instskip(SKIP_2) | instid1(SALU_CYCLE_2)
	v_readfirstlane_b32 s1, v7
	s_max_num_f32 s9, s0, s1
	s_wait_alu 0xfffe
	s_sub_f32 s33, s26, s9
	s_sub_f32 s35, s36, s9
	s_wait_alu 0xfffe
	s_delay_alu instid0(SALU_CYCLE_1)
	s_cmp_nlt_f32 s33, 0xc2ce8ed0
	s_cselect_b32 s0, -1, 0
	s_cmp_ngt_f32 s33, 0x42b17218
	s_cselect_b32 s1, -1, 0
	s_cmp_ge_f32 s33, 0xc1a00000
	s_cselect_b32 s2, -1, 0
	s_cmp_nlt_f32 s35, 0xc2ce8ed0
	s_cselect_b32 s3, -1, 0
	s_cmp_ngt_f32 s35, 0x42b17218
	s_cselect_b32 s4, -1, 0
	s_cmp_ge_f32 s35, 0xc1a00000
	s_cselect_b32 s5, -1, 0
	s_add_co_i32 s17, s41, s38
	s_wait_alu 0xfffe
	s_lshr_b32 s17, s17, s13
	s_wait_alu 0xfffe
	s_mul_i32 s21, s17, s14
	s_delay_alu instid0(SALU_CYCLE_1)
	s_cmp_eq_u32 s21, s38
	s_cselect_b32 s21, -1, 0
	s_cmp_lt_u32 s17, s12
	s_cselect_b32 s17, -1, 0
	s_wait_alu 0xfffe
	s_or_b32 s17, s17, s21
	s_mov_b32 s21, -1
	s_wait_alu 0xfffe
	s_and_b32 vcc_lo, exec_lo, s17
	s_mov_b32 s17, s34
	s_wait_alu 0xfffe
	s_cbranch_vccnz .LBB8_18
; %bb.17:                               ;   in Loop: Header=BB8_9 Depth=1
	s_add_co_i32 s17, s34, -1
	s_mov_b32 s21, 0
	s_mov_b32 s27, s38
.LBB8_18:                               ;   in Loop: Header=BB8_9 Depth=1
	v_lshl_add_u32 v6, s34, 11, v0
	s_mul_f32 s36, s35, 0x3fb8aa3b
	s_mul_f32 s38, s33, 0x3fb8aa3b
	s_wait_alu 0xfffe
	s_delay_alu instid0(SALU_CYCLE_1)
	s_xor_b32 s39, s36, 0x80000000
	v_ashrrev_i32_e32 v7, 31, v6
	s_rndne_f32 s40, s36
	s_fmamk_f32 s39, s35, 0x3fb8aa3b, s39
	s_xor_b32 s41, s38, 0x80000000
	s_rndne_f32 s42, s38
	v_lshlrev_b64_e32 v[6:7], 2, v[6:7]
	s_sub_f32 s36, s36, s40
	s_fmamk_f32 s35, s35, 0x32a5705f, s39
	s_fmamk_f32 s39, s33, 0x3fb8aa3b, s41
	s_sub_f32 s38, s38, s42
	s_delay_alu instid0(VALU_DEP_1)
	v_add_co_u32 v6, vcc_lo, s24, v6
	s_wait_alu 0xfffd
	v_add_co_ci_u32_e64 v7, null, s25, v7, vcc_lo
	s_wait_alu 0xfffe
	s_add_f32 s35, s36, s35
	s_fmamk_f32 s33, s33, 0x32a5705f, s39
	s_cvt_i32_f32 s36, s40
	global_load_b32 v6, v[6:7], off
	s_wait_alu 0xfffe
	v_s_exp_f32 s35, s35
	s_add_f32 s33, s38, s33
	s_wait_alu 0xfffe
	s_delay_alu instid0(SALU_CYCLE_2) | instskip(NEXT) | instid1(TRANS32_DEP_2)
	v_s_exp_f32 s33, s33
	v_ldexp_f32 v7, s35, s36
	s_cvt_i32_f32 s35, s42
	s_wait_alu 0xf1fe
	s_delay_alu instid0(TRANS32_DEP_1) | instid1(SALU_CYCLE_2)
	v_ldexp_f32 v8, s33, s35
	s_delay_alu instid0(VALU_DEP_2) | instskip(NEXT) | instid1(VALU_DEP_2)
	v_cndmask_b32_e64 v7, 0, v7, s3
	v_cndmask_b32_e64 v8, 0, v8, s0
	s_delay_alu instid0(VALU_DEP_2) | instskip(NEXT) | instid1(VALU_DEP_2)
	v_cndmask_b32_e64 v7, 0x7f800000, v7, s4
	v_cndmask_b32_e64 v8, 0x7f800000, v8, s1
	;; [unrolled: 3-line block ×3, first 2 shown]
	s_wait_loadcnt 0x0
	s_delay_alu instid0(VALU_DEP_2) | instskip(SKIP_1) | instid1(VALU_DEP_1)
	v_mul_f32_e32 v6, v6, v7
	v_mul_f32_e32 v7, s37, v7
	v_fmac_f32_e32 v7, v5, v8
	s_delay_alu instid0(VALU_DEP_3)
	v_fmac_f32_e32 v6, v3, v8
	s_cbranch_execnz .LBB8_15
.LBB8_19:                               ;   in Loop: Header=BB8_9 Depth=1
	s_wait_loadcnt 0x0
	v_dual_mov_b32 v7, v5 :: v_dual_mov_b32 v6, v3
	s_add_co_i32 s17, s34, -1
	s_mov_b32 s27, s20
	s_mov_b32 s9, s26
	s_cbranch_execz .LBB8_23
.LBB8_20:                               ;   in Loop: Header=BB8_9 Depth=1
	v_mov_b32_e32 v5, v7
	s_wait_loadcnt 0x0
	v_mov_b32_e32 v3, v6
	s_wait_alu 0xfffe
	s_mov_b32 s20, s27
	s_mov_b32 s34, s17
	;; [unrolled: 1-line block ×3, first 2 shown]
	s_branch .LBB8_9
.LBB8_21:
                                        ; implicit-def: $sgpr20_sgpr21
	s_branch .LBB8_2
.LBB8_22:
                                        ; implicit-def: $sgpr10_sgpr11
	s_load_b96 s[12:14], s[0:1], 0x44
	s_branch .LBB8_5
.LBB8_23:
	v_div_scale_f32 v0, null, v7, v7, v6
	s_wait_loadcnt 0x0
	s_delay_alu instid0(VALU_DEP_1) | instskip(NEXT) | instid1(TRANS32_DEP_1)
	v_rcp_f32_e32 v3, v0
	v_fma_f32 v4, -v0, v3, 1.0
	s_delay_alu instid0(VALU_DEP_1) | instskip(SKIP_1) | instid1(VALU_DEP_1)
	v_fmac_f32_e32 v3, v4, v3
	v_div_scale_f32 v4, vcc_lo, v6, v7, v6
	v_mul_f32_e32 v5, v4, v3
	s_delay_alu instid0(VALU_DEP_1) | instskip(NEXT) | instid1(VALU_DEP_1)
	v_fma_f32 v8, -v0, v5, v4
	v_fmac_f32_e32 v5, v8, v3
	s_delay_alu instid0(VALU_DEP_1) | instskip(SKIP_1) | instid1(VALU_DEP_1)
	v_fma_f32 v0, -v0, v5, v4
	s_wait_alu 0xfffd
	v_div_fmas_f32 v0, v0, v3, v5
	s_delay_alu instid0(VALU_DEP_1)
	v_div_fixup_f32 v0, v0, v7, v6
	global_store_b32 v[1:2], v0, off
.LBB8_24:
	s_endpgm
	.section	.rodata,"a",@progbits
	.p2align	6, 0x0
	.amdhsa_kernel _ZL33flash_attn_stream_k_fixup_generalILi64ELi4ELi8EEvPfPK15HIP_vector_typeIfLj2EEiiiiS1_IjLj3EES5_S5_S5_
		.amdhsa_group_segment_fixed_size 0
		.amdhsa_private_segment_fixed_size 0
		.amdhsa_kernarg_size 336
		.amdhsa_user_sgpr_count 2
		.amdhsa_user_sgpr_dispatch_ptr 0
		.amdhsa_user_sgpr_queue_ptr 0
		.amdhsa_user_sgpr_kernarg_segment_ptr 1
		.amdhsa_user_sgpr_dispatch_id 0
		.amdhsa_user_sgpr_private_segment_size 0
		.amdhsa_wavefront_size32 1
		.amdhsa_uses_dynamic_stack 0
		.amdhsa_enable_private_segment 0
		.amdhsa_system_sgpr_workgroup_id_x 1
		.amdhsa_system_sgpr_workgroup_id_y 1
		.amdhsa_system_sgpr_workgroup_id_z 1
		.amdhsa_system_sgpr_workgroup_info 0
		.amdhsa_system_vgpr_workitem_id 0
		.amdhsa_next_free_vgpr 9
		.amdhsa_next_free_sgpr 44
		.amdhsa_reserve_vcc 1
		.amdhsa_float_round_mode_32 0
		.amdhsa_float_round_mode_16_64 0
		.amdhsa_float_denorm_mode_32 3
		.amdhsa_float_denorm_mode_16_64 3
		.amdhsa_fp16_overflow 0
		.amdhsa_workgroup_processor_mode 1
		.amdhsa_memory_ordered 1
		.amdhsa_forward_progress 1
		.amdhsa_inst_pref_size 28
		.amdhsa_round_robin_scheduling 0
		.amdhsa_exception_fp_ieee_invalid_op 0
		.amdhsa_exception_fp_denorm_src 0
		.amdhsa_exception_fp_ieee_div_zero 0
		.amdhsa_exception_fp_ieee_overflow 0
		.amdhsa_exception_fp_ieee_underflow 0
		.amdhsa_exception_fp_ieee_inexact 0
		.amdhsa_exception_int_div_zero 0
	.end_amdhsa_kernel
	.section	.text._ZL33flash_attn_stream_k_fixup_generalILi64ELi4ELi8EEvPfPK15HIP_vector_typeIfLj2EEiiiiS1_IjLj3EES5_S5_S5_,"axG",@progbits,_ZL33flash_attn_stream_k_fixup_generalILi64ELi4ELi8EEvPfPK15HIP_vector_typeIfLj2EEiiiiS1_IjLj3EES5_S5_S5_,comdat
.Lfunc_end8:
	.size	_ZL33flash_attn_stream_k_fixup_generalILi64ELi4ELi8EEvPfPK15HIP_vector_typeIfLj2EEiiiiS1_IjLj3EES5_S5_S5_, .Lfunc_end8-_ZL33flash_attn_stream_k_fixup_generalILi64ELi4ELi8EEvPfPK15HIP_vector_typeIfLj2EEiiiiS1_IjLj3EES5_S5_S5_
                                        ; -- End function
	.set _ZL33flash_attn_stream_k_fixup_generalILi64ELi4ELi8EEvPfPK15HIP_vector_typeIfLj2EEiiiiS1_IjLj3EES5_S5_S5_.num_vgpr, 9
	.set _ZL33flash_attn_stream_k_fixup_generalILi64ELi4ELi8EEvPfPK15HIP_vector_typeIfLj2EEiiiiS1_IjLj3EES5_S5_S5_.num_agpr, 0
	.set _ZL33flash_attn_stream_k_fixup_generalILi64ELi4ELi8EEvPfPK15HIP_vector_typeIfLj2EEiiiiS1_IjLj3EES5_S5_S5_.numbered_sgpr, 44
	.set _ZL33flash_attn_stream_k_fixup_generalILi64ELi4ELi8EEvPfPK15HIP_vector_typeIfLj2EEiiiiS1_IjLj3EES5_S5_S5_.num_named_barrier, 0
	.set _ZL33flash_attn_stream_k_fixup_generalILi64ELi4ELi8EEvPfPK15HIP_vector_typeIfLj2EEiiiiS1_IjLj3EES5_S5_S5_.private_seg_size, 0
	.set _ZL33flash_attn_stream_k_fixup_generalILi64ELi4ELi8EEvPfPK15HIP_vector_typeIfLj2EEiiiiS1_IjLj3EES5_S5_S5_.uses_vcc, 1
	.set _ZL33flash_attn_stream_k_fixup_generalILi64ELi4ELi8EEvPfPK15HIP_vector_typeIfLj2EEiiiiS1_IjLj3EES5_S5_S5_.uses_flat_scratch, 0
	.set _ZL33flash_attn_stream_k_fixup_generalILi64ELi4ELi8EEvPfPK15HIP_vector_typeIfLj2EEiiiiS1_IjLj3EES5_S5_S5_.has_dyn_sized_stack, 0
	.set _ZL33flash_attn_stream_k_fixup_generalILi64ELi4ELi8EEvPfPK15HIP_vector_typeIfLj2EEiiiiS1_IjLj3EES5_S5_S5_.has_recursion, 0
	.set _ZL33flash_attn_stream_k_fixup_generalILi64ELi4ELi8EEvPfPK15HIP_vector_typeIfLj2EEiiiiS1_IjLj3EES5_S5_S5_.has_indirect_call, 0
	.section	.AMDGPU.csdata,"",@progbits
; Kernel info:
; codeLenInByte = 3548
; TotalNumSgprs: 46
; NumVgprs: 9
; ScratchSize: 0
; MemoryBound: 0
; FloatMode: 240
; IeeeMode: 1
; LDSByteSize: 0 bytes/workgroup (compile time only)
; SGPRBlocks: 0
; VGPRBlocks: 1
; NumSGPRsForWavesPerEU: 46
; NumVGPRsForWavesPerEU: 9
; Occupancy: 16
; WaveLimiterHint : 0
; COMPUTE_PGM_RSRC2:SCRATCH_EN: 0
; COMPUTE_PGM_RSRC2:USER_SGPR: 2
; COMPUTE_PGM_RSRC2:TRAP_HANDLER: 0
; COMPUTE_PGM_RSRC2:TGID_X_EN: 1
; COMPUTE_PGM_RSRC2:TGID_Y_EN: 1
; COMPUTE_PGM_RSRC2:TGID_Z_EN: 1
; COMPUTE_PGM_RSRC2:TIDIG_COMP_CNT: 0
	.section	.text._ZL15flash_attn_tileILi64ELi64ELi2ELi8ELb0EEvPKcS1_S1_S1_S1_PKiPfP15HIP_vector_typeIfLj2EEffffjfiS5_IjLj3EEiiiiiiiiiiiliiliiiiil,"axG",@progbits,_ZL15flash_attn_tileILi64ELi64ELi2ELi8ELb0EEvPKcS1_S1_S1_S1_PKiPfP15HIP_vector_typeIfLj2EEffffjfiS5_IjLj3EEiiiiiiiiiiiliiliiiiil,comdat
	.globl	_ZL15flash_attn_tileILi64ELi64ELi2ELi8ELb0EEvPKcS1_S1_S1_S1_PKiPfP15HIP_vector_typeIfLj2EEffffjfiS5_IjLj3EEiiiiiiiiiiiliiliiiiil ; -- Begin function _ZL15flash_attn_tileILi64ELi64ELi2ELi8ELb0EEvPKcS1_S1_S1_S1_PKiPfP15HIP_vector_typeIfLj2EEffffjfiS5_IjLj3EEiiiiiiiiiiiliiliiiiil
	.p2align	8
	.type	_ZL15flash_attn_tileILi64ELi64ELi2ELi8ELb0EEvPKcS1_S1_S1_S1_PKiPfP15HIP_vector_typeIfLj2EEffffjfiS5_IjLj3EEiiiiiiiiiiiliiliiiiil,@function
_ZL15flash_attn_tileILi64ELi64ELi2ELi8ELb0EEvPKcS1_S1_S1_S1_PKiPfP15HIP_vector_typeIfLj2EEffffjfiS5_IjLj3EEiiiiiiiiiiiliiliiiiil: ; @_ZL15flash_attn_tileILi64ELi64ELi2ELi8ELb0EEvPKcS1_S1_S1_S1_PKiPfP15HIP_vector_typeIfLj2EEffffjfiS5_IjLj3EEiiiiiiiiiiiliiliiiiil
; %bb.0:
	s_clause 0x1
	s_load_b128 s[20:23], s[0:1], 0x5c
	s_load_b64 s[28:29], s[0:1], 0x80
	s_lshr_b32 s5, ttmp7, 16
	s_load_b64 s[36:37], s[0:1], 0xb8
	s_mov_b32 s35, 0
	s_mov_b64 s[30:31], 0
	s_wait_kmcnt 0x0
	s_ashr_i32 s2, s23, 31
	s_delay_alu instid0(SALU_CYCLE_1) | instskip(NEXT) | instid1(SALU_CYCLE_1)
	s_lshr_b32 s2, s2, 29
	s_add_co_i32 s2, s23, s2
	s_delay_alu instid0(SALU_CYCLE_1) | instskip(NEXT) | instid1(SALU_CYCLE_1)
	s_ashr_i32 s2, s2, 3
	s_cvt_f32_u32 s3, s2
	s_sub_co_i32 s4, 0, s2
	s_delay_alu instid0(SALU_CYCLE_2) | instskip(NEXT) | instid1(TRANS32_DEP_1)
	v_rcp_iflag_f32_e32 v1, s3
	v_readfirstlane_b32 s3, v1
	s_mul_f32 s3, s3, 0x4f7ffffe
	s_wait_alu 0xfffe
	s_delay_alu instid0(SALU_CYCLE_2) | instskip(SKIP_1) | instid1(SALU_CYCLE_2)
	s_cvt_u32_f32 s3, s3
	s_wait_alu 0xfffe
	s_mul_i32 s4, s4, s3
	s_delay_alu instid0(SALU_CYCLE_1) | instskip(NEXT) | instid1(SALU_CYCLE_1)
	s_mul_hi_u32 s4, s3, s4
	s_add_co_i32 s3, s3, s4
	s_wait_alu 0xfffe
	s_mul_hi_u32 s3, s5, s3
	s_wait_alu 0xfffe
	s_mul_i32 s4, s3, s2
	s_add_co_i32 s6, s3, 1
	s_sub_co_i32 s4, s5, s4
	s_delay_alu instid0(SALU_CYCLE_1)
	s_sub_co_i32 s7, s4, s2
	s_cmp_ge_u32 s4, s2
	s_cselect_b32 s3, s6, s3
	s_cselect_b32 s4, s7, s4
	s_wait_alu 0xfffe
	s_add_co_i32 s6, s3, 1
	s_cmp_ge_u32 s4, s2
	s_cselect_b32 s2, s6, s3
	s_abs_i32 s3, s29
	s_abs_i32 s8, s23
	s_wait_alu 0xfffe
	s_cvt_f32_u32 s4, s3
	s_sub_co_i32 s6, 0, s3
	s_lshl_b32 s5, s5, 3
	s_mul_i32 s7, s2, s23
	v_rcp_iflag_f32_e32 v1, s4
	s_sub_co_i32 s33, s5, s7
	s_xor_b32 s5, s23, s29
	s_wait_alu 0xfffe
	s_ashr_i32 s24, s5, 31
	s_delay_alu instid0(TRANS32_DEP_1) | instskip(SKIP_2) | instid1(SALU_CYCLE_2)
	v_readfirstlane_b32 s4, v1
	s_mul_f32 s4, s4, 0x4f7ffffe
	s_wait_alu 0xfffe
	s_cvt_u32_f32 s4, s4
	s_wait_alu 0xfffe
	s_delay_alu instid0(SALU_CYCLE_2) | instskip(NEXT) | instid1(SALU_CYCLE_1)
	s_mul_i32 s6, s6, s4
	s_mul_hi_u32 s6, s4, s6
	s_delay_alu instid0(SALU_CYCLE_1) | instskip(SKIP_4) | instid1(SALU_CYCLE_1)
	s_add_co_i32 s4, s4, s6
	s_wait_alu 0xfffe
	s_mul_hi_u32 s4, s8, s4
	s_wait_alu 0xfffe
	s_mul_i32 s6, s4, s3
	s_sub_co_i32 s5, s8, s6
	s_add_co_i32 s6, s4, 1
	s_wait_alu 0xfffe
	s_sub_co_i32 s7, s5, s3
	s_cmp_ge_u32 s5, s3
	s_cselect_b32 s4, s6, s4
	s_cselect_b32 s5, s7, s5
	s_wait_alu 0xfffe
	s_add_co_i32 s6, s4, 1
	s_cmp_ge_u32 s5, s3
	s_cselect_b32 s3, s6, s4
	s_load_b512 s[4:19], s[0:1], 0x0
	s_xor_b32 s3, s3, s24
	s_wait_alu 0xfffe
	s_sub_co_i32 s38, s3, s24
	s_delay_alu instid0(SALU_CYCLE_1) | instskip(NEXT) | instid1(SALU_CYCLE_1)
	s_abs_i32 s29, s38
	s_cvt_f32_u32 s3, s29
	s_wait_alu 0xfffe
	s_delay_alu instid0(SALU_CYCLE_2) | instskip(SKIP_2) | instid1(TRANS32_DEP_1)
	v_rcp_iflag_f32_e32 v1, s3
	s_wait_kmcnt 0x0
	s_cmp_eq_u64 s[10:11], 0
	v_readfirstlane_b32 s27, v1
	s_cbranch_scc1 .LBB9_2
; %bb.1:
	s_abs_i32 s3, s36
	s_wait_alu 0xfffe
	s_cvt_f32_u32 s24, s3
	s_delay_alu instid0(SALU_CYCLE_3) | instskip(NEXT) | instid1(TRANS32_DEP_1)
	v_rcp_iflag_f32_e32 v1, s24
	v_readfirstlane_b32 s24, v1
	s_mul_f32 s24, s24, 0x4f7ffffe
	s_wait_alu 0xfffe
	s_delay_alu instid0(SALU_CYCLE_2) | instskip(SKIP_2) | instid1(SALU_CYCLE_1)
	s_cvt_u32_f32 s26, s24
	s_sub_co_i32 s24, 0, s3
	s_wait_alu 0xfffe
	s_mul_i32 s24, s24, s26
	s_wait_alu 0xfffe
	s_mul_hi_u32 s30, s26, s24
	s_load_b64 s[24:25], s[0:1], 0xc8
	s_add_co_i32 s26, s26, s30
	s_delay_alu instid0(SALU_CYCLE_1) | instskip(NEXT) | instid1(SALU_CYCLE_1)
	s_mul_hi_u32 s26, s2, s26
	s_mul_i32 s26, s26, s3
	s_delay_alu instid0(SALU_CYCLE_1) | instskip(NEXT) | instid1(SALU_CYCLE_1)
	s_sub_co_i32 s26, s2, s26
	s_sub_co_i32 s30, s26, s3
	s_cmp_ge_u32 s26, s3
	s_cselect_b32 s26, s30, s26
	s_delay_alu instid0(SALU_CYCLE_1) | instskip(SKIP_2) | instid1(SALU_CYCLE_1)
	s_sub_co_i32 s30, s26, s3
	s_cmp_ge_u32 s26, s3
	s_cselect_b32 s30, s30, s26
	s_ashr_i32 s31, s30, 31
	s_wait_kmcnt 0x0
	s_mul_u64 s[24:25], s[24:25], s[30:31]
	s_wait_alu 0xfffe
	s_add_nc_u64 s[30:31], s[10:11], s[24:25]
.LBB9_2:
	v_lshrrev_b32_e32 v1, 10, v0
	s_load_b96 s[24:26], s[0:1], 0x70
	v_and_b32_e32 v12, 0x3ff, v0
	s_delay_alu instid0(VALU_DEP_2) | instskip(NEXT) | instid1(VALU_DEP_1)
	v_bfe_u32 v1, v1, 1, 9
	v_lshl_add_u32 v13, ttmp9, 1, v1
	v_bfe_u32 v1, v0, 10, 10
	s_delay_alu instid0(VALU_DEP_2) | instskip(SKIP_3) | instid1(VALU_DEP_1)
	v_mul_hi_u32 v2, s20, v13
	s_wait_kmcnt 0x0
	s_mul_i32 s20, s33, s25
	s_ashr_i32 s41, s25, 31
	v_add_nc_u32_e32 v0, v13, v2
	s_mov_b32 s40, s25
	s_ashr_i32 s25, s24, 31
	s_lshr_b64 s[42:43], s[40:41], 2
	s_wait_alu 0xfffe
	s_lshr_b64 s[44:45], s[24:25], 2
	v_lshrrev_b32_e32 v0, s21, v0
	s_lshr_b32 s3, s25, 2
	s_lshr_b32 s24, s41, 2
	s_mul_i32 s10, s2, s26
	s_ashr_i32 s21, s20, 31
	v_mul_lo_u32 v0, v0, s22
	s_ashr_i32 s11, s10, 31
	s_cmp_eq_u64 s[14:15], 0
	s_add_nc_u64 s[4:5], s[4:5], s[10:11]
	s_wait_alu 0xfffe
	s_add_nc_u64 s[4:5], s[4:5], s[20:21]
	s_delay_alu instid0(VALU_DEP_1) | instskip(NEXT) | instid1(VALU_DEP_1)
	v_sub_nc_u32_e32 v0, v13, v0
	v_mad_co_u64_u32 v[4:5], null, s44, v0, 0
	s_delay_alu instid0(VALU_DEP_1) | instskip(NEXT) | instid1(VALU_DEP_1)
	v_dual_mov_b32 v2, v5 :: v_dual_lshlrev_b32 v3, 2, v1
	v_or_b32_e32 v23, 3, v3
	v_or_b32_e32 v21, 1, v3
	;; [unrolled: 1-line block ×3, first 2 shown]
	s_delay_alu instid0(VALU_DEP_4) | instskip(NEXT) | instid1(VALU_DEP_4)
	v_mad_co_u64_u32 v[16:17], null, s3, v0, v[2:3]
	v_and_b32_e32 v20, 7, v23
	s_delay_alu instid0(VALU_DEP_4) | instskip(SKIP_1) | instid1(VALU_DEP_2)
	v_and_b32_e32 v18, 5, v21
	s_load_b32 s3, s[0:1], 0x40
	v_mad_co_u64_u32 v[10:11], null, s42, v20, 0
	v_and_b32_e32 v19, 6, v22
	s_delay_alu instid0(VALU_DEP_3) | instskip(NEXT) | instid1(VALU_DEP_3)
	v_mad_co_u64_u32 v[6:7], null, s42, v18, 0
	v_mov_b32_e32 v2, v11
	s_delay_alu instid0(VALU_DEP_3) | instskip(NEXT) | instid1(VALU_DEP_3)
	v_mad_co_u64_u32 v[8:9], null, s42, v19, 0
	v_dual_mov_b32 v5, v7 :: v_dual_and_b32 v56, 4, v3
	s_delay_alu instid0(VALU_DEP_1) | instskip(NEXT) | instid1(VALU_DEP_3)
	v_mad_co_u64_u32 v[17:18], null, s24, v18, v[5:6]
	v_mov_b32_e32 v7, v9
	v_mov_b32_e32 v5, v16
	s_delay_alu instid0(VALU_DEP_4) | instskip(SKIP_1) | instid1(VALU_DEP_4)
	v_mul_lo_u32 v24, s24, v56
	v_mad_co_u64_u32 v[14:15], null, s42, v56, 0
	v_mad_co_u64_u32 v[18:19], null, s24, v19, v[7:8]
	s_delay_alu instid0(VALU_DEP_4) | instskip(SKIP_1) | instid1(VALU_DEP_4)
	v_lshlrev_b64_e32 v[4:5], 2, v[4:5]
	v_mov_b32_e32 v7, v17
	v_or_b32_e32 v15, v15, v24
	s_delay_alu instid0(VALU_DEP_4) | instskip(SKIP_3) | instid1(VALU_DEP_1)
	v_mov_b32_e32 v9, v18
	v_mad_co_u64_u32 v[19:20], null, s24, v20, v[2:3]
	v_lshlrev_b32_e32 v2, 3, v12
	v_add_co_u32 v16, vcc_lo, s4, v4
	v_add_co_ci_u32_e64 v17, null, s5, v5, vcc_lo
	v_lshlrev_b64_e32 v[14:15], 2, v[14:15]
	v_mov_b32_e32 v11, v19
	s_delay_alu instid0(VALU_DEP_4)
	v_add_co_u32 v16, vcc_lo, v16, v2
	v_lshlrev_b64_e32 v[6:7], 2, v[6:7]
	s_wait_alu 0xfffd
	v_add_co_ci_u32_e64 v17, null, 0, v17, vcc_lo
	v_lshlrev_b64_e32 v[4:5], 2, v[8:9]
	v_lshlrev_b64_e32 v[8:9], 2, v[10:11]
	v_add_co_u32 v10, vcc_lo, v16, v14
	s_wait_alu 0xfffd
	v_add_co_ci_u32_e64 v11, null, v17, v15, vcc_lo
	v_add_co_u32 v6, vcc_lo, v16, v6
	s_wait_alu 0xfffd
	v_add_co_ci_u32_e64 v7, null, v17, v7, vcc_lo
	;; [unrolled: 3-line block ×3, first 2 shown]
	v_add_co_u32 v8, vcc_lo, v16, v8
	global_load_b64 v[10:11], v[10:11], off
	s_wait_alu 0xfffd
	v_add_co_ci_u32_e64 v9, null, v17, v9, vcc_lo
	s_clause 0x2
	global_load_b64 v[6:7], v[6:7], off
	global_load_b64 v[14:15], v[4:5], off
	;; [unrolled: 1-line block ×3, first 2 shown]
	v_lshl_add_u32 v5, v12, 2, 0x5800
	v_lshlrev_b32_e32 v4, 9, v1
	s_delay_alu instid0(VALU_DEP_2) | instskip(NEXT) | instid1(VALU_DEP_2)
	v_lshl_add_u32 v17, v21, 7, v5
	v_add_nc_u32_e32 v16, v5, v4
	v_lshl_add_u32 v18, v22, 7, v5
	v_lshl_add_u32 v5, v23, 7, v5
	s_wait_loadcnt 0x3
	s_wait_kmcnt 0x0
	v_fma_mixlo_f16 v10, s3, v10, 0
	v_fma_mixlo_f16 v11, s3, v11, 0
	s_wait_loadcnt 0x2
	v_fma_mixlo_f16 v6, s3, v6, 0
	v_fma_mixlo_f16 v7, s3, v7, 0
	s_wait_loadcnt 0x1
	;; [unrolled: 3-line block ×3, first 2 shown]
	v_fma_mixlo_f16 v8, s3, v8, 0
	v_fma_mixlo_f16 v9, s3, v9, 0
	v_lshlrev_b32_e32 v11, 16, v11
	v_and_b32_e32 v10, 0xffff, v10
	v_lshlrev_b32_e32 v7, 16, v7
	v_and_b32_e32 v6, 0xffff, v6
	v_lshlrev_b32_e32 v15, 16, v15
	v_and_b32_e32 v14, 0xffff, v14
	v_lshlrev_b32_e32 v9, 16, v9
	v_and_b32_e32 v8, 0xffff, v8
	v_or_b32_e32 v10, v11, v10
	v_or_b32_e32 v6, v7, v6
	;; [unrolled: 1-line block ×3, first 2 shown]
	s_delay_alu instid0(VALU_DEP_4)
	v_or_b32_e32 v8, v9, v8
	ds_store_b32 v16, v10
	ds_store_b32 v17, v6
	;; [unrolled: 1-line block ×4, first 2 shown]
	s_wait_dscnt 0x0
	s_barrier_signal -1
	s_barrier_wait -1
	global_inv scope:SCOPE_SE
	s_cbranch_scc1 .LBB9_4
; %bb.3:
	s_load_b32 s3, s[0:1], 0xd0
	s_mov_b32 s5, 0
	s_wait_kmcnt 0x0
	s_mul_i32 s3, s3, s2
	s_wait_alu 0xfffe
	s_add_co_i32 s4, s3, ttmp9
	s_wait_alu 0xfffe
	s_lshl_b64 s[4:5], s[4:5], 2
	s_wait_alu 0xfffe
	s_add_nc_u64 s[4:5], s[14:15], s[4:5]
	s_load_b32 s28, s[4:5], 0x0
.LBB9_4:
	s_and_b32 s4, ttmp7, 0xffff
	v_mbcnt_lo_u32_b32 v11, -1, 0
	s_wait_alu 0xfffe
	s_lshl_b32 s10, s4, 7
	s_wait_kmcnt 0x0
	s_cmp_lt_i32 s10, s28
	s_cbranch_scc1 .LBB9_7
; %bb.5:
	v_mbcnt_lo_u32_b32 v5, -1, 0
	v_mov_b32_e32 v57, 32
	s_delay_alu instid0(VALU_DEP_2)
	v_xor_b32_e32 v65, 16, v5
	v_xor_b32_e32 v62, 8, v5
	;; [unrolled: 1-line block ×5, first 2 shown]
	s_mov_b32 s3, 0
	s_cbranch_execz .LBB9_8
; %bb.6:
	v_dual_mov_b32 v106, 0 :: v_dual_mov_b32 v3, 0xfeffffff
	v_dual_mov_b32 v68, 0 :: v_dual_mov_b32 v1, 0xfeffffff
	;; [unrolled: 1-line block ×5, first 2 shown]
	v_dual_mov_b32 v104, 0 :: v_dual_lshlrev_b32 v15, 1, v12
	v_mov_b32_e32 v40, 0
	s_branch .LBB9_11
.LBB9_7:
                                        ; implicit-def: $vgpr5
                                        ; implicit-def: $vgpr57
                                        ; implicit-def: $vgpr65
                                        ; implicit-def: $vgpr62
                                        ; implicit-def: $vgpr61
                                        ; implicit-def: $vgpr60
                                        ; implicit-def: $vgpr58
	s_mov_b32 s3, 0
.LBB9_8:
	s_mul_f32 s5, s27, 0x4f7ffffe
	s_clause 0x1
	s_load_b128 s[24:27], s[0:1], 0x98
	s_load_b64 s[20:21], s[0:1], 0x8c
	s_sub_co_i32 s11, 0, s29
	s_abs_i32 s34, s33
	s_cvt_u32_f32 s5, s5
	s_mov_b32 s15, s35
	v_dual_mov_b32 v40, 0 :: v_dual_lshlrev_b32 v59, 2, v12
	s_wait_alu 0xfffe
	s_mul_i32 s11, s11, s5
	s_ashr_i32 s36, s33, 31
	s_mul_hi_u32 s11, s5, s11
	s_ashr_i32 s40, s38, 31
	s_add_co_i32 s14, s5, s11
	s_load_b64 s[38:39], s[0:1], 0xa8
	s_mul_u64 s[14:15], s[34:35], s[14:15]
	s_ashr_i32 s5, s37, 1
	s_mul_i32 s35, s15, s29
	s_xor_b32 s11, s36, s40
	s_add_co_i32 s36, s15, 1
	v_lshrrev_b32_e32 v5, 3, v12
	s_wait_kmcnt 0x0
	s_ashr_i32 s14, s26, 2
	s_sub_co_i32 s26, s34, s35
	s_ashr_i32 s20, s20, 2
	s_sub_co_i32 s34, s26, s29
	s_cmp_ge_u32 s26, s29
	v_dual_mov_b32 v57, 32 :: v_dual_and_b32 v10, 28, v59
	s_cselect_b32 s15, s36, s15
	s_cselect_b32 s26, s34, s26
	s_add_co_i32 s34, s15, 1
	s_cmp_ge_u32 s26, s29
	v_add_nc_u32_e32 v3, v5, v3
	v_dual_mov_b32 v104, 0 :: v_dual_lshlrev_b32 v5, 2, v10
	s_cselect_b32 s15, s34, s15
	s_mul_u64 s[24:25], s[24:25], s[2:3]
	s_xor_b32 s15, s15, s11
	s_delay_alu instid0(VALU_DEP_1)
	v_mad_u32_u24 v63, 0x90, v3, v5
	s_sub_co_i32 s11, s15, s11
	v_add_nc_u32_e32 v73, 0x5800, v4
	v_lshl_or_b32 v75, v3, 7, v5
	s_wait_alu 0xfffe
	v_mad_co_u64_u32 v[4:5], null, v0, s5, v[12:13]
	v_mov_b32_e32 v0, 0xfeffffff
	v_mul_lo_u32 v6, s20, v3
	v_mul_lo_u32 v24, s14, v3
	s_add_nc_u64 s[6:7], s[6:7], s[24:25]
	s_mul_i32 s24, s11, s21
	s_lshl_b32 s15, s20, 4
	s_wait_alu 0xfffe
	s_ashr_i32 s25, s24, 31
	v_mov_b32_e32 v105, 0
	s_wait_alu 0xfffe
	s_add_nc_u64 s[6:7], s[6:7], s[24:25]
	s_mul_u64 s[24:25], s[38:39], s[2:3]
	s_lshl_b32 s3, s14, 4
	v_add_nc_u32_e32 v8, s15, v6
	s_wait_alu 0xfffe
	v_add_nc_u32_e32 v26, s3, v24
	v_lshl_add_u32 v76, v1, 10, 0x4800
	v_mov_b32_e32 v1, 0xfeffffff
	v_dual_mov_b32 v3, 0xfeffffff :: v_dual_add_nc_u32 v14, s15, v8
	s_delay_alu instid0(VALU_DEP_4) | instskip(SKIP_2) | instid1(VALU_DEP_4)
	v_dual_mov_b32 v103, 0 :: v_dual_add_nc_u32 v28, s3, v26
	v_ashrrev_i32_e32 v7, 31, v6
	v_ashrrev_i32_e32 v9, 31, v8
	v_add_nc_u32_e32 v16, s15, v14
	s_delay_alu instid0(VALU_DEP_4)
	v_add_nc_u32_e32 v32, s3, v28
	v_ashrrev_i32_e32 v15, 31, v14
	v_ashrrev_i32_e32 v25, 31, v24
	v_ashrrev_i32_e32 v27, 31, v26
	v_add_nc_u32_e32 v18, s15, v16
	v_add_nc_u32_e32 v34, s3, v32
	v_ashrrev_i32_e32 v17, 31, v16
	v_ashrrev_i32_e32 v29, 31, v28
	;; [unrolled: 1-line block ×3, first 2 shown]
	v_add_nc_u32_e32 v20, s15, v18
	v_add_nc_u32_e32 v36, s3, v34
	v_ashrrev_i32_e32 v19, 31, v18
	v_ashrrev_i32_e32 v35, 31, v34
	v_add_nc_u32_e32 v85, v76, v2
	v_add_nc_u32_e32 v22, s15, v20
	v_add_nc_u32_e32 v38, s3, v36
	v_ashrrev_i32_e32 v21, 31, v20
	v_ashrrev_i32_e32 v37, 31, v36
	v_mov_b32_e32 v2, 0xfeffffff
	v_add_nc_u32_e32 v30, s15, v22
	v_add_nc_u32_e32 v41, s3, v38
	v_ashrrev_i32_e32 v23, 31, v22
	v_ashrrev_i32_e32 v39, 31, v38
	s_mul_i32 s26, s11, s27
	v_ashrrev_i32_e32 v31, 31, v30
	v_ashrrev_i32_e32 v42, 31, v41
	v_lshlrev_b64_e32 v[5:6], 2, v[6:7]
	v_lshlrev_b32_e32 v84, 2, v10
	v_lshlrev_b64_e32 v[7:8], 2, v[8:9]
	v_lshlrev_b64_e32 v[9:10], 2, v[14:15]
	;; [unrolled: 1-line block ×15, first 2 shown]
	v_dual_mov_b32 v101, 0 :: v_dual_add_nc_u32 v64, 0x900, v63
	v_add_nc_u32_e32 v66, 0x1200, v63
	v_dual_mov_b32 v106, 0 :: v_dual_add_nc_u32 v67, 0x1b00, v63
	v_dual_mov_b32 v102, 0 :: v_dual_add_nc_u32 v69, 0x2400, v63
	v_add_nc_u32_e32 v70, 0x2d00, v63
	v_dual_mov_b32 v68, 0 :: v_dual_add_nc_u32 v71, 0x3600, v63
	v_add_nc_u32_e32 v72, 0x3f00, v63
	v_mul_u32_u24_e32 v74, 0x90, v12
	v_add_nc_u32_e32 v77, 0x800, v75
	v_add_nc_u32_e32 v78, 0x1000, v75
	;; [unrolled: 1-line block ×7, first 2 shown]
	v_xor_b32_e32 v65, 16, v11
	v_xor_b32_e32 v62, 8, v11
	;; [unrolled: 1-line block ×5, first 2 shown]
	v_add_nc_u32_e32 v86, 0x400, v59
	v_add_nc_u32_e32 v87, 0x800, v59
	;; [unrolled: 1-line block ×15, first 2 shown]
	s_add_nc_u64 s[8:9], s[8:9], s[24:25]
	s_ashr_i32 s27, s26, 31
	s_ashr_i32 s21, s20, 31
	s_add_nc_u64 s[8:9], s[8:9], s[26:27]
	s_ashr_i32 s15, s14, 31
	s_add_nc_u64 s[24:25], s[0:1], 0xd0
.LBB9_9:                                ; =>This Inner Loop Header: Depth=1
	s_ashr_i32 s11, s10, 31
	v_mov_b32_e32 v47, v0
	s_wait_alu 0xfffe
	s_mul_u64 s[26:27], s[10:11], s[20:21]
	v_dual_mov_b32 v46, v101 :: v_dual_mov_b32 v45, v1
	s_wait_alu 0xfffe
	s_lshl_b64 s[26:27], s[26:27], 2
	v_dual_mov_b32 v42, v103 :: v_dual_mov_b32 v41, v3
	s_wait_alu 0xfffe
	s_add_nc_u64 s[26:27], s[6:7], s[26:27]
	v_dual_mov_b32 v44, v102 :: v_dual_mov_b32 v43, v2
	s_wait_alu 0xfffe
	v_add_co_u32 v0, vcc_lo, s26, v5
	s_wait_alu 0xfffd
	v_add_co_ci_u32_e64 v1, null, s27, v6, vcc_lo
	v_dual_mov_b32 v54, 0 :: v_dual_mov_b32 v53, 0
	s_delay_alu instid0(VALU_DEP_3) | instskip(SKIP_1) | instid1(VALU_DEP_3)
	v_add_co_u32 v0, vcc_lo, v0, v84
	s_wait_alu 0xfffd
	v_add_co_ci_u32_e64 v1, null, 0, v1, vcc_lo
	v_mov_b32_e32 v103, 0
	v_dual_mov_b32 v55, 0 :: v_dual_mov_b32 v52, 0
	global_load_b128 v[0:3], v[0:1], off
	v_dual_mov_b32 v101, 0 :: v_dual_mov_b32 v102, 0
	s_wait_loadcnt 0x0
	ds_store_b128 v63, v[0:3]
	v_add_co_u32 v0, vcc_lo, s26, v7
	s_wait_alu 0xfffd
	v_add_co_ci_u32_e64 v1, null, s27, v8, vcc_lo
	s_delay_alu instid0(VALU_DEP_2) | instskip(SKIP_1) | instid1(VALU_DEP_2)
	v_add_co_u32 v0, vcc_lo, v0, v84
	s_wait_alu 0xfffd
	v_add_co_ci_u32_e64 v1, null, 0, v1, vcc_lo
	global_load_b128 v[0:3], v[0:1], off
	s_wait_loadcnt 0x0
	ds_store_b128 v64, v[0:3]
	v_add_co_u32 v0, vcc_lo, s26, v9
	s_wait_alu 0xfffd
	v_add_co_ci_u32_e64 v1, null, s27, v10, vcc_lo
	s_delay_alu instid0(VALU_DEP_2) | instskip(SKIP_1) | instid1(VALU_DEP_2)
	v_add_co_u32 v0, vcc_lo, v0, v84
	s_wait_alu 0xfffd
	v_add_co_ci_u32_e64 v1, null, 0, v1, vcc_lo
	global_load_b128 v[0:3], v[0:1], off
	s_wait_loadcnt 0x0
	ds_store_b128 v66, v[0:3]
	v_add_co_u32 v0, vcc_lo, s26, v14
	s_wait_alu 0xfffd
	v_add_co_ci_u32_e64 v1, null, s27, v15, vcc_lo
	s_delay_alu instid0(VALU_DEP_2) | instskip(SKIP_1) | instid1(VALU_DEP_2)
	v_add_co_u32 v0, vcc_lo, v0, v84
	s_wait_alu 0xfffd
	v_add_co_ci_u32_e64 v1, null, 0, v1, vcc_lo
	global_load_b128 v[0:3], v[0:1], off
	s_wait_loadcnt 0x0
	ds_store_b128 v67, v[0:3]
	v_add_co_u32 v0, vcc_lo, s26, v16
	s_wait_alu 0xfffd
	v_add_co_ci_u32_e64 v1, null, s27, v17, vcc_lo
	s_delay_alu instid0(VALU_DEP_2) | instskip(SKIP_1) | instid1(VALU_DEP_2)
	v_add_co_u32 v0, vcc_lo, v0, v84
	s_wait_alu 0xfffd
	v_add_co_ci_u32_e64 v1, null, 0, v1, vcc_lo
	global_load_b128 v[0:3], v[0:1], off
	s_wait_loadcnt 0x0
	ds_store_b128 v69, v[0:3]
	v_add_co_u32 v0, vcc_lo, s26, v18
	s_wait_alu 0xfffd
	v_add_co_ci_u32_e64 v1, null, s27, v19, vcc_lo
	s_delay_alu instid0(VALU_DEP_2) | instskip(SKIP_1) | instid1(VALU_DEP_2)
	v_add_co_u32 v0, vcc_lo, v0, v84
	s_wait_alu 0xfffd
	v_add_co_ci_u32_e64 v1, null, 0, v1, vcc_lo
	global_load_b128 v[0:3], v[0:1], off
	s_wait_loadcnt 0x0
	ds_store_b128 v70, v[0:3]
	v_add_co_u32 v0, vcc_lo, s26, v20
	s_wait_alu 0xfffd
	v_add_co_ci_u32_e64 v1, null, s27, v21, vcc_lo
	s_delay_alu instid0(VALU_DEP_2) | instskip(SKIP_1) | instid1(VALU_DEP_2)
	v_add_co_u32 v0, vcc_lo, v0, v84
	s_wait_alu 0xfffd
	v_add_co_ci_u32_e64 v1, null, 0, v1, vcc_lo
	global_load_b128 v[0:3], v[0:1], off
	s_wait_loadcnt 0x0
	ds_store_b128 v71, v[0:3]
	v_add_co_u32 v0, vcc_lo, s26, v22
	s_wait_alu 0xfffd
	v_add_co_ci_u32_e64 v1, null, s27, v23, vcc_lo
	s_mul_u64 s[26:27], s[10:11], s[14:15]
	v_add_co_u32 v0, vcc_lo, v0, v84
	s_wait_alu 0xfffd
	v_add_co_ci_u32_e64 v1, null, 0, v1, vcc_lo
	v_cmp_gt_i32_e32 vcc_lo, 32, v65
	s_wait_alu 0xfffe
	s_lshl_b64 s[26:27], s[26:27], 2
	global_load_b128 v[0:3], v[0:1], off
	s_wait_alu 0xfffe
	s_add_nc_u64 s[26:27], s[8:9], s[26:27]
	s_wait_loadcnt 0x0
	ds_store_b128 v72, v[0:3]
	s_wait_dscnt 0x0
	s_barrier_signal -1
	s_barrier_wait -1
	global_inv scope:SCOPE_SE
	ds_load_b128 v[48:51], v74
	ds_load_b128 v[107:110], v74 offset:4608
	ds_load_b128 v[111:114], v74 offset:9216
	;; [unrolled: 1-line block ×3, first 2 shown]
	ds_load_b128 v[119:122], v73
	ds_load_b128 v[123:126], v73 offset:128
	ds_load_b128 v[127:130], v73 offset:256
	;; [unrolled: 1-line block ×3, first 2 shown]
	v_mov_b32_e32 v0, 0
	s_wait_dscnt 0x3
	;;#ASMSTART
	v_dot2_f32_f16 v0, v48, v119, v0
	;;#ASMEND
	;;#ASMSTART
	v_dot2_f32_f16 v0, v49, v120, v0
	;;#ASMEND
	;; [unrolled: 3-line block ×3, first 2 shown]
	v_dual_mov_b32 v1, 0 :: v_dual_mov_b32 v2, 0
	;;#ASMSTART
	v_dot2_f32_f16 v0, v51, v122, v0
	;;#ASMEND
	s_wait_dscnt 0x2
	;;#ASMSTART
	v_dot2_f32_f16 v1, v48, v123, v1
	;;#ASMEND
	;;#ASMSTART
	v_dot2_f32_f16 v1, v49, v124, v1
	;;#ASMEND
	;; [unrolled: 3-line block ×4, first 2 shown]
	s_wait_dscnt 0x1
	;;#ASMSTART
	v_dot2_f32_f16 v2, v48, v127, v2
	;;#ASMEND
	;;#ASMSTART
	v_dot2_f32_f16 v2, v49, v128, v2
	;;#ASMEND
	;; [unrolled: 3-line block ×3, first 2 shown]
	v_mov_b32_e32 v3, 0
	;;#ASMSTART
	v_dot2_f32_f16 v2, v51, v130, v2
	;;#ASMEND
	s_wait_dscnt 0x0
	;;#ASMSTART
	v_dot2_f32_f16 v3, v48, v131, v3
	;;#ASMEND
	;;#ASMSTART
	v_dot2_f32_f16 v3, v49, v132, v3
	;;#ASMEND
	;; [unrolled: 3-line block ×7, first 2 shown]
	v_dual_mov_b32 v50, 0 :: v_dual_mov_b32 v49, 0
	;;#ASMSTART
	v_dot2_f32_f16 v52, v110, v122, v52
	;;#ASMEND
	;;#ASMSTART
	v_dot2_f32_f16 v50, v107, v123, v50
	;;#ASMEND
	;; [unrolled: 3-line block ×8, first 2 shown]
	v_mov_b32_e32 v48, 0
	;;#ASMSTART
	v_dot2_f32_f16 v49, v110, v130, v49
	;;#ASMEND
	;;#ASMSTART
	v_dot2_f32_f16 v48, v107, v131, v48
	;;#ASMEND
	;; [unrolled: 3-line block ×16, first 2 shown]
	v_mov_b32_e32 v51, 0
	;;#ASMSTART
	v_dot2_f32_f16 v53, v114, v130, v53
	;;#ASMEND
	;;#ASMSTART
	v_dot2_f32_f16 v51, v111, v131, v51
	;;#ASMEND
	;; [unrolled: 3-line block ×4, first 2 shown]
	v_mov_b32_e32 v107, 0
	;;#ASMSTART
	v_dot2_f32_f16 v51, v114, v134, v51
	;;#ASMEND
	;;#ASMSTART
	v_dot2_f32_f16 v107, v115, v119, v107
	;;#ASMEND
	;; [unrolled: 3-line block ×17, first 2 shown]
	ds_load_b128 v[108:111], v74 offset:16
	ds_load_b128 v[112:115], v74 offset:4624
	;; [unrolled: 1-line block ×8, first 2 shown]
	s_wait_dscnt 0x3
	;;#ASMSTART
	v_dot2_f32_f16 v0, v108, v124, v0
	;;#ASMEND
	;;#ASMSTART
	v_dot2_f32_f16 v0, v109, v125, v0
	;;#ASMEND
	;;#ASMSTART
	v_dot2_f32_f16 v0, v110, v126, v0
	;;#ASMEND
	;;#ASMSTART
	v_dot2_f32_f16 v0, v111, v127, v0
	;;#ASMEND
	s_wait_dscnt 0x2
	;;#ASMSTART
	v_dot2_f32_f16 v1, v108, v128, v1
	;;#ASMEND
	;;#ASMSTART
	v_dot2_f32_f16 v1, v109, v129, v1
	;;#ASMEND
	;;#ASMSTART
	v_dot2_f32_f16 v1, v110, v130, v1
	;;#ASMEND
	;;#ASMSTART
	v_dot2_f32_f16 v1, v111, v131, v1
	;;#ASMEND
	;; [unrolled: 13-line block ×4, first 2 shown]
	;;#ASMSTART
	v_dot2_f32_f16 v52, v112, v124, v52
	;;#ASMEND
	;;#ASMSTART
	v_dot2_f32_f16 v52, v113, v125, v52
	;;#ASMEND
	;; [unrolled: 3-line block ×48, first 2 shown]
	ds_load_b128 v[108:111], v74 offset:32
	ds_load_b128 v[112:115], v74 offset:4640
	;; [unrolled: 1-line block ×8, first 2 shown]
	s_wait_dscnt 0x3
	;;#ASMSTART
	v_dot2_f32_f16 v0, v108, v124, v0
	;;#ASMEND
	;;#ASMSTART
	v_dot2_f32_f16 v0, v109, v125, v0
	;;#ASMEND
	;;#ASMSTART
	v_dot2_f32_f16 v0, v110, v126, v0
	;;#ASMEND
	;;#ASMSTART
	v_dot2_f32_f16 v0, v111, v127, v0
	;;#ASMEND
	s_wait_dscnt 0x2
	;;#ASMSTART
	v_dot2_f32_f16 v1, v108, v128, v1
	;;#ASMEND
	;;#ASMSTART
	v_dot2_f32_f16 v1, v109, v129, v1
	;;#ASMEND
	;;#ASMSTART
	v_dot2_f32_f16 v1, v110, v130, v1
	;;#ASMEND
	;;#ASMSTART
	v_dot2_f32_f16 v1, v111, v131, v1
	;;#ASMEND
	;; [unrolled: 13-line block ×4, first 2 shown]
	;;#ASMSTART
	v_dot2_f32_f16 v52, v112, v124, v52
	;;#ASMEND
	;;#ASMSTART
	v_dot2_f32_f16 v52, v113, v125, v52
	;;#ASMEND
	;; [unrolled: 3-line block ×48, first 2 shown]
	ds_load_b128 v[108:111], v74 offset:48
	ds_load_b128 v[112:115], v74 offset:4656
	;; [unrolled: 1-line block ×8, first 2 shown]
	s_wait_dscnt 0x3
	;;#ASMSTART
	v_dot2_f32_f16 v0, v108, v124, v0
	;;#ASMEND
	;;#ASMSTART
	v_dot2_f32_f16 v0, v109, v125, v0
	;;#ASMEND
	;;#ASMSTART
	v_dot2_f32_f16 v0, v110, v126, v0
	;;#ASMEND
	;;#ASMSTART
	v_dot2_f32_f16 v0, v111, v127, v0
	;;#ASMEND
	s_wait_dscnt 0x2
	;;#ASMSTART
	v_dot2_f32_f16 v1, v108, v128, v1
	;;#ASMEND
	;;#ASMSTART
	v_dot2_f32_f16 v1, v109, v129, v1
	;;#ASMEND
	;;#ASMSTART
	v_dot2_f32_f16 v1, v110, v130, v1
	;;#ASMEND
	;;#ASMSTART
	v_dot2_f32_f16 v1, v111, v131, v1
	;;#ASMEND
	;; [unrolled: 13-line block ×4, first 2 shown]
	;;#ASMSTART
	v_dot2_f32_f16 v52, v112, v124, v52
	;;#ASMEND
	;;#ASMSTART
	v_dot2_f32_f16 v52, v113, v125, v52
	;;#ASMEND
	;; [unrolled: 3-line block ×48, first 2 shown]
	ds_load_b128 v[108:111], v74 offset:64
	ds_load_b128 v[112:115], v74 offset:4672
	;; [unrolled: 1-line block ×8, first 2 shown]
	s_wait_dscnt 0x3
	;;#ASMSTART
	v_dot2_f32_f16 v0, v108, v124, v0
	;;#ASMEND
	;;#ASMSTART
	v_dot2_f32_f16 v0, v109, v125, v0
	;;#ASMEND
	;;#ASMSTART
	v_dot2_f32_f16 v0, v110, v126, v0
	;;#ASMEND
	;;#ASMSTART
	v_dot2_f32_f16 v0, v111, v127, v0
	;;#ASMEND
	s_wait_dscnt 0x2
	;;#ASMSTART
	v_dot2_f32_f16 v1, v108, v128, v1
	;;#ASMEND
	;;#ASMSTART
	v_dot2_f32_f16 v1, v109, v129, v1
	;;#ASMEND
	;;#ASMSTART
	v_dot2_f32_f16 v1, v110, v130, v1
	;;#ASMEND
	;;#ASMSTART
	v_dot2_f32_f16 v1, v111, v131, v1
	;;#ASMEND
	;; [unrolled: 13-line block ×4, first 2 shown]
	;;#ASMSTART
	v_dot2_f32_f16 v52, v112, v124, v52
	;;#ASMEND
	;;#ASMSTART
	v_dot2_f32_f16 v52, v113, v125, v52
	;;#ASMEND
	;; [unrolled: 3-line block ×48, first 2 shown]
	ds_load_b128 v[108:111], v74 offset:80
	ds_load_b128 v[112:115], v74 offset:4688
	;; [unrolled: 1-line block ×8, first 2 shown]
	s_wait_dscnt 0x3
	;;#ASMSTART
	v_dot2_f32_f16 v0, v108, v124, v0
	;;#ASMEND
	;;#ASMSTART
	v_dot2_f32_f16 v0, v109, v125, v0
	;;#ASMEND
	;;#ASMSTART
	v_dot2_f32_f16 v0, v110, v126, v0
	;;#ASMEND
	;;#ASMSTART
	v_dot2_f32_f16 v0, v111, v127, v0
	;;#ASMEND
	s_wait_dscnt 0x2
	;;#ASMSTART
	v_dot2_f32_f16 v1, v108, v128, v1
	;;#ASMEND
	;;#ASMSTART
	v_dot2_f32_f16 v1, v109, v129, v1
	;;#ASMEND
	;;#ASMSTART
	v_dot2_f32_f16 v1, v110, v130, v1
	;;#ASMEND
	;;#ASMSTART
	v_dot2_f32_f16 v1, v111, v131, v1
	;;#ASMEND
	;; [unrolled: 13-line block ×4, first 2 shown]
	;;#ASMSTART
	v_dot2_f32_f16 v52, v112, v124, v52
	;;#ASMEND
	;;#ASMSTART
	v_dot2_f32_f16 v52, v113, v125, v52
	;;#ASMEND
	;; [unrolled: 3-line block ×48, first 2 shown]
	ds_load_b128 v[108:111], v74 offset:96
	ds_load_b128 v[112:115], v74 offset:4704
	;; [unrolled: 1-line block ×8, first 2 shown]
	s_wait_dscnt 0x3
	;;#ASMSTART
	v_dot2_f32_f16 v0, v108, v124, v0
	;;#ASMEND
	;;#ASMSTART
	v_dot2_f32_f16 v0, v109, v125, v0
	;;#ASMEND
	;;#ASMSTART
	v_dot2_f32_f16 v0, v110, v126, v0
	;;#ASMEND
	;;#ASMSTART
	v_dot2_f32_f16 v0, v111, v127, v0
	;;#ASMEND
	s_wait_dscnt 0x2
	;;#ASMSTART
	v_dot2_f32_f16 v1, v108, v128, v1
	;;#ASMEND
	;;#ASMSTART
	v_dot2_f32_f16 v1, v109, v129, v1
	;;#ASMEND
	;;#ASMSTART
	v_dot2_f32_f16 v1, v110, v130, v1
	;;#ASMEND
	;;#ASMSTART
	v_dot2_f32_f16 v1, v111, v131, v1
	;;#ASMEND
	;; [unrolled: 13-line block ×4, first 2 shown]
	;;#ASMSTART
	v_dot2_f32_f16 v52, v112, v124, v52
	;;#ASMEND
	;;#ASMSTART
	v_dot2_f32_f16 v52, v113, v125, v52
	;;#ASMEND
	;; [unrolled: 3-line block ×48, first 2 shown]
	ds_load_b128 v[108:111], v74 offset:112
	ds_load_b128 v[112:115], v74 offset:4720
	;; [unrolled: 1-line block ×8, first 2 shown]
	s_wait_dscnt 0x3
	;;#ASMSTART
	v_dot2_f32_f16 v0, v108, v124, v0
	;;#ASMEND
	;;#ASMSTART
	v_dot2_f32_f16 v0, v109, v125, v0
	;;#ASMEND
	;;#ASMSTART
	v_dot2_f32_f16 v0, v110, v126, v0
	;;#ASMEND
	;;#ASMSTART
	v_dot2_f32_f16 v0, v111, v127, v0
	;;#ASMEND
	s_wait_dscnt 0x2
	;;#ASMSTART
	v_dot2_f32_f16 v1, v108, v128, v1
	;;#ASMEND
	;;#ASMSTART
	v_dot2_f32_f16 v1, v109, v129, v1
	;;#ASMEND
	;;#ASMSTART
	v_dot2_f32_f16 v1, v110, v130, v1
	;;#ASMEND
	;;#ASMSTART
	v_dot2_f32_f16 v1, v111, v131, v1
	;;#ASMEND
	;; [unrolled: 13-line block ×3, first 2 shown]
	s_wait_dscnt 0x0
	;;#ASMSTART
	v_dot2_f32_f16 v3, v108, v136, v3
	;;#ASMEND
	;;#ASMSTART
	v_dot2_f32_f16 v3, v109, v137, v3
	;;#ASMEND
	s_wait_alu 0xfffd
	v_cndmask_b32_e32 v109, v11, v65, vcc_lo
	v_cmp_gt_i32_e32 vcc_lo, 32, v62
	;;#ASMSTART
	v_dot2_f32_f16 v3, v110, v138, v3
	;;#ASMEND
	;;#ASMSTART
	v_dot2_f32_f16 v3, v111, v139, v3
	;;#ASMEND
	;; [unrolled: 3-line block ×7, first 2 shown]
	s_wait_alu 0xfffd
	v_dual_cndmask_b32 v109, v11, v62 :: v_dual_lshlrev_b32 v110, 2, v109
	v_cmp_gt_i32_e32 vcc_lo, 32, v61
	;;#ASMSTART
	v_dot2_f32_f16 v50, v113, v129, v50
	;;#ASMEND
	;;#ASMSTART
	v_dot2_f32_f16 v50, v114, v130, v50
	;;#ASMEND
	;; [unrolled: 3-line block ×6, first 2 shown]
	v_lshlrev_b32_e32 v111, 2, v109
	s_wait_alu 0xfffd
	v_cndmask_b32_e32 v109, v11, v61, vcc_lo
	v_cmp_gt_i32_e32 vcc_lo, 32, v60
	;;#ASMSTART
	v_dot2_f32_f16 v49, v115, v135, v49
	;;#ASMEND
	;;#ASMSTART
	v_dot2_f32_f16 v48, v112, v136, v48
	;;#ASMEND
	;; [unrolled: 3-line block ×7, first 2 shown]
	s_wait_alu 0xfffd
	v_dual_cndmask_b32 v109, v11, v60 :: v_dual_lshlrev_b32 v112, 2, v109
	v_cmp_gt_i32_e32 vcc_lo, 32, v58
	;;#ASMSTART
	v_dot2_f32_f16 v101, v118, v126, v101
	;;#ASMEND
	;;#ASMSTART
	v_dot2_f32_f16 v101, v119, v127, v101
	;;#ASMEND
	;; [unrolled: 3-line block ×6, first 2 shown]
	v_add_nc_u32_e32 v108, s10, v4
	v_lshlrev_b32_e32 v113, 2, v109
	s_wait_alu 0xfffd
	v_cndmask_b32_e32 v109, v11, v58, vcc_lo
	;;#ASMSTART
	v_dot2_f32_f16 v53, v116, v132, v53
	;;#ASMEND
	;;#ASMSTART
	v_dot2_f32_f16 v53, v117, v133, v53
	;;#ASMEND
	;; [unrolled: 3-line block ×4, first 2 shown]
	v_lshlrev_b32_e32 v114, 2, v109
	v_ashrrev_i32_e32 v109, 31, v108
	;;#ASMSTART
	v_dot2_f32_f16 v51, v116, v136, v51
	;;#ASMEND
	;;#ASMSTART
	v_dot2_f32_f16 v51, v117, v137, v51
	;;#ASMEND
	;; [unrolled: 3-line block ×4, first 2 shown]
	v_lshlrev_b64_e32 v[108:109], 1, v[108:109]
	;;#ASMSTART
	v_dot2_f32_f16 v107, v120, v124, v107
	;;#ASMEND
	;;#ASMSTART
	v_dot2_f32_f16 v107, v121, v125, v107
	;;#ASMEND
	;; [unrolled: 3-line block ×7, first 2 shown]
	v_add_co_u32 v108, vcc_lo, s30, v108
	;;#ASMSTART
	v_dot2_f32_f16 v103, v123, v131, v103
	;;#ASMEND
	;;#ASMSTART
	v_dot2_f32_f16 v102, v120, v132, v102
	;;#ASMEND
	;; [unrolled: 3-line block ×3, first 2 shown]
	s_wait_alu 0xfffd
	v_add_co_ci_u32_e64 v109, null, s31, v109, vcc_lo
	;;#ASMSTART
	v_dot2_f32_f16 v102, v122, v134, v102
	;;#ASMEND
	;;#ASMSTART
	v_dot2_f32_f16 v102, v123, v135, v102
	;;#ASMEND
	;; [unrolled: 3-line block ×6, first 2 shown]
	s_clause 0x1
	global_load_u16 v115, v[108:109], off
	global_load_u16 v117, v[108:109], off offset:64
	s_wait_loadcnt 0x1
	v_cvt_f32_f16_e32 v115, v115
	s_wait_loadcnt 0x0
	v_cvt_f32_f16_e32 v117, v117
	s_delay_alu instid0(VALU_DEP_2) | instskip(NEXT) | instid1(VALU_DEP_2)
	v_add_f32_e32 v116, v0, v115
	v_add_f32_e32 v118, v52, v117
	v_dual_add_f32 v123, v49, v117 :: v_dual_add_f32 v122, v2, v115
	s_delay_alu instid0(VALU_DEP_3) | instskip(NEXT) | instid1(VALU_DEP_3)
	v_add_f32_e32 v0, 0x40051340, v116
	v_add_f32_e32 v52, 0x40051340, v118
	s_delay_alu instid0(VALU_DEP_3) | instskip(NEXT) | instid1(VALU_DEP_2)
	v_add_f32_e32 v2, 0x40051340, v122
	v_max3_num_f32 v0, v47, v0, v52
	s_clause 0x1
	global_load_u16 v52, v[108:109], off offset:128
	global_load_u16 v108, v[108:109], off offset:192
	s_wait_loadcnt 0x0
	s_barrier_signal -1
	s_barrier_wait -1
	global_inv scope:SCOPE_SE
	v_cvt_f32_f16_e32 v52, v52
	v_cvt_f32_f16_e32 v108, v108
	s_delay_alu instid0(VALU_DEP_2) | instskip(NEXT) | instid1(VALU_DEP_2)
	v_add_f32_e32 v101, v101, v52
	v_add_f32_e32 v107, v107, v108
	;; [unrolled: 1-line block ×4, first 2 shown]
	s_delay_alu instid0(VALU_DEP_4) | instskip(NEXT) | instid1(VALU_DEP_3)
	v_dual_add_f32 v124, v53, v52 :: v_dual_add_f32 v119, 0x40051340, v101
	v_dual_add_f32 v109, 0x40051340, v107 :: v_dual_add_f32 v54, 0x40051340, v121
	v_add_f32_e32 v103, v102, v108
	v_dual_add_f32 v53, v48, v117 :: v_dual_add_f32 v52, v51, v52
	s_delay_alu instid0(VALU_DEP_3) | instskip(SKIP_1) | instid1(VALU_DEP_3)
	v_max3_num_f32 v0, v0, v119, v109
	v_add_f32_e32 v119, v50, v117
	v_add_f32_e32 v48, 0x40051340, v53
	ds_bpermute_b32 v109, v110, v0
	s_wait_dscnt 0x0
	v_dual_add_f32 v50, 0x40051340, v119 :: v_dual_max_num_f32 v109, v109, v109
	s_delay_alu instid0(VALU_DEP_1) | instskip(SKIP_3) | instid1(VALU_DEP_1)
	v_max_num_f32_e32 v0, v0, v109
	ds_bpermute_b32 v109, v111, v0
	s_wait_dscnt 0x0
	v_max_num_f32_e32 v109, v109, v109
	v_max_num_f32_e32 v0, v0, v109
	ds_bpermute_b32 v109, v112, v0
	s_wait_dscnt 0x0
	v_max_num_f32_e32 v109, v109, v109
	s_delay_alu instid0(VALU_DEP_1) | instskip(SKIP_3) | instid1(VALU_DEP_1)
	v_max_num_f32_e32 v0, v0, v109
	ds_bpermute_b32 v109, v113, v0
	s_wait_dscnt 0x0
	v_max_num_f32_e32 v109, v109, v109
	v_max_num_f32_e32 v0, v0, v109
	ds_bpermute_b32 v109, v114, v0
	s_wait_dscnt 0x0
	v_max_num_f32_e32 v109, v109, v109
	s_delay_alu instid0(VALU_DEP_1) | instskip(NEXT) | instid1(VALU_DEP_1)
	v_dual_max_num_f32 v0, v0, v109 :: v_dual_add_f32 v109, v1, v115
	v_add_f32_e32 v1, 0x40051340, v109
	s_delay_alu instid0(VALU_DEP_1) | instskip(SKIP_1) | instid1(VALU_DEP_1)
	v_max3_num_f32 v1, v45, v1, v50
	v_add_f32_e32 v50, 0x40051340, v120
	v_max3_num_f32 v1, v1, v50, v54
	v_add_f32_e32 v54, v3, v115
	v_add_f32_e32 v49, 0x40051340, v123
	ds_bpermute_b32 v50, v110, v1
	v_add_f32_e32 v3, 0x40051340, v54
	v_max3_num_f32 v2, v43, v2, v49
	v_add_f32_e32 v49, 0x40051340, v124
	s_delay_alu instid0(VALU_DEP_3) | instskip(SKIP_3) | instid1(VALU_DEP_1)
	v_max3_num_f32 v3, v41, v3, v48
	v_add_f32_e32 v48, 0x40051340, v52
	s_wait_dscnt 0x0
	v_max_num_f32_e32 v50, v50, v50
	v_max_num_f32_e32 v1, v1, v50
	ds_bpermute_b32 v50, v111, v1
	s_wait_dscnt 0x0
	v_max_num_f32_e32 v50, v50, v50
	s_delay_alu instid0(VALU_DEP_1) | instskip(SKIP_3) | instid1(VALU_DEP_1)
	v_max_num_f32_e32 v1, v1, v50
	ds_bpermute_b32 v50, v112, v1
	s_wait_dscnt 0x0
	v_max_num_f32_e32 v50, v50, v50
	v_max_num_f32_e32 v1, v1, v50
	ds_bpermute_b32 v50, v113, v1
	s_wait_dscnt 0x0
	v_max_num_f32_e32 v50, v50, v50
	s_delay_alu instid0(VALU_DEP_1) | instskip(SKIP_3) | instid1(VALU_DEP_1)
	v_max_num_f32_e32 v1, v1, v50
	ds_bpermute_b32 v50, v114, v1
	s_wait_dscnt 0x0
	v_max_num_f32_e32 v50, v50, v50
	v_dual_max_num_f32 v1, v1, v50 :: v_dual_add_f32 v50, 0x40051340, v103
	s_delay_alu instid0(VALU_DEP_1)
	v_max3_num_f32 v2, v2, v49, v50
	v_add_f32_e32 v50, v55, v108
	v_sub_f32_e32 v55, v47, v0
	v_sub_f32_e32 v47, v116, v0
	ds_bpermute_b32 v49, v110, v2
	v_cmp_ngt_f32_e32 vcc_lo, 0xc2ce8ed0, v47
	s_wait_dscnt 0x0
	v_max_num_f32_e32 v49, v49, v49
	s_delay_alu instid0(VALU_DEP_1) | instskip(SKIP_3) | instid1(VALU_DEP_1)
	v_max_num_f32_e32 v2, v2, v49
	ds_bpermute_b32 v49, v111, v2
	s_wait_dscnt 0x0
	v_max_num_f32_e32 v49, v49, v49
	v_max_num_f32_e32 v2, v2, v49
	ds_bpermute_b32 v49, v112, v2
	s_wait_dscnt 0x0
	v_max_num_f32_e32 v49, v49, v49
	s_delay_alu instid0(VALU_DEP_1) | instskip(SKIP_3) | instid1(VALU_DEP_1)
	v_max_num_f32_e32 v2, v2, v49
	ds_bpermute_b32 v49, v113, v2
	s_wait_dscnt 0x0
	v_max_num_f32_e32 v49, v49, v49
	v_max_num_f32_e32 v2, v2, v49
	ds_bpermute_b32 v49, v114, v2
	s_wait_dscnt 0x0
	v_max_num_f32_e32 v49, v49, v49
	s_delay_alu instid0(VALU_DEP_1) | instskip(NEXT) | instid1(VALU_DEP_1)
	v_dual_max_num_f32 v2, v2, v49 :: v_dual_add_f32 v49, 0x40051340, v50
	v_max3_num_f32 v3, v3, v48, v49
	ds_bpermute_b32 v48, v110, v3
	s_wait_dscnt 0x0
	v_max_num_f32_e32 v48, v48, v48
	s_delay_alu instid0(VALU_DEP_1) | instskip(SKIP_3) | instid1(VALU_DEP_1)
	v_max_num_f32_e32 v3, v3, v48
	ds_bpermute_b32 v48, v111, v3
	s_wait_dscnt 0x0
	v_max_num_f32_e32 v48, v48, v48
	v_max_num_f32_e32 v3, v3, v48
	v_sub_f32_e32 v43, v43, v2
	ds_bpermute_b32 v48, v112, v3
	s_wait_dscnt 0x0
	v_max_num_f32_e32 v48, v48, v48
	s_delay_alu instid0(VALU_DEP_1) | instskip(SKIP_3) | instid1(VALU_DEP_1)
	v_max_num_f32_e32 v3, v3, v48
	ds_bpermute_b32 v48, v113, v3
	s_wait_dscnt 0x0
	v_max_num_f32_e32 v48, v48, v48
	v_max_num_f32_e32 v3, v3, v48
	ds_bpermute_b32 v48, v114, v3
	s_wait_dscnt 0x0
	v_max_num_f32_e32 v48, v48, v48
	s_delay_alu instid0(VALU_DEP_1) | instskip(SKIP_1) | instid1(VALU_DEP_2)
	v_dual_max_num_f32 v3, v3, v48 :: v_dual_mul_f32 v48, 0x3fb8aa3b, v47
	v_sub_f32_e32 v103, v103, v2
	v_fma_f32 v49, 0x3fb8aa3b, v47, -v48
	v_rndne_f32_e32 v51, v48
	s_delay_alu instid0(VALU_DEP_2) | instskip(NEXT) | instid1(VALU_DEP_2)
	v_fmac_f32_e32 v49, 0x32a5705f, v47
	v_sub_f32_e32 v48, v48, v51
	s_delay_alu instid0(VALU_DEP_1) | instskip(SKIP_1) | instid1(VALU_DEP_2)
	v_add_f32_e32 v48, v48, v49
	v_cvt_i32_f32_e32 v49, v51
	v_exp_f32_e32 v48, v48
	s_delay_alu instid0(TRANS32_DEP_1) | instskip(SKIP_1) | instid1(VALU_DEP_1)
	v_ldexp_f32 v48, v48, v49
	s_wait_alu 0xfffd
	v_cndmask_b32_e32 v48, 0, v48, vcc_lo
	v_cmp_nlt_f32_e32 vcc_lo, 0x42b17218, v47
	s_wait_alu 0xfffd
	s_delay_alu instid0(VALU_DEP_2) | instskip(SKIP_1) | instid1(VALU_DEP_2)
	v_cndmask_b32_e32 v47, 0x7f800000, v48, vcc_lo
	v_sub_f32_e32 v48, v118, v0
	v_cvt_f16_f32_e32 v51, v47
	s_delay_alu instid0(VALU_DEP_2) | instskip(SKIP_1) | instid1(VALU_DEP_2)
	v_mul_f32_e32 v49, 0x3fb8aa3b, v48
	v_cmp_ngt_f32_e32 vcc_lo, 0xc2ce8ed0, v48
	v_fma_f32 v102, 0x3fb8aa3b, v48, -v49
	v_rndne_f32_e32 v108, v49
	s_delay_alu instid0(VALU_DEP_2) | instskip(NEXT) | instid1(VALU_DEP_2)
	v_fmac_f32_e32 v102, 0x32a5705f, v48
	v_sub_f32_e32 v49, v49, v108
	s_delay_alu instid0(VALU_DEP_1) | instskip(SKIP_1) | instid1(VALU_DEP_2)
	v_add_f32_e32 v49, v49, v102
	v_cvt_i32_f32_e32 v102, v108
	v_exp_f32_e32 v49, v49
	s_delay_alu instid0(TRANS32_DEP_1) | instskip(SKIP_1) | instid1(VALU_DEP_1)
	v_ldexp_f32 v49, v49, v102
	s_wait_alu 0xfffd
	v_cndmask_b32_e32 v49, 0, v49, vcc_lo
	v_cmp_nlt_f32_e32 vcc_lo, 0x42b17218, v48
	s_wait_alu 0xfffd
	s_delay_alu instid0(VALU_DEP_2) | instskip(NEXT) | instid1(VALU_DEP_1)
	v_cndmask_b32_e32 v48, 0x7f800000, v49, vcc_lo
	v_add_f32_e32 v47, v47, v48
	v_cvt_f16_f32_e32 v49, v48
	v_sub_f32_e32 v48, v101, v0
	s_delay_alu instid0(VALU_DEP_1) | instskip(SKIP_1) | instid1(VALU_DEP_2)
	v_mul_f32_e32 v101, 0x3fb8aa3b, v48
	v_cmp_ngt_f32_e32 vcc_lo, 0xc2ce8ed0, v48
	v_fma_f32 v102, 0x3fb8aa3b, v48, -v101
	v_rndne_f32_e32 v108, v101
	s_delay_alu instid0(VALU_DEP_2) | instskip(NEXT) | instid1(VALU_DEP_2)
	v_fmac_f32_e32 v102, 0x32a5705f, v48
	v_sub_f32_e32 v101, v101, v108
	s_delay_alu instid0(VALU_DEP_1) | instskip(SKIP_1) | instid1(VALU_DEP_2)
	v_add_f32_e32 v101, v101, v102
	v_cvt_i32_f32_e32 v102, v108
	v_exp_f32_e32 v101, v101
	s_delay_alu instid0(TRANS32_DEP_1) | instskip(SKIP_1) | instid1(VALU_DEP_1)
	v_ldexp_f32 v101, v101, v102
	s_wait_alu 0xfffd
	v_cndmask_b32_e32 v101, 0, v101, vcc_lo
	v_cmp_nlt_f32_e32 vcc_lo, 0x42b17218, v48
	s_wait_alu 0xfffd
	s_delay_alu instid0(VALU_DEP_2) | instskip(SKIP_3) | instid1(VALU_DEP_4)
	v_dual_cndmask_b32 v48, 0x7f800000, v101 :: v_dual_sub_f32 v101, v107, v0
	v_sub_f32_e32 v53, v53, v3
	v_sub_f32_e32 v50, v50, v3
	;; [unrolled: 1-line block ×3, first 2 shown]
	v_dual_add_f32 v47, v48, v47 :: v_dual_mul_f32 v102, 0x3fb8aa3b, v101
	v_cmp_ngt_f32_e32 vcc_lo, 0xc2ce8ed0, v101
	v_cvt_f16_f32_e32 v48, v48
	s_delay_alu instid0(VALU_DEP_3) | instskip(SKIP_1) | instid1(VALU_DEP_1)
	v_fma_f32 v107, 0x3fb8aa3b, v101, -v102
	v_rndne_f32_e32 v108, v102
	v_dual_fmac_f32 v107, 0x32a5705f, v101 :: v_dual_sub_f32 v102, v102, v108
	s_delay_alu instid0(VALU_DEP_1) | instskip(SKIP_1) | instid1(VALU_DEP_2)
	v_add_f32_e32 v102, v102, v107
	v_cvt_i32_f32_e32 v107, v108
	v_exp_f32_e32 v102, v102
	s_delay_alu instid0(TRANS32_DEP_1) | instskip(SKIP_1) | instid1(VALU_DEP_1)
	v_ldexp_f32 v102, v102, v107
	s_wait_alu 0xfffd
	v_cndmask_b32_e32 v102, 0, v102, vcc_lo
	v_cmp_nlt_f32_e32 vcc_lo, 0x42b17218, v101
	s_wait_alu 0xfffd
	s_delay_alu instid0(VALU_DEP_2) | instskip(SKIP_1) | instid1(VALU_DEP_2)
	v_cndmask_b32_e32 v102, 0x7f800000, v102, vcc_lo
	v_cmp_ngt_f32_e32 vcc_lo, 0xc2ce8ed0, v55
	v_add_f32_e32 v101, v102, v47
	v_cvt_f16_f32_e32 v47, v102
	v_mul_f32_e32 v102, 0x3fb8aa3b, v55
	s_delay_alu instid0(VALU_DEP_1) | instskip(SKIP_1) | instid1(VALU_DEP_1)
	v_fma_f32 v107, 0x3fb8aa3b, v55, -v102
	v_rndne_f32_e32 v108, v102
	v_dual_fmac_f32 v107, 0x32a5705f, v55 :: v_dual_sub_f32 v102, v102, v108
	s_delay_alu instid0(VALU_DEP_1) | instskip(SKIP_3) | instid1(VALU_DEP_4)
	v_add_f32_e32 v102, v102, v107
	v_cvt_i32_f32_e32 v107, v108
	v_sub_f32_e32 v108, v45, v1
	v_sub_f32_e32 v45, v109, v1
	v_exp_f32_e32 v102, v102
	s_delay_alu instid0(TRANS32_DEP_1) | instskip(SKIP_1) | instid1(VALU_DEP_1)
	v_ldexp_f32 v102, v102, v107
	s_wait_alu 0xfffd
	v_cndmask_b32_e32 v102, 0, v102, vcc_lo
	v_cmp_nlt_f32_e32 vcc_lo, 0x42b17218, v55
	s_wait_alu 0xfffd
	s_delay_alu instid0(VALU_DEP_2) | instskip(SKIP_1) | instid1(VALU_DEP_2)
	v_cndmask_b32_e32 v55, 0x7f800000, v102, vcc_lo
	v_cmp_ngt_f32_e32 vcc_lo, 0xc2ce8ed0, v45
	v_fmac_f32_e32 v101, v46, v55
	v_cvt_f16_f32_e32 v46, v55
	s_delay_alu instid0(VALU_DEP_1) | instskip(NEXT) | instid1(VALU_DEP_1)
	v_and_b32_e32 v46, 0xffff, v46
	v_mul_u32_u24_e32 v107, 0x10001, v46
	v_mul_f32_e32 v46, 0x3fb8aa3b, v45
	s_delay_alu instid0(VALU_DEP_1) | instskip(SKIP_1) | instid1(VALU_DEP_1)
	v_fma_f32 v55, 0x3fb8aa3b, v45, -v46
	v_rndne_f32_e32 v102, v46
	v_dual_sub_f32 v46, v46, v102 :: v_dual_fmac_f32 v55, 0x32a5705f, v45
	s_delay_alu instid0(VALU_DEP_1) | instskip(SKIP_1) | instid1(VALU_DEP_2)
	v_add_f32_e32 v46, v46, v55
	v_cvt_i32_f32_e32 v55, v102
	v_exp_f32_e32 v46, v46
	s_delay_alu instid0(TRANS32_DEP_1) | instskip(SKIP_1) | instid1(VALU_DEP_1)
	v_ldexp_f32 v46, v46, v55
	s_wait_alu 0xfffd
	v_cndmask_b32_e32 v46, 0, v46, vcc_lo
	v_cmp_nlt_f32_e32 vcc_lo, 0x42b17218, v45
	s_wait_alu 0xfffd
	s_delay_alu instid0(VALU_DEP_2) | instskip(NEXT) | instid1(VALU_DEP_1)
	v_dual_cndmask_b32 v45, 0x7f800000, v46 :: v_dual_sub_f32 v46, v119, v1
	v_cvt_f16_f32_e32 v111, v45
	s_delay_alu instid0(VALU_DEP_2) | instskip(SKIP_1) | instid1(VALU_DEP_2)
	v_mul_f32_e32 v55, 0x3fb8aa3b, v46
	v_cmp_ngt_f32_e32 vcc_lo, 0xc2ce8ed0, v46
	v_fma_f32 v102, 0x3fb8aa3b, v46, -v55
	v_rndne_f32_e32 v109, v55
	s_delay_alu instid0(VALU_DEP_1) | instskip(NEXT) | instid1(VALU_DEP_1)
	v_dual_fmac_f32 v102, 0x32a5705f, v46 :: v_dual_sub_f32 v55, v55, v109
	v_add_f32_e32 v55, v55, v102
	v_cvt_i32_f32_e32 v102, v109
	s_delay_alu instid0(VALU_DEP_2) | instskip(NEXT) | instid1(TRANS32_DEP_1)
	v_exp_f32_e32 v55, v55
	v_ldexp_f32 v55, v55, v102
	s_wait_alu 0xfffd
	s_delay_alu instid0(VALU_DEP_1) | instskip(SKIP_2) | instid1(VALU_DEP_2)
	v_cndmask_b32_e32 v55, 0, v55, vcc_lo
	v_cmp_nlt_f32_e32 vcc_lo, 0x42b17218, v46
	s_wait_alu 0xfffd
	v_cndmask_b32_e32 v46, 0x7f800000, v55, vcc_lo
	s_delay_alu instid0(VALU_DEP_1) | instskip(SKIP_2) | instid1(VALU_DEP_1)
	v_add_f32_e32 v45, v45, v46
	v_cvt_f16_f32_e32 v55, v46
	v_sub_f32_e32 v46, v120, v1
	v_mul_f32_e32 v102, 0x3fb8aa3b, v46
	v_cmp_ngt_f32_e32 vcc_lo, 0xc2ce8ed0, v46
	s_delay_alu instid0(VALU_DEP_2) | instskip(SKIP_1) | instid1(VALU_DEP_2)
	v_fma_f32 v109, 0x3fb8aa3b, v46, -v102
	v_rndne_f32_e32 v110, v102
	v_fmac_f32_e32 v109, 0x32a5705f, v46
	s_delay_alu instid0(VALU_DEP_2) | instskip(NEXT) | instid1(VALU_DEP_1)
	v_sub_f32_e32 v102, v102, v110
	v_add_f32_e32 v102, v102, v109
	v_cvt_i32_f32_e32 v109, v110
	s_delay_alu instid0(VALU_DEP_2) | instskip(NEXT) | instid1(TRANS32_DEP_1)
	v_exp_f32_e32 v102, v102
	v_ldexp_f32 v102, v102, v109
	s_wait_alu 0xfffd
	s_delay_alu instid0(VALU_DEP_1) | instskip(SKIP_2) | instid1(VALU_DEP_2)
	v_cndmask_b32_e32 v102, 0, v102, vcc_lo
	v_cmp_nlt_f32_e32 vcc_lo, 0x42b17218, v46
	s_wait_alu 0xfffd
	v_cndmask_b32_e32 v46, 0x7f800000, v102, vcc_lo
	v_sub_f32_e32 v102, v121, v1
	s_delay_alu instid0(VALU_DEP_2) | instskip(NEXT) | instid1(VALU_DEP_2)
	v_add_f32_e32 v45, v46, v45
	v_mul_f32_e32 v109, 0x3fb8aa3b, v102
	v_cmp_ngt_f32_e32 vcc_lo, 0xc2ce8ed0, v102
	s_delay_alu instid0(VALU_DEP_2) | instskip(SKIP_1) | instid1(VALU_DEP_1)
	v_fma_f32 v110, 0x3fb8aa3b, v102, -v109
	v_rndne_f32_e32 v112, v109
	v_dual_fmac_f32 v110, 0x32a5705f, v102 :: v_dual_sub_f32 v109, v109, v112
	s_delay_alu instid0(VALU_DEP_1) | instskip(SKIP_1) | instid1(VALU_DEP_2)
	v_add_f32_e32 v109, v109, v110
	v_cvt_i32_f32_e32 v110, v112
	v_exp_f32_e32 v109, v109
	s_delay_alu instid0(TRANS32_DEP_1) | instskip(SKIP_1) | instid1(VALU_DEP_1)
	v_ldexp_f32 v109, v109, v110
	s_wait_alu 0xfffd
	v_cndmask_b32_e32 v109, 0, v109, vcc_lo
	v_cmp_nlt_f32_e32 vcc_lo, 0x42b17218, v102
	s_wait_alu 0xfffd
	s_delay_alu instid0(VALU_DEP_2) | instskip(SKIP_1) | instid1(VALU_DEP_2)
	v_cndmask_b32_e32 v109, 0x7f800000, v109, vcc_lo
	v_cmp_ngt_f32_e32 vcc_lo, 0xc2ce8ed0, v108
	v_add_f32_e32 v102, v109, v45
	v_cvt_f16_f32_e32 v45, v109
	v_mul_f32_e32 v109, 0x3fb8aa3b, v108
	s_delay_alu instid0(VALU_DEP_1) | instskip(SKIP_1) | instid1(VALU_DEP_2)
	v_fma_f32 v110, 0x3fb8aa3b, v108, -v109
	v_rndne_f32_e32 v112, v109
	v_fmac_f32_e32 v110, 0x32a5705f, v108
	s_delay_alu instid0(VALU_DEP_2) | instskip(SKIP_1) | instid1(VALU_DEP_2)
	v_sub_f32_e32 v109, v109, v112
	v_cvt_f16_f32_e32 v46, v46
	v_add_f32_e32 v109, v109, v110
	v_cvt_i32_f32_e32 v110, v112
	s_delay_alu instid0(VALU_DEP_2) | instskip(NEXT) | instid1(TRANS32_DEP_1)
	v_exp_f32_e32 v109, v109
	v_ldexp_f32 v109, v109, v110
	s_wait_alu 0xfffd
	s_delay_alu instid0(VALU_DEP_1) | instskip(SKIP_2) | instid1(VALU_DEP_2)
	v_cndmask_b32_e32 v109, 0, v109, vcc_lo
	v_cmp_nlt_f32_e32 vcc_lo, 0x42b17218, v108
	s_wait_alu 0xfffd
	v_cndmask_b32_e32 v108, 0x7f800000, v109, vcc_lo
	s_delay_alu instid0(VALU_DEP_1) | instskip(SKIP_1) | instid1(VALU_DEP_1)
	v_fmac_f32_e32 v102, v44, v108
	v_cvt_f16_f32_e32 v44, v108
	v_and_b32_e32 v44, 0xffff, v44
	s_delay_alu instid0(VALU_DEP_1) | instskip(SKIP_1) | instid1(VALU_DEP_1)
	v_mul_u32_u24_e32 v108, 0x10001, v44
	v_sub_f32_e32 v44, v122, v2
	v_mul_f32_e32 v109, 0x3fb8aa3b, v44
	v_cmp_ngt_f32_e32 vcc_lo, 0xc2ce8ed0, v44
	s_delay_alu instid0(VALU_DEP_2) | instskip(SKIP_1) | instid1(VALU_DEP_2)
	v_fma_f32 v110, 0x3fb8aa3b, v44, -v109
	v_rndne_f32_e32 v112, v109
	v_fmac_f32_e32 v110, 0x32a5705f, v44
	s_delay_alu instid0(VALU_DEP_2) | instskip(NEXT) | instid1(VALU_DEP_1)
	v_sub_f32_e32 v109, v109, v112
	v_add_f32_e32 v109, v109, v110
	v_cvt_i32_f32_e32 v110, v112
	s_delay_alu instid0(VALU_DEP_2) | instskip(NEXT) | instid1(TRANS32_DEP_1)
	v_exp_f32_e32 v109, v109
	v_ldexp_f32 v109, v109, v110
	s_wait_alu 0xfffd
	s_delay_alu instid0(VALU_DEP_1) | instskip(SKIP_2) | instid1(VALU_DEP_2)
	v_cndmask_b32_e32 v109, 0, v109, vcc_lo
	v_cmp_nlt_f32_e32 vcc_lo, 0x42b17218, v44
	s_wait_alu 0xfffd
	v_dual_cndmask_b32 v44, 0x7f800000, v109 :: v_dual_sub_f32 v109, v123, v2
	s_delay_alu instid0(VALU_DEP_1) | instskip(NEXT) | instid1(VALU_DEP_2)
	v_cvt_f16_f32_e32 v112, v44
	v_mul_f32_e32 v110, 0x3fb8aa3b, v109
	v_cmp_ngt_f32_e32 vcc_lo, 0xc2ce8ed0, v109
	s_delay_alu instid0(VALU_DEP_2) | instskip(SKIP_1) | instid1(VALU_DEP_1)
	v_fma_f32 v113, 0x3fb8aa3b, v109, -v110
	v_rndne_f32_e32 v114, v110
	v_dual_fmac_f32 v113, 0x32a5705f, v109 :: v_dual_sub_f32 v110, v110, v114
	s_delay_alu instid0(VALU_DEP_1) | instskip(SKIP_1) | instid1(VALU_DEP_2)
	v_add_f32_e32 v110, v110, v113
	v_cvt_i32_f32_e32 v113, v114
	v_exp_f32_e32 v110, v110
	s_delay_alu instid0(TRANS32_DEP_1) | instskip(SKIP_1) | instid1(VALU_DEP_1)
	v_ldexp_f32 v110, v110, v113
	s_wait_alu 0xfffd
	v_cndmask_b32_e32 v110, 0, v110, vcc_lo
	v_cmp_nlt_f32_e32 vcc_lo, 0x42b17218, v109
	s_wait_alu 0xfffd
	s_delay_alu instid0(VALU_DEP_2) | instskip(NEXT) | instid1(VALU_DEP_1)
	v_cndmask_b32_e32 v109, 0x7f800000, v110, vcc_lo
	v_add_f32_e32 v44, v44, v109
	v_cvt_f16_f32_e32 v113, v109
	v_sub_f32_e32 v109, v124, v2
	s_delay_alu instid0(VALU_DEP_1) | instskip(SKIP_1) | instid1(VALU_DEP_2)
	v_mul_f32_e32 v110, 0x3fb8aa3b, v109
	v_cmp_ngt_f32_e32 vcc_lo, 0xc2ce8ed0, v109
	v_fma_f32 v114, 0x3fb8aa3b, v109, -v110
	v_rndne_f32_e32 v115, v110
	s_delay_alu instid0(VALU_DEP_2) | instskip(NEXT) | instid1(VALU_DEP_2)
	v_fmac_f32_e32 v114, 0x32a5705f, v109
	v_sub_f32_e32 v110, v110, v115
	s_delay_alu instid0(VALU_DEP_1) | instskip(SKIP_1) | instid1(VALU_DEP_2)
	v_add_f32_e32 v110, v110, v114
	v_cvt_i32_f32_e32 v114, v115
	v_exp_f32_e32 v110, v110
	s_delay_alu instid0(TRANS32_DEP_1) | instskip(SKIP_1) | instid1(VALU_DEP_1)
	v_ldexp_f32 v110, v110, v114
	s_wait_alu 0xfffd
	v_cndmask_b32_e32 v110, 0, v110, vcc_lo
	v_cmp_nlt_f32_e32 vcc_lo, 0x42b17218, v109
	s_wait_alu 0xfffd
	s_delay_alu instid0(VALU_DEP_2) | instskip(SKIP_1) | instid1(VALU_DEP_2)
	v_cndmask_b32_e32 v109, 0x7f800000, v110, vcc_lo
	v_cmp_ngt_f32_e32 vcc_lo, 0xc2ce8ed0, v103
	v_add_f32_e32 v44, v109, v44
	v_cvt_f16_f32_e32 v114, v109
	v_mul_f32_e32 v109, 0x3fb8aa3b, v103
	s_delay_alu instid0(VALU_DEP_1) | instskip(SKIP_1) | instid1(VALU_DEP_2)
	v_fma_f32 v110, 0x3fb8aa3b, v103, -v109
	v_rndne_f32_e32 v115, v109
	v_fmac_f32_e32 v110, 0x32a5705f, v103
	s_delay_alu instid0(VALU_DEP_2) | instskip(NEXT) | instid1(VALU_DEP_1)
	v_sub_f32_e32 v109, v109, v115
	v_add_f32_e32 v109, v109, v110
	v_cvt_i32_f32_e32 v110, v115
	s_delay_alu instid0(VALU_DEP_2) | instskip(NEXT) | instid1(TRANS32_DEP_1)
	v_exp_f32_e32 v109, v109
	v_ldexp_f32 v109, v109, v110
	s_wait_alu 0xfffd
	s_delay_alu instid0(VALU_DEP_1) | instskip(SKIP_2) | instid1(VALU_DEP_2)
	v_cndmask_b32_e32 v109, 0, v109, vcc_lo
	v_cmp_nlt_f32_e32 vcc_lo, 0x42b17218, v103
	s_wait_alu 0xfffd
	v_cndmask_b32_e32 v109, 0x7f800000, v109, vcc_lo
	v_cmp_ngt_f32_e32 vcc_lo, 0xc2ce8ed0, v43
	s_delay_alu instid0(VALU_DEP_2) | instskip(SKIP_2) | instid1(VALU_DEP_1)
	v_add_f32_e32 v103, v109, v44
	v_cvt_f16_f32_e32 v44, v109
	v_mul_f32_e32 v109, 0x3fb8aa3b, v43
	v_fma_f32 v110, 0x3fb8aa3b, v43, -v109
	v_rndne_f32_e32 v115, v109
	s_delay_alu instid0(VALU_DEP_2) | instskip(NEXT) | instid1(VALU_DEP_2)
	v_fmac_f32_e32 v110, 0x32a5705f, v43
	v_sub_f32_e32 v109, v109, v115
	s_delay_alu instid0(VALU_DEP_1) | instskip(SKIP_1) | instid1(VALU_DEP_2)
	v_add_f32_e32 v109, v109, v110
	v_cvt_i32_f32_e32 v110, v115
	v_exp_f32_e32 v109, v109
	s_delay_alu instid0(TRANS32_DEP_1) | instskip(SKIP_1) | instid1(VALU_DEP_1)
	v_ldexp_f32 v109, v109, v110
	s_wait_alu 0xfffd
	v_cndmask_b32_e32 v109, 0, v109, vcc_lo
	v_cmp_nlt_f32_e32 vcc_lo, 0x42b17218, v43
	s_wait_alu 0xfffd
	s_delay_alu instid0(VALU_DEP_2) | instskip(NEXT) | instid1(VALU_DEP_1)
	v_cndmask_b32_e32 v43, 0x7f800000, v109, vcc_lo
	v_fmac_f32_e32 v103, v42, v43
	v_cvt_f16_f32_e32 v42, v43
	s_delay_alu instid0(VALU_DEP_1) | instskip(NEXT) | instid1(VALU_DEP_1)
	v_and_b32_e32 v42, 0xffff, v42
	v_mul_u32_u24_e32 v109, 0x10001, v42
	v_sub_f32_e32 v42, v54, v3
	s_delay_alu instid0(VALU_DEP_1) | instskip(SKIP_1) | instid1(VALU_DEP_2)
	v_mul_f32_e32 v43, 0x3fb8aa3b, v42
	v_cmp_ngt_f32_e32 vcc_lo, 0xc2ce8ed0, v42
	v_fma_f32 v54, 0x3fb8aa3b, v42, -v43
	v_rndne_f32_e32 v110, v43
	s_delay_alu instid0(VALU_DEP_2) | instskip(NEXT) | instid1(VALU_DEP_2)
	v_fmac_f32_e32 v54, 0x32a5705f, v42
	v_sub_f32_e32 v43, v43, v110
	s_delay_alu instid0(VALU_DEP_1) | instskip(SKIP_1) | instid1(VALU_DEP_2)
	v_add_f32_e32 v43, v43, v54
	v_cvt_i32_f32_e32 v54, v110
	v_exp_f32_e32 v43, v43
	s_delay_alu instid0(TRANS32_DEP_1) | instskip(SKIP_1) | instid1(VALU_DEP_1)
	v_ldexp_f32 v43, v43, v54
	s_wait_alu 0xfffd
	v_dual_mul_f32 v54, 0x3fb8aa3b, v53 :: v_dual_cndmask_b32 v43, 0, v43
	s_delay_alu instid0(VALU_DEP_1) | instskip(SKIP_2) | instid1(VALU_DEP_3)
	v_fma_f32 v110, 0x3fb8aa3b, v53, -v54
	v_rndne_f32_e32 v115, v54
	v_cmp_nlt_f32_e32 vcc_lo, 0x42b17218, v42
	v_fmac_f32_e32 v110, 0x32a5705f, v53
	s_delay_alu instid0(VALU_DEP_3) | instskip(SKIP_3) | instid1(VALU_DEP_3)
	v_sub_f32_e32 v54, v54, v115
	s_wait_alu 0xfffd
	v_cndmask_b32_e32 v42, 0x7f800000, v43, vcc_lo
	v_cmp_ngt_f32_e32 vcc_lo, 0xc2ce8ed0, v53
	v_add_f32_e32 v54, v54, v110
	v_cvt_i32_f32_e32 v110, v115
	s_delay_alu instid0(VALU_DEP_4) | instskip(NEXT) | instid1(VALU_DEP_3)
	v_cvt_f16_f32_e32 v43, v42
	v_exp_f32_e32 v54, v54
	s_delay_alu instid0(TRANS32_DEP_1) | instskip(SKIP_1) | instid1(VALU_DEP_1)
	v_ldexp_f32 v54, v54, v110
	s_wait_alu 0xfffd
	v_dual_sub_f32 v41, v41, v3 :: v_dual_cndmask_b32 v54, 0, v54
	v_cmp_nlt_f32_e32 vcc_lo, 0x42b17218, v53
	s_wait_alu 0xfffd
	s_delay_alu instid0(VALU_DEP_2) | instskip(SKIP_2) | instid1(VALU_DEP_2)
	v_cndmask_b32_e32 v53, 0x7f800000, v54, vcc_lo
	v_mul_f32_e32 v54, 0x3fb8aa3b, v52
	v_cmp_ngt_f32_e32 vcc_lo, 0xc2ce8ed0, v52
	v_fma_f32 v110, 0x3fb8aa3b, v52, -v54
	v_rndne_f32_e32 v115, v54
	s_delay_alu instid0(VALU_DEP_2) | instskip(NEXT) | instid1(VALU_DEP_2)
	v_fmac_f32_e32 v110, 0x32a5705f, v52
	v_sub_f32_e32 v54, v54, v115
	v_add_f32_e32 v42, v42, v53
	v_cvt_f16_f32_e32 v53, v53
	s_delay_alu instid0(VALU_DEP_3) | instskip(SKIP_1) | instid1(VALU_DEP_2)
	v_add_f32_e32 v54, v54, v110
	v_cvt_i32_f32_e32 v110, v115
	v_exp_f32_e32 v54, v54
	s_delay_alu instid0(TRANS32_DEP_1) | instskip(SKIP_1) | instid1(VALU_DEP_1)
	v_ldexp_f32 v54, v54, v110
	s_wait_alu 0xfffd
	v_cndmask_b32_e32 v54, 0, v54, vcc_lo
	v_cmp_nlt_f32_e32 vcc_lo, 0x42b17218, v52
	s_wait_alu 0xfffd
	s_delay_alu instid0(VALU_DEP_2) | instskip(SKIP_2) | instid1(VALU_DEP_3)
	v_cndmask_b32_e32 v52, 0x7f800000, v54, vcc_lo
	v_mul_f32_e32 v54, 0x3fb8aa3b, v50
	v_cmp_ngt_f32_e32 vcc_lo, 0xc2ce8ed0, v50
	v_add_f32_e32 v42, v52, v42
	s_delay_alu instid0(VALU_DEP_3) | instskip(SKIP_2) | instid1(VALU_DEP_3)
	v_fma_f32 v110, 0x3fb8aa3b, v50, -v54
	v_rndne_f32_e32 v115, v54
	v_cvt_f16_f32_e32 v52, v52
	v_fmac_f32_e32 v110, 0x32a5705f, v50
	s_delay_alu instid0(VALU_DEP_3) | instskip(NEXT) | instid1(VALU_DEP_1)
	v_sub_f32_e32 v54, v54, v115
	v_add_f32_e32 v54, v54, v110
	v_cvt_i32_f32_e32 v110, v115
	s_delay_alu instid0(VALU_DEP_2) | instskip(NEXT) | instid1(TRANS32_DEP_1)
	v_exp_f32_e32 v54, v54
	v_ldexp_f32 v54, v54, v110
	s_wait_alu 0xfffd
	s_delay_alu instid0(VALU_DEP_1) | instskip(SKIP_2) | instid1(VALU_DEP_2)
	v_cndmask_b32_e32 v54, 0, v54, vcc_lo
	v_cmp_nlt_f32_e32 vcc_lo, 0x42b17218, v50
	s_wait_alu 0xfffd
	v_cndmask_b32_e32 v50, 0x7f800000, v54, vcc_lo
	v_mul_f32_e32 v54, 0x3fb8aa3b, v41
	v_cmp_ngt_f32_e32 vcc_lo, 0xc2ce8ed0, v41
	s_delay_alu instid0(VALU_DEP_3) | instskip(NEXT) | instid1(VALU_DEP_3)
	v_add_f32_e32 v42, v50, v42
	v_fma_f32 v110, 0x3fb8aa3b, v41, -v54
	v_rndne_f32_e32 v115, v54
	v_cvt_f16_f32_e32 v50, v50
	s_delay_alu instid0(VALU_DEP_3) | instskip(NEXT) | instid1(VALU_DEP_3)
	v_fmac_f32_e32 v110, 0x32a5705f, v41
	v_sub_f32_e32 v54, v54, v115
	s_delay_alu instid0(VALU_DEP_1) | instskip(SKIP_1) | instid1(VALU_DEP_2)
	v_add_f32_e32 v54, v54, v110
	v_cvt_i32_f32_e32 v110, v115
	v_exp_f32_e32 v54, v54
	s_delay_alu instid0(TRANS32_DEP_1) | instskip(SKIP_1) | instid1(VALU_DEP_1)
	v_ldexp_f32 v54, v54, v110
	s_wait_alu 0xfffd
	v_cndmask_b32_e32 v54, 0, v54, vcc_lo
	v_cmp_nlt_f32_e32 vcc_lo, 0x42b17218, v41
	s_wait_alu 0xfffd
	s_delay_alu instid0(VALU_DEP_2) | instskip(SKIP_2) | instid1(VALU_DEP_2)
	v_dual_cndmask_b32 v41, 0x7f800000, v54 :: v_dual_mov_b32 v54, v68
	v_mov_b32_e32 v68, v42
	v_pack_b32_f16 v42, v49, v55
	v_fmac_f32_e32 v68, v54, v41
	v_cvt_f16_f32_e32 v41, v41
	s_delay_alu instid0(VALU_DEP_1) | instskip(NEXT) | instid1(VALU_DEP_1)
	v_and_b32_e32 v41, 0xffff, v41
	v_mul_u32_u24_e32 v41, 0x10001, v41
	s_delay_alu instid0(VALU_DEP_1)
	v_pk_mul_f16 v110, v40, v41
	v_pack_b32_f16 v41, v112, v43
	v_pack_b32_f16 v40, v51, v111
	;; [unrolled: 1-line block ×3, first 2 shown]
	ds_store_2addr_b64 v85, v[40:41], v[42:43] offset1:32
	v_pack_b32_f16 v41, v114, v52
	v_pack_b32_f16 v40, v48, v46
	;; [unrolled: 1-line block ×4, first 2 shown]
	ds_store_2addr_b64 v85, v[40:41], v[42:43] offset0:64 offset1:96
	s_wait_alu 0xfffe
	v_add_co_u32 v40, vcc_lo, s26, v24
	s_wait_alu 0xfffd
	v_add_co_ci_u32_e64 v41, null, s27, v25, vcc_lo
	s_delay_alu instid0(VALU_DEP_2) | instskip(SKIP_1) | instid1(VALU_DEP_2)
	v_add_co_u32 v54, vcc_lo, v40, v84
	s_wait_alu 0xfffd
	v_add_co_ci_u32_e64 v55, null, 0, v41, vcc_lo
	v_add_co_u32 v40, vcc_lo, s26, v26
	s_wait_alu 0xfffd
	v_add_co_ci_u32_e64 v41, null, s27, v27, vcc_lo
	global_load_b128 v[111:114], v[54:55], off
	v_add_co_u32 v52, vcc_lo, v40, v84
	s_wait_alu 0xfffd
	v_add_co_ci_u32_e64 v53, null, 0, v41, vcc_lo
	v_add_co_u32 v40, vcc_lo, s26, v28
	s_wait_alu 0xfffd
	v_add_co_ci_u32_e64 v41, null, s27, v29, vcc_lo
	global_load_b128 v[52:55], v[52:53], off
	v_add_co_u32 v50, vcc_lo, v40, v84
	s_wait_alu 0xfffd
	v_add_co_ci_u32_e64 v51, null, 0, v41, vcc_lo
	v_add_co_u32 v40, vcc_lo, s26, v30
	s_wait_alu 0xfffd
	v_add_co_ci_u32_e64 v41, null, s27, v31, vcc_lo
	s_delay_alu instid0(VALU_DEP_2) | instskip(SKIP_1) | instid1(VALU_DEP_2)
	v_add_co_u32 v48, vcc_lo, v40, v84
	s_wait_alu 0xfffd
	v_add_co_ci_u32_e64 v49, null, 0, v41, vcc_lo
	v_add_co_u32 v40, vcc_lo, s26, v32
	s_wait_alu 0xfffd
	v_add_co_ci_u32_e64 v41, null, s27, v33, vcc_lo
	s_delay_alu instid0(VALU_DEP_2) | instskip(SKIP_1) | instid1(VALU_DEP_2)
	;; [unrolled: 7-line block ×5, first 2 shown]
	v_add_co_u32 v40, vcc_lo, v40, v84
	s_wait_alu 0xfffd
	v_add_co_ci_u32_e64 v41, null, 0, v41, vcc_lo
	s_wait_loadcnt 0x1
	ds_store_b128 v75, v[111:114]
	s_wait_loadcnt 0x0
	ds_store_b128 v77, v[52:55]
	global_load_b128 v[50:53], v[50:51], off
	s_wait_loadcnt 0x0
	ds_store_b128 v78, v[50:53]
	global_load_b128 v[48:51], v[48:49], off
	;; [unrolled: 3-line block ×6, first 2 shown]
	s_wait_loadcnt 0x0
	ds_store_b128 v83, v[40:43]
	s_wait_dscnt 0x0
	s_barrier_signal -1
	s_barrier_wait -1
	global_inv scope:SCOPE_SE
	ds_load_2addr_b32 v[111:112], v59 offset1:32
	ds_load_b128 v[40:43], v76
	ds_load_b128 v[44:47], v76 offset:16
	ds_load_b128 v[48:51], v76 offset:32
	;; [unrolled: 1-line block ×3, first 2 shown]
	s_wait_dscnt 0x3
	v_lshrrev_b32_e32 v113, 16, v40
	v_and_b32_e32 v40, 0xffff, v40
	v_lshrrev_b32_e32 v114, 16, v41
	v_and_b32_e32 v41, 0xffff, v41
	s_delay_alu instid0(VALU_DEP_4) | instskip(NEXT) | instid1(VALU_DEP_4)
	v_mul_u32_u24_e32 v113, 0x10001, v113
	v_mul_u32_u24_e32 v40, 0x10001, v40
	s_delay_alu instid0(VALU_DEP_4) | instskip(NEXT) | instid1(VALU_DEP_4)
	v_mul_u32_u24_e32 v114, 0x10001, v114
	v_mul_u32_u24_e32 v41, 0x10001, v41
	s_delay_alu instid0(VALU_DEP_3) | instskip(NEXT) | instid1(VALU_DEP_2)
	v_pk_mul_f16 v40, v111, v40
	v_pk_mul_f16 v41, v111, v41
	s_delay_alu instid0(VALU_DEP_2)
	v_pk_fma_f16 v40, v106, v107, v40
	v_pk_mul_f16 v106, v111, v113
	v_lshrrev_b32_e32 v107, 16, v43
	v_and_b32_e32 v43, 0xffff, v43
	v_pk_fma_f16 v41, v104, v109, v41
	v_pk_fma_f16 v104, v111, v114, v110
	;; [unrolled: 1-line block ×3, first 2 shown]
	v_lshrrev_b32_e32 v106, 16, v42
	v_and_b32_e32 v42, 0xffff, v42
	v_mul_u32_u24_e32 v43, 0x10001, v43
	v_mul_u32_u24_e32 v107, 0x10001, v107
	s_delay_alu instid0(VALU_DEP_4) | instskip(NEXT) | instid1(VALU_DEP_4)
	v_mul_u32_u24_e32 v106, 0x10001, v106
	v_mul_u32_u24_e32 v42, 0x10001, v42
	s_delay_alu instid0(VALU_DEP_4) | instskip(NEXT) | instid1(VALU_DEP_4)
	v_pk_fma_f16 v43, v112, v43, v41
	v_pk_fma_f16 v104, v112, v107, v104
	s_wait_dscnt 0x2
	v_lshrrev_b32_e32 v107, 16, v45
	v_pk_fma_f16 v105, v112, v106, v105
	v_pk_fma_f16 v42, v112, v42, v40
	ds_load_2addr_b32 v[40:41], v59 offset0:64 offset1:96
	v_lshrrev_b32_e32 v106, 16, v44
	v_and_b32_e32 v44, 0xffff, v44
	v_and_b32_e32 v45, 0xffff, v45
	v_mul_u32_u24_e32 v107, 0x10001, v107
	s_delay_alu instid0(VALU_DEP_4) | instskip(NEXT) | instid1(VALU_DEP_4)
	v_mul_u32_u24_e32 v106, 0x10001, v106
	v_mul_u32_u24_e32 v44, 0x10001, v44
	s_delay_alu instid0(VALU_DEP_4) | instskip(SKIP_1) | instid1(VALU_DEP_2)
	v_mul_u32_u24_e32 v45, 0x10001, v45
	s_wait_dscnt 0x0
	v_pk_fma_f16 v42, v40, v44, v42
	v_pk_fma_f16 v44, v40, v106, v105
	s_delay_alu instid0(VALU_DEP_3)
	v_pk_fma_f16 v43, v40, v45, v43
	v_pk_fma_f16 v40, v40, v107, v104
	v_lshrrev_b32_e32 v45, 16, v46
	v_lshrrev_b32_e32 v104, 16, v47
	v_and_b32_e32 v46, 0xffff, v46
	v_and_b32_e32 v47, 0xffff, v47
	s_delay_alu instid0(VALU_DEP_4) | instskip(NEXT) | instid1(VALU_DEP_4)
	v_mul_u32_u24_e32 v45, 0x10001, v45
	v_mul_u32_u24_e32 v104, 0x10001, v104
	s_delay_alu instid0(VALU_DEP_4) | instskip(NEXT) | instid1(VALU_DEP_4)
	v_mul_u32_u24_e32 v46, 0x10001, v46
	v_mul_u32_u24_e32 v47, 0x10001, v47
	s_delay_alu instid0(VALU_DEP_4) | instskip(NEXT) | instid1(VALU_DEP_4)
	v_pk_fma_f16 v44, v41, v45, v44
	v_pk_fma_f16 v45, v41, v104, v40
	s_delay_alu instid0(VALU_DEP_4) | instskip(NEXT) | instid1(VALU_DEP_4)
	v_pk_fma_f16 v42, v41, v46, v42
	v_pk_fma_f16 v43, v41, v47, v43
	ds_load_2addr_b32 v[40:41], v59 offset0:128 offset1:160
	v_lshrrev_b32_e32 v46, 16, v48
	v_lshrrev_b32_e32 v47, 16, v49
	v_and_b32_e32 v48, 0xffff, v48
	v_and_b32_e32 v49, 0xffff, v49
	s_delay_alu instid0(VALU_DEP_4) | instskip(NEXT) | instid1(VALU_DEP_4)
	v_mul_u32_u24_e32 v46, 0x10001, v46
	v_mul_u32_u24_e32 v47, 0x10001, v47
	s_delay_alu instid0(VALU_DEP_4) | instskip(NEXT) | instid1(VALU_DEP_4)
	v_mul_u32_u24_e32 v48, 0x10001, v48
	v_mul_u32_u24_e32 v49, 0x10001, v49
	s_wait_dscnt 0x0
	s_delay_alu instid0(VALU_DEP_2) | instskip(SKIP_1) | instid1(VALU_DEP_3)
	v_pk_fma_f16 v42, v40, v48, v42
	v_pk_fma_f16 v44, v40, v46, v44
	;; [unrolled: 1-line block ×4, first 2 shown]
	v_lshrrev_b32_e32 v45, 16, v50
	v_lshrrev_b32_e32 v46, 16, v51
	v_and_b32_e32 v47, 0xffff, v50
	v_and_b32_e32 v48, 0xffff, v51
	;; [unrolled: 1-line block ×3, first 2 shown]
	v_mul_u32_u24_e32 v45, 0x10001, v45
	v_mul_u32_u24_e32 v46, 0x10001, v46
	;; [unrolled: 1-line block ×5, first 2 shown]
	v_pk_fma_f16 v44, v41, v45, v44
	v_pk_fma_f16 v45, v41, v46, v40
	;; [unrolled: 1-line block ×4, first 2 shown]
	ds_load_2addr_b32 v[40:41], v59 offset0:192 offset1:224
	v_lshrrev_b32_e32 v46, 16, v52
	v_lshrrev_b32_e32 v47, 16, v53
	v_and_b32_e32 v48, 0xffff, v52
	s_delay_alu instid0(VALU_DEP_3) | instskip(NEXT) | instid1(VALU_DEP_3)
	v_mul_u32_u24_e32 v46, 0x10001, v46
	v_mul_u32_u24_e32 v47, 0x10001, v47
	s_delay_alu instid0(VALU_DEP_3) | instskip(SKIP_1) | instid1(VALU_DEP_1)
	v_mul_u32_u24_e32 v48, 0x10001, v48
	s_wait_dscnt 0x0
	v_pk_fma_f16 v42, v40, v48, v42
	v_pk_fma_f16 v44, v40, v46, v44
	;; [unrolled: 1-line block ×4, first 2 shown]
	v_lshrrev_b32_e32 v45, 16, v54
	v_lshrrev_b32_e32 v46, 16, v55
	v_and_b32_e32 v47, 0xffff, v54
	v_and_b32_e32 v48, 0xffff, v55
	s_delay_alu instid0(VALU_DEP_4) | instskip(NEXT) | instid1(VALU_DEP_4)
	v_mul_u32_u24_e32 v45, 0x10001, v45
	v_mul_u32_u24_e32 v46, 0x10001, v46
	s_delay_alu instid0(VALU_DEP_4) | instskip(NEXT) | instid1(VALU_DEP_4)
	v_mul_u32_u24_e32 v47, 0x10001, v47
	v_mul_u32_u24_e32 v48, 0x10001, v48
	s_delay_alu instid0(VALU_DEP_4) | instskip(NEXT) | instid1(VALU_DEP_4)
	v_pk_fma_f16 v49, v41, v45, v44
	v_pk_fma_f16 v46, v41, v46, v40
	s_delay_alu instid0(VALU_DEP_4) | instskip(NEXT) | instid1(VALU_DEP_4)
	v_pk_fma_f16 v47, v41, v47, v42
	v_pk_fma_f16 v48, v41, v48, v43
	ds_load_2addr_b32 v[44:45], v86 offset1:32
	ds_load_b128 v[40:43], v76 offset:64
	s_wait_dscnt 0x0
	v_lshrrev_b32_e32 v50, 16, v40
	v_lshrrev_b32_e32 v51, 16, v41
	v_and_b32_e32 v40, 0xffff, v40
	v_and_b32_e32 v41, 0xffff, v41
	s_delay_alu instid0(VALU_DEP_4) | instskip(NEXT) | instid1(VALU_DEP_4)
	v_mul_u32_u24_e32 v50, 0x10001, v50
	v_mul_u32_u24_e32 v51, 0x10001, v51
	s_delay_alu instid0(VALU_DEP_4) | instskip(NEXT) | instid1(VALU_DEP_4)
	v_mul_u32_u24_e32 v40, 0x10001, v40
	v_mul_u32_u24_e32 v41, 0x10001, v41
	s_delay_alu instid0(VALU_DEP_2) | instskip(SKIP_1) | instid1(VALU_DEP_3)
	v_pk_fma_f16 v40, v44, v40, v47
	v_pk_fma_f16 v47, v44, v50, v49
	;; [unrolled: 1-line block ×4, first 2 shown]
	v_lshrrev_b32_e32 v46, 16, v42
	v_lshrrev_b32_e32 v48, 16, v43
	v_and_b32_e32 v42, 0xffff, v42
	v_and_b32_e32 v43, 0xffff, v43
	s_delay_alu instid0(VALU_DEP_4) | instskip(NEXT) | instid1(VALU_DEP_4)
	v_mul_u32_u24_e32 v46, 0x10001, v46
	v_mul_u32_u24_e32 v48, 0x10001, v48
	s_delay_alu instid0(VALU_DEP_4) | instskip(NEXT) | instid1(VALU_DEP_4)
	v_mul_u32_u24_e32 v42, 0x10001, v42
	v_mul_u32_u24_e32 v43, 0x10001, v43
	s_delay_alu instid0(VALU_DEP_4) | instskip(NEXT) | instid1(VALU_DEP_4)
	v_pk_fma_f16 v46, v45, v46, v47
	v_pk_fma_f16 v48, v45, v48, v44
	s_delay_alu instid0(VALU_DEP_4) | instskip(NEXT) | instid1(VALU_DEP_4)
	v_pk_fma_f16 v49, v45, v42, v40
	v_pk_fma_f16 v47, v45, v43, v41
	ds_load_2addr_b32 v[44:45], v86 offset0:64 offset1:96
	ds_load_b128 v[40:43], v76 offset:80
	s_wait_dscnt 0x0
	v_lshrrev_b32_e32 v50, 16, v40
	v_lshrrev_b32_e32 v51, 16, v41
	v_and_b32_e32 v40, 0xffff, v40
	v_and_b32_e32 v41, 0xffff, v41
	s_delay_alu instid0(VALU_DEP_4) | instskip(NEXT) | instid1(VALU_DEP_4)
	v_mul_u32_u24_e32 v50, 0x10001, v50
	v_mul_u32_u24_e32 v51, 0x10001, v51
	s_delay_alu instid0(VALU_DEP_4) | instskip(NEXT) | instid1(VALU_DEP_4)
	v_mul_u32_u24_e32 v40, 0x10001, v40
	v_mul_u32_u24_e32 v41, 0x10001, v41
	s_delay_alu instid0(VALU_DEP_4) | instskip(NEXT) | instid1(VALU_DEP_3)
	v_pk_fma_f16 v46, v44, v50, v46
	v_pk_fma_f16 v40, v44, v40, v49
	s_delay_alu instid0(VALU_DEP_3)
	v_pk_fma_f16 v41, v44, v41, v47
	v_pk_fma_f16 v44, v44, v51, v48
	v_lshrrev_b32_e32 v47, 16, v42
	v_lshrrev_b32_e32 v48, 16, v43
	v_and_b32_e32 v42, 0xffff, v42
	v_and_b32_e32 v43, 0xffff, v43
	s_delay_alu instid0(VALU_DEP_4) | instskip(NEXT) | instid1(VALU_DEP_4)
	v_mul_u32_u24_e32 v47, 0x10001, v47
	v_mul_u32_u24_e32 v48, 0x10001, v48
	s_delay_alu instid0(VALU_DEP_4) | instskip(NEXT) | instid1(VALU_DEP_4)
	v_mul_u32_u24_e32 v42, 0x10001, v42
	v_mul_u32_u24_e32 v43, 0x10001, v43
	s_delay_alu instid0(VALU_DEP_4) | instskip(NEXT) | instid1(VALU_DEP_4)
	v_pk_fma_f16 v46, v45, v47, v46
	v_pk_fma_f16 v48, v45, v48, v44
	s_delay_alu instid0(VALU_DEP_4) | instskip(NEXT) | instid1(VALU_DEP_4)
	v_pk_fma_f16 v49, v45, v42, v40
	v_pk_fma_f16 v47, v45, v43, v41
	ds_load_2addr_b32 v[44:45], v86 offset0:128 offset1:160
	ds_load_b128 v[40:43], v76 offset:96
	s_wait_dscnt 0x0
	v_lshrrev_b32_e32 v50, 16, v40
	v_lshrrev_b32_e32 v51, 16, v41
	v_and_b32_e32 v40, 0xffff, v40
	v_and_b32_e32 v41, 0xffff, v41
	s_delay_alu instid0(VALU_DEP_4) | instskip(NEXT) | instid1(VALU_DEP_4)
	v_mul_u32_u24_e32 v50, 0x10001, v50
	v_mul_u32_u24_e32 v51, 0x10001, v51
	s_delay_alu instid0(VALU_DEP_4) | instskip(NEXT) | instid1(VALU_DEP_4)
	v_mul_u32_u24_e32 v40, 0x10001, v40
	v_mul_u32_u24_e32 v41, 0x10001, v41
	s_delay_alu instid0(VALU_DEP_4) | instskip(NEXT) | instid1(VALU_DEP_3)
	v_pk_fma_f16 v46, v44, v50, v46
	v_pk_fma_f16 v40, v44, v40, v49
	s_delay_alu instid0(VALU_DEP_3)
	v_pk_fma_f16 v41, v44, v41, v47
	v_pk_fma_f16 v44, v44, v51, v48
	;; [unrolled: 35-line block ×3, first 2 shown]
	v_lshrrev_b32_e32 v47, 16, v42
	v_lshrrev_b32_e32 v48, 16, v43
	v_and_b32_e32 v42, 0xffff, v42
	v_and_b32_e32 v43, 0xffff, v43
	s_delay_alu instid0(VALU_DEP_4) | instskip(NEXT) | instid1(VALU_DEP_4)
	v_mul_u32_u24_e32 v47, 0x10001, v47
	v_mul_u32_u24_e32 v48, 0x10001, v48
	s_delay_alu instid0(VALU_DEP_4) | instskip(NEXT) | instid1(VALU_DEP_4)
	v_mul_u32_u24_e32 v42, 0x10001, v42
	v_mul_u32_u24_e32 v43, 0x10001, v43
	s_delay_alu instid0(VALU_DEP_4) | instskip(NEXT) | instid1(VALU_DEP_4)
	v_pk_fma_f16 v46, v45, v47, v46
	v_pk_fma_f16 v48, v45, v48, v44
	s_delay_alu instid0(VALU_DEP_4) | instskip(NEXT) | instid1(VALU_DEP_4)
	v_pk_fma_f16 v49, v45, v42, v40
	v_pk_fma_f16 v47, v45, v43, v41
	ds_load_2addr_b32 v[44:45], v87 offset1:32
	ds_load_b128 v[40:43], v76 offset:128
	s_wait_dscnt 0x0
	v_lshrrev_b32_e32 v50, 16, v40
	v_lshrrev_b32_e32 v51, 16, v41
	v_and_b32_e32 v40, 0xffff, v40
	v_and_b32_e32 v41, 0xffff, v41
	s_delay_alu instid0(VALU_DEP_4) | instskip(NEXT) | instid1(VALU_DEP_4)
	v_mul_u32_u24_e32 v50, 0x10001, v50
	v_mul_u32_u24_e32 v51, 0x10001, v51
	s_delay_alu instid0(VALU_DEP_4) | instskip(NEXT) | instid1(VALU_DEP_4)
	v_mul_u32_u24_e32 v40, 0x10001, v40
	v_mul_u32_u24_e32 v41, 0x10001, v41
	s_delay_alu instid0(VALU_DEP_4) | instskip(NEXT) | instid1(VALU_DEP_3)
	v_pk_fma_f16 v46, v44, v50, v46
	v_pk_fma_f16 v40, v44, v40, v49
	s_delay_alu instid0(VALU_DEP_3)
	v_pk_fma_f16 v41, v44, v41, v47
	v_pk_fma_f16 v44, v44, v51, v48
	v_lshrrev_b32_e32 v47, 16, v42
	v_lshrrev_b32_e32 v48, 16, v43
	v_and_b32_e32 v42, 0xffff, v42
	v_and_b32_e32 v43, 0xffff, v43
	s_delay_alu instid0(VALU_DEP_4) | instskip(NEXT) | instid1(VALU_DEP_4)
	v_mul_u32_u24_e32 v47, 0x10001, v47
	v_mul_u32_u24_e32 v48, 0x10001, v48
	s_delay_alu instid0(VALU_DEP_4) | instskip(NEXT) | instid1(VALU_DEP_4)
	v_mul_u32_u24_e32 v42, 0x10001, v42
	v_mul_u32_u24_e32 v43, 0x10001, v43
	s_delay_alu instid0(VALU_DEP_4) | instskip(NEXT) | instid1(VALU_DEP_4)
	v_pk_fma_f16 v46, v45, v47, v46
	v_pk_fma_f16 v48, v45, v48, v44
	s_delay_alu instid0(VALU_DEP_4) | instskip(NEXT) | instid1(VALU_DEP_4)
	v_pk_fma_f16 v49, v45, v42, v40
	v_pk_fma_f16 v47, v45, v43, v41
	ds_load_2addr_b32 v[44:45], v87 offset0:64 offset1:96
	ds_load_b128 v[40:43], v76 offset:144
	s_wait_dscnt 0x0
	v_lshrrev_b32_e32 v50, 16, v40
	v_lshrrev_b32_e32 v51, 16, v41
	v_and_b32_e32 v40, 0xffff, v40
	v_and_b32_e32 v41, 0xffff, v41
	s_delay_alu instid0(VALU_DEP_4) | instskip(NEXT) | instid1(VALU_DEP_4)
	v_mul_u32_u24_e32 v50, 0x10001, v50
	v_mul_u32_u24_e32 v51, 0x10001, v51
	s_delay_alu instid0(VALU_DEP_4) | instskip(NEXT) | instid1(VALU_DEP_4)
	v_mul_u32_u24_e32 v40, 0x10001, v40
	v_mul_u32_u24_e32 v41, 0x10001, v41
	s_delay_alu instid0(VALU_DEP_4) | instskip(NEXT) | instid1(VALU_DEP_3)
	v_pk_fma_f16 v46, v44, v50, v46
	v_pk_fma_f16 v40, v44, v40, v49
	s_delay_alu instid0(VALU_DEP_3)
	v_pk_fma_f16 v41, v44, v41, v47
	v_pk_fma_f16 v44, v44, v51, v48
	v_lshrrev_b32_e32 v47, 16, v42
	v_lshrrev_b32_e32 v48, 16, v43
	v_and_b32_e32 v42, 0xffff, v42
	v_and_b32_e32 v43, 0xffff, v43
	s_delay_alu instid0(VALU_DEP_4) | instskip(NEXT) | instid1(VALU_DEP_4)
	v_mul_u32_u24_e32 v47, 0x10001, v47
	v_mul_u32_u24_e32 v48, 0x10001, v48
	s_delay_alu instid0(VALU_DEP_4) | instskip(NEXT) | instid1(VALU_DEP_4)
	v_mul_u32_u24_e32 v42, 0x10001, v42
	v_mul_u32_u24_e32 v43, 0x10001, v43
	s_delay_alu instid0(VALU_DEP_4) | instskip(NEXT) | instid1(VALU_DEP_4)
	v_pk_fma_f16 v46, v45, v47, v46
	v_pk_fma_f16 v48, v45, v48, v44
	s_delay_alu instid0(VALU_DEP_4) | instskip(NEXT) | instid1(VALU_DEP_4)
	v_pk_fma_f16 v49, v45, v42, v40
	v_pk_fma_f16 v47, v45, v43, v41
	ds_load_2addr_b32 v[44:45], v87 offset0:128 offset1:160
	;; [unrolled: 35-line block ×3, first 2 shown]
	ds_load_b128 v[40:43], v76 offset:176
	s_wait_dscnt 0x0
	v_lshrrev_b32_e32 v50, 16, v40
	v_lshrrev_b32_e32 v51, 16, v41
	v_and_b32_e32 v40, 0xffff, v40
	v_and_b32_e32 v41, 0xffff, v41
	s_delay_alu instid0(VALU_DEP_4) | instskip(NEXT) | instid1(VALU_DEP_4)
	v_mul_u32_u24_e32 v50, 0x10001, v50
	v_mul_u32_u24_e32 v51, 0x10001, v51
	s_delay_alu instid0(VALU_DEP_4) | instskip(NEXT) | instid1(VALU_DEP_4)
	v_mul_u32_u24_e32 v40, 0x10001, v40
	v_mul_u32_u24_e32 v41, 0x10001, v41
	s_delay_alu instid0(VALU_DEP_4) | instskip(NEXT) | instid1(VALU_DEP_3)
	v_pk_fma_f16 v46, v44, v50, v46
	v_pk_fma_f16 v40, v44, v40, v49
	s_delay_alu instid0(VALU_DEP_3)
	v_pk_fma_f16 v41, v44, v41, v47
	v_pk_fma_f16 v44, v44, v51, v48
	v_lshrrev_b32_e32 v47, 16, v42
	v_lshrrev_b32_e32 v48, 16, v43
	v_and_b32_e32 v42, 0xffff, v42
	v_and_b32_e32 v43, 0xffff, v43
	s_delay_alu instid0(VALU_DEP_4) | instskip(NEXT) | instid1(VALU_DEP_4)
	v_mul_u32_u24_e32 v47, 0x10001, v47
	v_mul_u32_u24_e32 v48, 0x10001, v48
	s_delay_alu instid0(VALU_DEP_4) | instskip(NEXT) | instid1(VALU_DEP_4)
	v_mul_u32_u24_e32 v42, 0x10001, v42
	v_mul_u32_u24_e32 v43, 0x10001, v43
	s_delay_alu instid0(VALU_DEP_4) | instskip(NEXT) | instid1(VALU_DEP_4)
	v_pk_fma_f16 v46, v45, v47, v46
	v_pk_fma_f16 v48, v45, v48, v44
	s_delay_alu instid0(VALU_DEP_4) | instskip(NEXT) | instid1(VALU_DEP_4)
	v_pk_fma_f16 v49, v45, v42, v40
	v_pk_fma_f16 v47, v45, v43, v41
	ds_load_2addr_b32 v[44:45], v88 offset1:32
	ds_load_b128 v[40:43], v76 offset:192
	s_wait_dscnt 0x0
	v_lshrrev_b32_e32 v50, 16, v40
	v_lshrrev_b32_e32 v51, 16, v41
	v_and_b32_e32 v40, 0xffff, v40
	v_and_b32_e32 v41, 0xffff, v41
	s_delay_alu instid0(VALU_DEP_4) | instskip(NEXT) | instid1(VALU_DEP_4)
	v_mul_u32_u24_e32 v50, 0x10001, v50
	v_mul_u32_u24_e32 v51, 0x10001, v51
	s_delay_alu instid0(VALU_DEP_4) | instskip(NEXT) | instid1(VALU_DEP_4)
	v_mul_u32_u24_e32 v40, 0x10001, v40
	v_mul_u32_u24_e32 v41, 0x10001, v41
	s_delay_alu instid0(VALU_DEP_4) | instskip(NEXT) | instid1(VALU_DEP_3)
	v_pk_fma_f16 v46, v44, v50, v46
	v_pk_fma_f16 v40, v44, v40, v49
	s_delay_alu instid0(VALU_DEP_3)
	v_pk_fma_f16 v41, v44, v41, v47
	v_pk_fma_f16 v44, v44, v51, v48
	v_lshrrev_b32_e32 v47, 16, v42
	v_lshrrev_b32_e32 v48, 16, v43
	v_and_b32_e32 v42, 0xffff, v42
	v_and_b32_e32 v43, 0xffff, v43
	s_delay_alu instid0(VALU_DEP_4) | instskip(NEXT) | instid1(VALU_DEP_4)
	v_mul_u32_u24_e32 v47, 0x10001, v47
	v_mul_u32_u24_e32 v48, 0x10001, v48
	s_delay_alu instid0(VALU_DEP_4) | instskip(NEXT) | instid1(VALU_DEP_4)
	v_mul_u32_u24_e32 v42, 0x10001, v42
	v_mul_u32_u24_e32 v43, 0x10001, v43
	s_delay_alu instid0(VALU_DEP_4) | instskip(NEXT) | instid1(VALU_DEP_4)
	v_pk_fma_f16 v46, v45, v47, v46
	v_pk_fma_f16 v48, v45, v48, v44
	s_delay_alu instid0(VALU_DEP_4) | instskip(NEXT) | instid1(VALU_DEP_4)
	v_pk_fma_f16 v49, v45, v42, v40
	v_pk_fma_f16 v47, v45, v43, v41
	ds_load_2addr_b32 v[44:45], v88 offset0:64 offset1:96
	ds_load_b128 v[40:43], v76 offset:208
	s_wait_dscnt 0x0
	v_lshrrev_b32_e32 v50, 16, v40
	v_lshrrev_b32_e32 v51, 16, v41
	v_and_b32_e32 v40, 0xffff, v40
	v_and_b32_e32 v41, 0xffff, v41
	s_delay_alu instid0(VALU_DEP_4) | instskip(NEXT) | instid1(VALU_DEP_4)
	v_mul_u32_u24_e32 v50, 0x10001, v50
	v_mul_u32_u24_e32 v51, 0x10001, v51
	s_delay_alu instid0(VALU_DEP_4) | instskip(NEXT) | instid1(VALU_DEP_4)
	v_mul_u32_u24_e32 v40, 0x10001, v40
	v_mul_u32_u24_e32 v41, 0x10001, v41
	s_delay_alu instid0(VALU_DEP_4) | instskip(NEXT) | instid1(VALU_DEP_3)
	v_pk_fma_f16 v46, v44, v50, v46
	v_pk_fma_f16 v40, v44, v40, v49
	s_delay_alu instid0(VALU_DEP_3)
	v_pk_fma_f16 v41, v44, v41, v47
	v_pk_fma_f16 v44, v44, v51, v48
	v_lshrrev_b32_e32 v47, 16, v42
	v_lshrrev_b32_e32 v48, 16, v43
	v_and_b32_e32 v42, 0xffff, v42
	v_and_b32_e32 v43, 0xffff, v43
	s_delay_alu instid0(VALU_DEP_4) | instskip(NEXT) | instid1(VALU_DEP_4)
	v_mul_u32_u24_e32 v47, 0x10001, v47
	v_mul_u32_u24_e32 v48, 0x10001, v48
	s_delay_alu instid0(VALU_DEP_4) | instskip(NEXT) | instid1(VALU_DEP_4)
	v_mul_u32_u24_e32 v42, 0x10001, v42
	v_mul_u32_u24_e32 v43, 0x10001, v43
	s_delay_alu instid0(VALU_DEP_4) | instskip(NEXT) | instid1(VALU_DEP_4)
	v_pk_fma_f16 v46, v45, v47, v46
	v_pk_fma_f16 v48, v45, v48, v44
	s_delay_alu instid0(VALU_DEP_4) | instskip(NEXT) | instid1(VALU_DEP_4)
	v_pk_fma_f16 v49, v45, v42, v40
	v_pk_fma_f16 v47, v45, v43, v41
	ds_load_2addr_b32 v[44:45], v88 offset0:128 offset1:160
	;; [unrolled: 35-line block ×3, first 2 shown]
	ds_load_b128 v[40:43], v76 offset:240
	s_wait_dscnt 0x0
	v_lshrrev_b32_e32 v50, 16, v40
	v_lshrrev_b32_e32 v51, 16, v41
	v_and_b32_e32 v40, 0xffff, v40
	v_and_b32_e32 v41, 0xffff, v41
	s_delay_alu instid0(VALU_DEP_4) | instskip(NEXT) | instid1(VALU_DEP_4)
	v_mul_u32_u24_e32 v50, 0x10001, v50
	v_mul_u32_u24_e32 v51, 0x10001, v51
	s_delay_alu instid0(VALU_DEP_4) | instskip(NEXT) | instid1(VALU_DEP_4)
	v_mul_u32_u24_e32 v40, 0x10001, v40
	v_mul_u32_u24_e32 v41, 0x10001, v41
	s_delay_alu instid0(VALU_DEP_4) | instskip(NEXT) | instid1(VALU_DEP_3)
	v_pk_fma_f16 v46, v44, v50, v46
	v_pk_fma_f16 v40, v44, v40, v49
	s_delay_alu instid0(VALU_DEP_3)
	v_pk_fma_f16 v41, v44, v41, v47
	v_pk_fma_f16 v44, v44, v51, v48
	v_lshrrev_b32_e32 v47, 16, v42
	v_lshrrev_b32_e32 v48, 16, v43
	v_and_b32_e32 v42, 0xffff, v42
	v_and_b32_e32 v43, 0xffff, v43
	s_delay_alu instid0(VALU_DEP_4) | instskip(NEXT) | instid1(VALU_DEP_4)
	v_mul_u32_u24_e32 v47, 0x10001, v47
	v_mul_u32_u24_e32 v48, 0x10001, v48
	s_delay_alu instid0(VALU_DEP_4) | instskip(NEXT) | instid1(VALU_DEP_4)
	v_mul_u32_u24_e32 v42, 0x10001, v42
	v_mul_u32_u24_e32 v43, 0x10001, v43
	s_delay_alu instid0(VALU_DEP_4) | instskip(NEXT) | instid1(VALU_DEP_4)
	v_pk_fma_f16 v46, v45, v47, v46
	v_pk_fma_f16 v48, v45, v48, v44
	s_delay_alu instid0(VALU_DEP_4) | instskip(NEXT) | instid1(VALU_DEP_4)
	v_pk_fma_f16 v49, v45, v42, v40
	v_pk_fma_f16 v47, v45, v43, v41
	ds_load_2addr_b32 v[44:45], v89 offset1:32
	ds_load_b128 v[40:43], v76 offset:256
	s_wait_dscnt 0x0
	v_lshrrev_b32_e32 v50, 16, v40
	v_lshrrev_b32_e32 v51, 16, v41
	v_and_b32_e32 v40, 0xffff, v40
	v_and_b32_e32 v41, 0xffff, v41
	s_delay_alu instid0(VALU_DEP_4) | instskip(NEXT) | instid1(VALU_DEP_4)
	v_mul_u32_u24_e32 v50, 0x10001, v50
	v_mul_u32_u24_e32 v51, 0x10001, v51
	s_delay_alu instid0(VALU_DEP_4) | instskip(NEXT) | instid1(VALU_DEP_4)
	v_mul_u32_u24_e32 v40, 0x10001, v40
	v_mul_u32_u24_e32 v41, 0x10001, v41
	s_delay_alu instid0(VALU_DEP_4) | instskip(NEXT) | instid1(VALU_DEP_3)
	v_pk_fma_f16 v46, v44, v50, v46
	v_pk_fma_f16 v40, v44, v40, v49
	s_delay_alu instid0(VALU_DEP_3)
	v_pk_fma_f16 v41, v44, v41, v47
	v_pk_fma_f16 v44, v44, v51, v48
	v_lshrrev_b32_e32 v47, 16, v42
	v_lshrrev_b32_e32 v48, 16, v43
	v_and_b32_e32 v42, 0xffff, v42
	v_and_b32_e32 v43, 0xffff, v43
	s_delay_alu instid0(VALU_DEP_4) | instskip(NEXT) | instid1(VALU_DEP_4)
	v_mul_u32_u24_e32 v47, 0x10001, v47
	v_mul_u32_u24_e32 v48, 0x10001, v48
	s_delay_alu instid0(VALU_DEP_4) | instskip(NEXT) | instid1(VALU_DEP_4)
	v_mul_u32_u24_e32 v42, 0x10001, v42
	v_mul_u32_u24_e32 v43, 0x10001, v43
	s_delay_alu instid0(VALU_DEP_4) | instskip(NEXT) | instid1(VALU_DEP_4)
	v_pk_fma_f16 v46, v45, v47, v46
	v_pk_fma_f16 v48, v45, v48, v44
	s_delay_alu instid0(VALU_DEP_4) | instskip(NEXT) | instid1(VALU_DEP_4)
	v_pk_fma_f16 v49, v45, v42, v40
	v_pk_fma_f16 v47, v45, v43, v41
	ds_load_2addr_b32 v[44:45], v89 offset0:64 offset1:96
	ds_load_b128 v[40:43], v76 offset:272
	s_wait_dscnt 0x0
	v_lshrrev_b32_e32 v50, 16, v40
	v_lshrrev_b32_e32 v51, 16, v41
	v_and_b32_e32 v40, 0xffff, v40
	v_and_b32_e32 v41, 0xffff, v41
	s_delay_alu instid0(VALU_DEP_4) | instskip(NEXT) | instid1(VALU_DEP_4)
	v_mul_u32_u24_e32 v50, 0x10001, v50
	v_mul_u32_u24_e32 v51, 0x10001, v51
	s_delay_alu instid0(VALU_DEP_4) | instskip(NEXT) | instid1(VALU_DEP_4)
	v_mul_u32_u24_e32 v40, 0x10001, v40
	v_mul_u32_u24_e32 v41, 0x10001, v41
	s_delay_alu instid0(VALU_DEP_4) | instskip(NEXT) | instid1(VALU_DEP_3)
	v_pk_fma_f16 v46, v44, v50, v46
	v_pk_fma_f16 v40, v44, v40, v49
	s_delay_alu instid0(VALU_DEP_3)
	v_pk_fma_f16 v41, v44, v41, v47
	v_pk_fma_f16 v44, v44, v51, v48
	v_lshrrev_b32_e32 v47, 16, v42
	v_lshrrev_b32_e32 v48, 16, v43
	v_and_b32_e32 v42, 0xffff, v42
	v_and_b32_e32 v43, 0xffff, v43
	s_delay_alu instid0(VALU_DEP_4) | instskip(NEXT) | instid1(VALU_DEP_4)
	v_mul_u32_u24_e32 v47, 0x10001, v47
	v_mul_u32_u24_e32 v48, 0x10001, v48
	s_delay_alu instid0(VALU_DEP_4) | instskip(NEXT) | instid1(VALU_DEP_4)
	v_mul_u32_u24_e32 v42, 0x10001, v42
	v_mul_u32_u24_e32 v43, 0x10001, v43
	s_delay_alu instid0(VALU_DEP_4) | instskip(NEXT) | instid1(VALU_DEP_4)
	v_pk_fma_f16 v46, v45, v47, v46
	v_pk_fma_f16 v48, v45, v48, v44
	s_delay_alu instid0(VALU_DEP_4) | instskip(NEXT) | instid1(VALU_DEP_4)
	v_pk_fma_f16 v49, v45, v42, v40
	v_pk_fma_f16 v47, v45, v43, v41
	ds_load_2addr_b32 v[44:45], v89 offset0:128 offset1:160
	ds_load_b128 v[40:43], v76 offset:288
	s_wait_dscnt 0x0
	v_lshrrev_b32_e32 v50, 16, v40
	v_lshrrev_b32_e32 v51, 16, v41
	v_and_b32_e32 v40, 0xffff, v40
	v_and_b32_e32 v41, 0xffff, v41
	s_delay_alu instid0(VALU_DEP_4) | instskip(NEXT) | instid1(VALU_DEP_4)
	v_mul_u32_u24_e32 v50, 0x10001, v50
	v_mul_u32_u24_e32 v51, 0x10001, v51
	s_delay_alu instid0(VALU_DEP_4) | instskip(NEXT) | instid1(VALU_DEP_4)
	v_mul_u32_u24_e32 v40, 0x10001, v40
	v_mul_u32_u24_e32 v41, 0x10001, v41
	s_delay_alu instid0(VALU_DEP_4) | instskip(NEXT) | instid1(VALU_DEP_3)
	v_pk_fma_f16 v46, v44, v50, v46
	v_pk_fma_f16 v40, v44, v40, v49
	s_delay_alu instid0(VALU_DEP_3)
	v_pk_fma_f16 v41, v44, v41, v47
	v_pk_fma_f16 v44, v44, v51, v48
	v_lshrrev_b32_e32 v47, 16, v42
	v_lshrrev_b32_e32 v48, 16, v43
	v_and_b32_e32 v42, 0xffff, v42
	v_and_b32_e32 v43, 0xffff, v43
	s_delay_alu instid0(VALU_DEP_4) | instskip(NEXT) | instid1(VALU_DEP_4)
	v_mul_u32_u24_e32 v47, 0x10001, v47
	v_mul_u32_u24_e32 v48, 0x10001, v48
	s_delay_alu instid0(VALU_DEP_4) | instskip(NEXT) | instid1(VALU_DEP_4)
	v_mul_u32_u24_e32 v42, 0x10001, v42
	v_mul_u32_u24_e32 v43, 0x10001, v43
	s_delay_alu instid0(VALU_DEP_4) | instskip(NEXT) | instid1(VALU_DEP_4)
	v_pk_fma_f16 v46, v45, v47, v46
	v_pk_fma_f16 v48, v45, v48, v44
	s_delay_alu instid0(VALU_DEP_4) | instskip(NEXT) | instid1(VALU_DEP_4)
	v_pk_fma_f16 v49, v45, v42, v40
	v_pk_fma_f16 v47, v45, v43, v41
	ds_load_2addr_b32 v[44:45], v89 offset0:192 offset1:224
	ds_load_b128 v[40:43], v76 offset:304
	s_wait_dscnt 0x0
	v_lshrrev_b32_e32 v50, 16, v40
	v_lshrrev_b32_e32 v51, 16, v41
	v_and_b32_e32 v40, 0xffff, v40
	v_and_b32_e32 v41, 0xffff, v41
	s_delay_alu instid0(VALU_DEP_4) | instskip(NEXT) | instid1(VALU_DEP_4)
	v_mul_u32_u24_e32 v50, 0x10001, v50
	v_mul_u32_u24_e32 v51, 0x10001, v51
	s_delay_alu instid0(VALU_DEP_4) | instskip(NEXT) | instid1(VALU_DEP_4)
	v_mul_u32_u24_e32 v40, 0x10001, v40
	v_mul_u32_u24_e32 v41, 0x10001, v41
	s_delay_alu instid0(VALU_DEP_4) | instskip(NEXT) | instid1(VALU_DEP_3)
	v_pk_fma_f16 v46, v44, v50, v46
	v_pk_fma_f16 v40, v44, v40, v49
	s_delay_alu instid0(VALU_DEP_3)
	v_pk_fma_f16 v41, v44, v41, v47
	v_pk_fma_f16 v44, v44, v51, v48
	v_lshrrev_b32_e32 v47, 16, v42
	v_lshrrev_b32_e32 v48, 16, v43
	v_and_b32_e32 v42, 0xffff, v42
	v_and_b32_e32 v43, 0xffff, v43
	s_delay_alu instid0(VALU_DEP_4) | instskip(NEXT) | instid1(VALU_DEP_4)
	v_mul_u32_u24_e32 v47, 0x10001, v47
	v_mul_u32_u24_e32 v48, 0x10001, v48
	s_delay_alu instid0(VALU_DEP_4) | instskip(NEXT) | instid1(VALU_DEP_4)
	v_mul_u32_u24_e32 v42, 0x10001, v42
	v_mul_u32_u24_e32 v43, 0x10001, v43
	s_delay_alu instid0(VALU_DEP_4) | instskip(NEXT) | instid1(VALU_DEP_4)
	v_pk_fma_f16 v46, v45, v47, v46
	v_pk_fma_f16 v48, v45, v48, v44
	s_delay_alu instid0(VALU_DEP_4) | instskip(NEXT) | instid1(VALU_DEP_4)
	v_pk_fma_f16 v49, v45, v42, v40
	v_pk_fma_f16 v47, v45, v43, v41
	ds_load_2addr_b32 v[44:45], v90 offset1:32
	ds_load_b128 v[40:43], v76 offset:320
	s_wait_dscnt 0x0
	v_lshrrev_b32_e32 v50, 16, v40
	v_lshrrev_b32_e32 v51, 16, v41
	v_and_b32_e32 v40, 0xffff, v40
	v_and_b32_e32 v41, 0xffff, v41
	s_delay_alu instid0(VALU_DEP_4) | instskip(NEXT) | instid1(VALU_DEP_4)
	v_mul_u32_u24_e32 v50, 0x10001, v50
	v_mul_u32_u24_e32 v51, 0x10001, v51
	s_delay_alu instid0(VALU_DEP_4) | instskip(NEXT) | instid1(VALU_DEP_4)
	v_mul_u32_u24_e32 v40, 0x10001, v40
	v_mul_u32_u24_e32 v41, 0x10001, v41
	s_delay_alu instid0(VALU_DEP_4) | instskip(NEXT) | instid1(VALU_DEP_3)
	v_pk_fma_f16 v46, v44, v50, v46
	v_pk_fma_f16 v40, v44, v40, v49
	s_delay_alu instid0(VALU_DEP_3)
	v_pk_fma_f16 v41, v44, v41, v47
	v_pk_fma_f16 v44, v44, v51, v48
	v_lshrrev_b32_e32 v47, 16, v42
	v_lshrrev_b32_e32 v48, 16, v43
	v_and_b32_e32 v42, 0xffff, v42
	v_and_b32_e32 v43, 0xffff, v43
	s_delay_alu instid0(VALU_DEP_4) | instskip(NEXT) | instid1(VALU_DEP_4)
	v_mul_u32_u24_e32 v47, 0x10001, v47
	v_mul_u32_u24_e32 v48, 0x10001, v48
	s_delay_alu instid0(VALU_DEP_4) | instskip(NEXT) | instid1(VALU_DEP_4)
	v_mul_u32_u24_e32 v42, 0x10001, v42
	v_mul_u32_u24_e32 v43, 0x10001, v43
	s_delay_alu instid0(VALU_DEP_4) | instskip(NEXT) | instid1(VALU_DEP_4)
	v_pk_fma_f16 v46, v45, v47, v46
	v_pk_fma_f16 v48, v45, v48, v44
	s_delay_alu instid0(VALU_DEP_4) | instskip(NEXT) | instid1(VALU_DEP_4)
	v_pk_fma_f16 v49, v45, v42, v40
	v_pk_fma_f16 v47, v45, v43, v41
	ds_load_2addr_b32 v[44:45], v90 offset0:64 offset1:96
	ds_load_b128 v[40:43], v76 offset:336
	s_wait_dscnt 0x0
	v_lshrrev_b32_e32 v50, 16, v40
	v_lshrrev_b32_e32 v51, 16, v41
	v_and_b32_e32 v40, 0xffff, v40
	v_and_b32_e32 v41, 0xffff, v41
	s_delay_alu instid0(VALU_DEP_4) | instskip(NEXT) | instid1(VALU_DEP_4)
	v_mul_u32_u24_e32 v50, 0x10001, v50
	v_mul_u32_u24_e32 v51, 0x10001, v51
	s_delay_alu instid0(VALU_DEP_4) | instskip(NEXT) | instid1(VALU_DEP_4)
	v_mul_u32_u24_e32 v40, 0x10001, v40
	v_mul_u32_u24_e32 v41, 0x10001, v41
	s_delay_alu instid0(VALU_DEP_4) | instskip(NEXT) | instid1(VALU_DEP_3)
	v_pk_fma_f16 v46, v44, v50, v46
	v_pk_fma_f16 v40, v44, v40, v49
	s_delay_alu instid0(VALU_DEP_3)
	v_pk_fma_f16 v41, v44, v41, v47
	v_pk_fma_f16 v44, v44, v51, v48
	v_lshrrev_b32_e32 v47, 16, v42
	v_lshrrev_b32_e32 v48, 16, v43
	v_and_b32_e32 v42, 0xffff, v42
	v_and_b32_e32 v43, 0xffff, v43
	s_delay_alu instid0(VALU_DEP_4) | instskip(NEXT) | instid1(VALU_DEP_4)
	v_mul_u32_u24_e32 v47, 0x10001, v47
	v_mul_u32_u24_e32 v48, 0x10001, v48
	s_delay_alu instid0(VALU_DEP_4) | instskip(NEXT) | instid1(VALU_DEP_4)
	v_mul_u32_u24_e32 v42, 0x10001, v42
	v_mul_u32_u24_e32 v43, 0x10001, v43
	s_delay_alu instid0(VALU_DEP_4) | instskip(NEXT) | instid1(VALU_DEP_4)
	v_pk_fma_f16 v46, v45, v47, v46
	v_pk_fma_f16 v48, v45, v48, v44
	s_delay_alu instid0(VALU_DEP_4) | instskip(NEXT) | instid1(VALU_DEP_4)
	v_pk_fma_f16 v49, v45, v42, v40
	v_pk_fma_f16 v47, v45, v43, v41
	ds_load_2addr_b32 v[44:45], v90 offset0:128 offset1:160
	;; [unrolled: 35-line block ×3, first 2 shown]
	ds_load_b128 v[40:43], v76 offset:368
	s_wait_dscnt 0x0
	v_lshrrev_b32_e32 v50, 16, v40
	v_lshrrev_b32_e32 v51, 16, v41
	v_and_b32_e32 v40, 0xffff, v40
	v_and_b32_e32 v41, 0xffff, v41
	s_delay_alu instid0(VALU_DEP_4) | instskip(NEXT) | instid1(VALU_DEP_4)
	v_mul_u32_u24_e32 v50, 0x10001, v50
	v_mul_u32_u24_e32 v51, 0x10001, v51
	s_delay_alu instid0(VALU_DEP_4) | instskip(NEXT) | instid1(VALU_DEP_4)
	v_mul_u32_u24_e32 v40, 0x10001, v40
	v_mul_u32_u24_e32 v41, 0x10001, v41
	s_delay_alu instid0(VALU_DEP_4) | instskip(NEXT) | instid1(VALU_DEP_3)
	v_pk_fma_f16 v46, v44, v50, v46
	v_pk_fma_f16 v40, v44, v40, v49
	s_delay_alu instid0(VALU_DEP_3)
	v_pk_fma_f16 v41, v44, v41, v47
	v_pk_fma_f16 v44, v44, v51, v48
	v_lshrrev_b32_e32 v47, 16, v42
	v_lshrrev_b32_e32 v48, 16, v43
	v_and_b32_e32 v42, 0xffff, v42
	v_and_b32_e32 v43, 0xffff, v43
	s_delay_alu instid0(VALU_DEP_4) | instskip(NEXT) | instid1(VALU_DEP_4)
	v_mul_u32_u24_e32 v47, 0x10001, v47
	v_mul_u32_u24_e32 v48, 0x10001, v48
	s_delay_alu instid0(VALU_DEP_4) | instskip(NEXT) | instid1(VALU_DEP_4)
	v_mul_u32_u24_e32 v42, 0x10001, v42
	v_mul_u32_u24_e32 v43, 0x10001, v43
	s_delay_alu instid0(VALU_DEP_4) | instskip(NEXT) | instid1(VALU_DEP_4)
	v_pk_fma_f16 v46, v45, v47, v46
	v_pk_fma_f16 v48, v45, v48, v44
	s_delay_alu instid0(VALU_DEP_4) | instskip(NEXT) | instid1(VALU_DEP_4)
	v_pk_fma_f16 v49, v45, v42, v40
	v_pk_fma_f16 v47, v45, v43, v41
	ds_load_2addr_b32 v[44:45], v91 offset1:32
	ds_load_b128 v[40:43], v76 offset:384
	s_wait_dscnt 0x0
	v_lshrrev_b32_e32 v50, 16, v40
	v_lshrrev_b32_e32 v51, 16, v41
	v_and_b32_e32 v40, 0xffff, v40
	v_and_b32_e32 v41, 0xffff, v41
	s_delay_alu instid0(VALU_DEP_4) | instskip(NEXT) | instid1(VALU_DEP_4)
	v_mul_u32_u24_e32 v50, 0x10001, v50
	v_mul_u32_u24_e32 v51, 0x10001, v51
	s_delay_alu instid0(VALU_DEP_4) | instskip(NEXT) | instid1(VALU_DEP_4)
	v_mul_u32_u24_e32 v40, 0x10001, v40
	v_mul_u32_u24_e32 v41, 0x10001, v41
	s_delay_alu instid0(VALU_DEP_4) | instskip(NEXT) | instid1(VALU_DEP_3)
	v_pk_fma_f16 v46, v44, v50, v46
	v_pk_fma_f16 v40, v44, v40, v49
	s_delay_alu instid0(VALU_DEP_3)
	v_pk_fma_f16 v41, v44, v41, v47
	v_pk_fma_f16 v44, v44, v51, v48
	v_lshrrev_b32_e32 v47, 16, v42
	v_lshrrev_b32_e32 v48, 16, v43
	v_and_b32_e32 v42, 0xffff, v42
	v_and_b32_e32 v43, 0xffff, v43
	s_delay_alu instid0(VALU_DEP_4) | instskip(NEXT) | instid1(VALU_DEP_4)
	v_mul_u32_u24_e32 v47, 0x10001, v47
	v_mul_u32_u24_e32 v48, 0x10001, v48
	s_delay_alu instid0(VALU_DEP_4) | instskip(NEXT) | instid1(VALU_DEP_4)
	v_mul_u32_u24_e32 v42, 0x10001, v42
	v_mul_u32_u24_e32 v43, 0x10001, v43
	s_delay_alu instid0(VALU_DEP_4) | instskip(NEXT) | instid1(VALU_DEP_4)
	v_pk_fma_f16 v46, v45, v47, v46
	v_pk_fma_f16 v48, v45, v48, v44
	s_delay_alu instid0(VALU_DEP_4) | instskip(NEXT) | instid1(VALU_DEP_4)
	v_pk_fma_f16 v49, v45, v42, v40
	v_pk_fma_f16 v47, v45, v43, v41
	ds_load_2addr_b32 v[44:45], v91 offset0:64 offset1:96
	ds_load_b128 v[40:43], v76 offset:400
	s_wait_dscnt 0x0
	v_lshrrev_b32_e32 v50, 16, v40
	v_lshrrev_b32_e32 v51, 16, v41
	v_and_b32_e32 v40, 0xffff, v40
	v_and_b32_e32 v41, 0xffff, v41
	s_delay_alu instid0(VALU_DEP_4) | instskip(NEXT) | instid1(VALU_DEP_4)
	v_mul_u32_u24_e32 v50, 0x10001, v50
	v_mul_u32_u24_e32 v51, 0x10001, v51
	s_delay_alu instid0(VALU_DEP_4) | instskip(NEXT) | instid1(VALU_DEP_4)
	v_mul_u32_u24_e32 v40, 0x10001, v40
	v_mul_u32_u24_e32 v41, 0x10001, v41
	s_delay_alu instid0(VALU_DEP_4) | instskip(NEXT) | instid1(VALU_DEP_3)
	v_pk_fma_f16 v46, v44, v50, v46
	v_pk_fma_f16 v40, v44, v40, v49
	s_delay_alu instid0(VALU_DEP_3)
	v_pk_fma_f16 v41, v44, v41, v47
	v_pk_fma_f16 v44, v44, v51, v48
	v_lshrrev_b32_e32 v47, 16, v42
	v_lshrrev_b32_e32 v48, 16, v43
	v_and_b32_e32 v42, 0xffff, v42
	v_and_b32_e32 v43, 0xffff, v43
	s_delay_alu instid0(VALU_DEP_4) | instskip(NEXT) | instid1(VALU_DEP_4)
	v_mul_u32_u24_e32 v47, 0x10001, v47
	v_mul_u32_u24_e32 v48, 0x10001, v48
	s_delay_alu instid0(VALU_DEP_4) | instskip(NEXT) | instid1(VALU_DEP_4)
	v_mul_u32_u24_e32 v42, 0x10001, v42
	v_mul_u32_u24_e32 v43, 0x10001, v43
	s_delay_alu instid0(VALU_DEP_4) | instskip(NEXT) | instid1(VALU_DEP_4)
	v_pk_fma_f16 v46, v45, v47, v46
	v_pk_fma_f16 v48, v45, v48, v44
	s_delay_alu instid0(VALU_DEP_4) | instskip(NEXT) | instid1(VALU_DEP_4)
	v_pk_fma_f16 v49, v45, v42, v40
	v_pk_fma_f16 v47, v45, v43, v41
	ds_load_2addr_b32 v[44:45], v91 offset0:128 offset1:160
	;; [unrolled: 35-line block ×3, first 2 shown]
	ds_load_b128 v[40:43], v76 offset:432
	s_wait_dscnt 0x0
	v_lshrrev_b32_e32 v50, 16, v40
	v_lshrrev_b32_e32 v51, 16, v41
	v_and_b32_e32 v40, 0xffff, v40
	v_and_b32_e32 v41, 0xffff, v41
	s_delay_alu instid0(VALU_DEP_4) | instskip(NEXT) | instid1(VALU_DEP_4)
	v_mul_u32_u24_e32 v50, 0x10001, v50
	v_mul_u32_u24_e32 v51, 0x10001, v51
	s_delay_alu instid0(VALU_DEP_4) | instskip(NEXT) | instid1(VALU_DEP_4)
	v_mul_u32_u24_e32 v40, 0x10001, v40
	v_mul_u32_u24_e32 v41, 0x10001, v41
	s_delay_alu instid0(VALU_DEP_4) | instskip(NEXT) | instid1(VALU_DEP_3)
	v_pk_fma_f16 v46, v44, v50, v46
	v_pk_fma_f16 v40, v44, v40, v49
	s_delay_alu instid0(VALU_DEP_3)
	v_pk_fma_f16 v41, v44, v41, v47
	v_pk_fma_f16 v44, v44, v51, v48
	v_lshrrev_b32_e32 v47, 16, v42
	v_lshrrev_b32_e32 v48, 16, v43
	v_and_b32_e32 v42, 0xffff, v42
	v_and_b32_e32 v43, 0xffff, v43
	s_delay_alu instid0(VALU_DEP_4) | instskip(NEXT) | instid1(VALU_DEP_4)
	v_mul_u32_u24_e32 v47, 0x10001, v47
	v_mul_u32_u24_e32 v48, 0x10001, v48
	s_delay_alu instid0(VALU_DEP_4) | instskip(NEXT) | instid1(VALU_DEP_4)
	v_mul_u32_u24_e32 v42, 0x10001, v42
	v_mul_u32_u24_e32 v43, 0x10001, v43
	s_delay_alu instid0(VALU_DEP_4) | instskip(NEXT) | instid1(VALU_DEP_4)
	v_pk_fma_f16 v46, v45, v47, v46
	v_pk_fma_f16 v48, v45, v48, v44
	s_delay_alu instid0(VALU_DEP_4) | instskip(NEXT) | instid1(VALU_DEP_4)
	v_pk_fma_f16 v49, v45, v42, v40
	v_pk_fma_f16 v47, v45, v43, v41
	ds_load_2addr_b32 v[44:45], v92 offset1:32
	ds_load_b128 v[40:43], v76 offset:448
	s_wait_dscnt 0x0
	v_lshrrev_b32_e32 v50, 16, v40
	v_lshrrev_b32_e32 v51, 16, v41
	v_and_b32_e32 v40, 0xffff, v40
	v_and_b32_e32 v41, 0xffff, v41
	s_delay_alu instid0(VALU_DEP_4) | instskip(NEXT) | instid1(VALU_DEP_4)
	v_mul_u32_u24_e32 v50, 0x10001, v50
	v_mul_u32_u24_e32 v51, 0x10001, v51
	s_delay_alu instid0(VALU_DEP_4) | instskip(NEXT) | instid1(VALU_DEP_4)
	v_mul_u32_u24_e32 v40, 0x10001, v40
	v_mul_u32_u24_e32 v41, 0x10001, v41
	s_delay_alu instid0(VALU_DEP_4) | instskip(NEXT) | instid1(VALU_DEP_3)
	v_pk_fma_f16 v46, v44, v50, v46
	v_pk_fma_f16 v40, v44, v40, v49
	s_delay_alu instid0(VALU_DEP_3)
	v_pk_fma_f16 v41, v44, v41, v47
	v_pk_fma_f16 v44, v44, v51, v48
	v_lshrrev_b32_e32 v47, 16, v42
	v_lshrrev_b32_e32 v48, 16, v43
	v_and_b32_e32 v42, 0xffff, v42
	v_and_b32_e32 v43, 0xffff, v43
	s_delay_alu instid0(VALU_DEP_4) | instskip(NEXT) | instid1(VALU_DEP_4)
	v_mul_u32_u24_e32 v47, 0x10001, v47
	v_mul_u32_u24_e32 v48, 0x10001, v48
	s_delay_alu instid0(VALU_DEP_4) | instskip(NEXT) | instid1(VALU_DEP_4)
	v_mul_u32_u24_e32 v42, 0x10001, v42
	v_mul_u32_u24_e32 v43, 0x10001, v43
	s_delay_alu instid0(VALU_DEP_4) | instskip(NEXT) | instid1(VALU_DEP_4)
	v_pk_fma_f16 v46, v45, v47, v46
	v_pk_fma_f16 v48, v45, v48, v44
	s_delay_alu instid0(VALU_DEP_4) | instskip(NEXT) | instid1(VALU_DEP_4)
	v_pk_fma_f16 v49, v45, v42, v40
	v_pk_fma_f16 v47, v45, v43, v41
	ds_load_2addr_b32 v[44:45], v92 offset0:64 offset1:96
	ds_load_b128 v[40:43], v76 offset:464
	s_wait_dscnt 0x0
	v_lshrrev_b32_e32 v50, 16, v40
	v_lshrrev_b32_e32 v51, 16, v41
	v_and_b32_e32 v40, 0xffff, v40
	v_and_b32_e32 v41, 0xffff, v41
	s_delay_alu instid0(VALU_DEP_4) | instskip(NEXT) | instid1(VALU_DEP_4)
	v_mul_u32_u24_e32 v50, 0x10001, v50
	v_mul_u32_u24_e32 v51, 0x10001, v51
	s_delay_alu instid0(VALU_DEP_4) | instskip(NEXT) | instid1(VALU_DEP_4)
	v_mul_u32_u24_e32 v40, 0x10001, v40
	v_mul_u32_u24_e32 v41, 0x10001, v41
	s_delay_alu instid0(VALU_DEP_4) | instskip(NEXT) | instid1(VALU_DEP_3)
	v_pk_fma_f16 v46, v44, v50, v46
	v_pk_fma_f16 v40, v44, v40, v49
	s_delay_alu instid0(VALU_DEP_3)
	v_pk_fma_f16 v41, v44, v41, v47
	v_pk_fma_f16 v44, v44, v51, v48
	v_lshrrev_b32_e32 v47, 16, v42
	v_lshrrev_b32_e32 v48, 16, v43
	v_and_b32_e32 v42, 0xffff, v42
	v_and_b32_e32 v43, 0xffff, v43
	s_delay_alu instid0(VALU_DEP_4) | instskip(NEXT) | instid1(VALU_DEP_4)
	v_mul_u32_u24_e32 v47, 0x10001, v47
	v_mul_u32_u24_e32 v48, 0x10001, v48
	s_delay_alu instid0(VALU_DEP_4) | instskip(NEXT) | instid1(VALU_DEP_4)
	v_mul_u32_u24_e32 v42, 0x10001, v42
	v_mul_u32_u24_e32 v43, 0x10001, v43
	s_delay_alu instid0(VALU_DEP_4) | instskip(NEXT) | instid1(VALU_DEP_4)
	v_pk_fma_f16 v46, v45, v47, v46
	v_pk_fma_f16 v48, v45, v48, v44
	s_delay_alu instid0(VALU_DEP_4) | instskip(NEXT) | instid1(VALU_DEP_4)
	v_pk_fma_f16 v49, v45, v42, v40
	v_pk_fma_f16 v47, v45, v43, v41
	ds_load_2addr_b32 v[44:45], v92 offset0:128 offset1:160
	;; [unrolled: 35-line block ×3, first 2 shown]
	ds_load_b128 v[40:43], v76 offset:496
	s_wait_dscnt 0x0
	v_lshrrev_b32_e32 v50, 16, v40
	v_lshrrev_b32_e32 v51, 16, v41
	v_and_b32_e32 v40, 0xffff, v40
	v_and_b32_e32 v41, 0xffff, v41
	s_delay_alu instid0(VALU_DEP_4) | instskip(NEXT) | instid1(VALU_DEP_4)
	v_mul_u32_u24_e32 v50, 0x10001, v50
	v_mul_u32_u24_e32 v51, 0x10001, v51
	s_delay_alu instid0(VALU_DEP_4) | instskip(NEXT) | instid1(VALU_DEP_4)
	v_mul_u32_u24_e32 v40, 0x10001, v40
	v_mul_u32_u24_e32 v41, 0x10001, v41
	s_delay_alu instid0(VALU_DEP_4) | instskip(NEXT) | instid1(VALU_DEP_3)
	v_pk_fma_f16 v46, v44, v50, v46
	v_pk_fma_f16 v40, v44, v40, v49
	s_delay_alu instid0(VALU_DEP_3)
	v_pk_fma_f16 v41, v44, v41, v47
	v_pk_fma_f16 v44, v44, v51, v48
	v_lshrrev_b32_e32 v47, 16, v42
	v_lshrrev_b32_e32 v48, 16, v43
	v_and_b32_e32 v42, 0xffff, v42
	v_and_b32_e32 v43, 0xffff, v43
	s_delay_alu instid0(VALU_DEP_4) | instskip(NEXT) | instid1(VALU_DEP_4)
	v_mul_u32_u24_e32 v47, 0x10001, v47
	v_mul_u32_u24_e32 v48, 0x10001, v48
	s_delay_alu instid0(VALU_DEP_4) | instskip(NEXT) | instid1(VALU_DEP_4)
	v_mul_u32_u24_e32 v42, 0x10001, v42
	v_mul_u32_u24_e32 v43, 0x10001, v43
	s_delay_alu instid0(VALU_DEP_4) | instskip(NEXT) | instid1(VALU_DEP_4)
	v_pk_fma_f16 v46, v45, v47, v46
	v_pk_fma_f16 v48, v45, v48, v44
	s_delay_alu instid0(VALU_DEP_4) | instskip(NEXT) | instid1(VALU_DEP_4)
	v_pk_fma_f16 v49, v45, v42, v40
	v_pk_fma_f16 v47, v45, v43, v41
	ds_load_2addr_b32 v[44:45], v93 offset1:32
	ds_load_b128 v[40:43], v76 offset:512
	s_wait_dscnt 0x0
	v_lshrrev_b32_e32 v50, 16, v40
	v_lshrrev_b32_e32 v51, 16, v41
	v_and_b32_e32 v40, 0xffff, v40
	v_and_b32_e32 v41, 0xffff, v41
	s_delay_alu instid0(VALU_DEP_4) | instskip(NEXT) | instid1(VALU_DEP_4)
	v_mul_u32_u24_e32 v50, 0x10001, v50
	v_mul_u32_u24_e32 v51, 0x10001, v51
	s_delay_alu instid0(VALU_DEP_4) | instskip(NEXT) | instid1(VALU_DEP_4)
	v_mul_u32_u24_e32 v40, 0x10001, v40
	v_mul_u32_u24_e32 v41, 0x10001, v41
	s_delay_alu instid0(VALU_DEP_4) | instskip(NEXT) | instid1(VALU_DEP_3)
	v_pk_fma_f16 v46, v44, v50, v46
	v_pk_fma_f16 v40, v44, v40, v49
	s_delay_alu instid0(VALU_DEP_3)
	v_pk_fma_f16 v41, v44, v41, v47
	v_pk_fma_f16 v44, v44, v51, v48
	v_lshrrev_b32_e32 v47, 16, v42
	v_lshrrev_b32_e32 v48, 16, v43
	v_and_b32_e32 v42, 0xffff, v42
	v_and_b32_e32 v43, 0xffff, v43
	s_delay_alu instid0(VALU_DEP_4) | instskip(NEXT) | instid1(VALU_DEP_4)
	v_mul_u32_u24_e32 v47, 0x10001, v47
	v_mul_u32_u24_e32 v48, 0x10001, v48
	s_delay_alu instid0(VALU_DEP_4) | instskip(NEXT) | instid1(VALU_DEP_4)
	v_mul_u32_u24_e32 v42, 0x10001, v42
	v_mul_u32_u24_e32 v43, 0x10001, v43
	s_delay_alu instid0(VALU_DEP_4) | instskip(NEXT) | instid1(VALU_DEP_4)
	v_pk_fma_f16 v46, v45, v47, v46
	v_pk_fma_f16 v48, v45, v48, v44
	s_delay_alu instid0(VALU_DEP_4) | instskip(NEXT) | instid1(VALU_DEP_4)
	v_pk_fma_f16 v49, v45, v42, v40
	v_pk_fma_f16 v47, v45, v43, v41
	ds_load_2addr_b32 v[44:45], v93 offset0:64 offset1:96
	ds_load_b128 v[40:43], v76 offset:528
	s_wait_dscnt 0x0
	v_lshrrev_b32_e32 v50, 16, v40
	v_lshrrev_b32_e32 v51, 16, v41
	v_and_b32_e32 v40, 0xffff, v40
	v_and_b32_e32 v41, 0xffff, v41
	s_delay_alu instid0(VALU_DEP_4) | instskip(NEXT) | instid1(VALU_DEP_4)
	v_mul_u32_u24_e32 v50, 0x10001, v50
	v_mul_u32_u24_e32 v51, 0x10001, v51
	s_delay_alu instid0(VALU_DEP_4) | instskip(NEXT) | instid1(VALU_DEP_4)
	v_mul_u32_u24_e32 v40, 0x10001, v40
	v_mul_u32_u24_e32 v41, 0x10001, v41
	s_delay_alu instid0(VALU_DEP_4) | instskip(NEXT) | instid1(VALU_DEP_3)
	v_pk_fma_f16 v46, v44, v50, v46
	v_pk_fma_f16 v40, v44, v40, v49
	s_delay_alu instid0(VALU_DEP_3)
	v_pk_fma_f16 v41, v44, v41, v47
	v_pk_fma_f16 v44, v44, v51, v48
	v_lshrrev_b32_e32 v47, 16, v42
	v_lshrrev_b32_e32 v48, 16, v43
	v_and_b32_e32 v42, 0xffff, v42
	v_and_b32_e32 v43, 0xffff, v43
	s_delay_alu instid0(VALU_DEP_4) | instskip(NEXT) | instid1(VALU_DEP_4)
	v_mul_u32_u24_e32 v47, 0x10001, v47
	v_mul_u32_u24_e32 v48, 0x10001, v48
	s_delay_alu instid0(VALU_DEP_4) | instskip(NEXT) | instid1(VALU_DEP_4)
	v_mul_u32_u24_e32 v42, 0x10001, v42
	v_mul_u32_u24_e32 v43, 0x10001, v43
	s_delay_alu instid0(VALU_DEP_4) | instskip(NEXT) | instid1(VALU_DEP_4)
	v_pk_fma_f16 v46, v45, v47, v46
	v_pk_fma_f16 v48, v45, v48, v44
	s_delay_alu instid0(VALU_DEP_4) | instskip(NEXT) | instid1(VALU_DEP_4)
	v_pk_fma_f16 v49, v45, v42, v40
	v_pk_fma_f16 v47, v45, v43, v41
	ds_load_2addr_b32 v[44:45], v93 offset0:128 offset1:160
	;; [unrolled: 35-line block ×3, first 2 shown]
	ds_load_b128 v[40:43], v76 offset:560
	s_wait_dscnt 0x0
	v_lshrrev_b32_e32 v50, 16, v40
	v_lshrrev_b32_e32 v51, 16, v41
	v_and_b32_e32 v40, 0xffff, v40
	v_and_b32_e32 v41, 0xffff, v41
	s_delay_alu instid0(VALU_DEP_4) | instskip(NEXT) | instid1(VALU_DEP_4)
	v_mul_u32_u24_e32 v50, 0x10001, v50
	v_mul_u32_u24_e32 v51, 0x10001, v51
	s_delay_alu instid0(VALU_DEP_4) | instskip(NEXT) | instid1(VALU_DEP_4)
	v_mul_u32_u24_e32 v40, 0x10001, v40
	v_mul_u32_u24_e32 v41, 0x10001, v41
	s_delay_alu instid0(VALU_DEP_4) | instskip(NEXT) | instid1(VALU_DEP_3)
	v_pk_fma_f16 v46, v44, v50, v46
	v_pk_fma_f16 v40, v44, v40, v49
	s_delay_alu instid0(VALU_DEP_3)
	v_pk_fma_f16 v41, v44, v41, v47
	v_pk_fma_f16 v44, v44, v51, v48
	v_lshrrev_b32_e32 v47, 16, v42
	v_lshrrev_b32_e32 v48, 16, v43
	v_and_b32_e32 v42, 0xffff, v42
	v_and_b32_e32 v43, 0xffff, v43
	s_delay_alu instid0(VALU_DEP_4) | instskip(NEXT) | instid1(VALU_DEP_4)
	v_mul_u32_u24_e32 v47, 0x10001, v47
	v_mul_u32_u24_e32 v48, 0x10001, v48
	s_delay_alu instid0(VALU_DEP_4) | instskip(NEXT) | instid1(VALU_DEP_4)
	v_mul_u32_u24_e32 v42, 0x10001, v42
	v_mul_u32_u24_e32 v43, 0x10001, v43
	s_delay_alu instid0(VALU_DEP_4) | instskip(NEXT) | instid1(VALU_DEP_4)
	v_pk_fma_f16 v46, v45, v47, v46
	v_pk_fma_f16 v48, v45, v48, v44
	s_delay_alu instid0(VALU_DEP_4) | instskip(NEXT) | instid1(VALU_DEP_4)
	v_pk_fma_f16 v49, v45, v42, v40
	v_pk_fma_f16 v47, v45, v43, v41
	ds_load_2addr_b32 v[44:45], v94 offset1:32
	ds_load_b128 v[40:43], v76 offset:576
	s_wait_dscnt 0x0
	v_lshrrev_b32_e32 v50, 16, v40
	v_lshrrev_b32_e32 v51, 16, v41
	v_and_b32_e32 v40, 0xffff, v40
	v_and_b32_e32 v41, 0xffff, v41
	s_delay_alu instid0(VALU_DEP_4) | instskip(NEXT) | instid1(VALU_DEP_4)
	v_mul_u32_u24_e32 v50, 0x10001, v50
	v_mul_u32_u24_e32 v51, 0x10001, v51
	s_delay_alu instid0(VALU_DEP_4) | instskip(NEXT) | instid1(VALU_DEP_4)
	v_mul_u32_u24_e32 v40, 0x10001, v40
	v_mul_u32_u24_e32 v41, 0x10001, v41
	s_delay_alu instid0(VALU_DEP_4) | instskip(NEXT) | instid1(VALU_DEP_3)
	v_pk_fma_f16 v46, v44, v50, v46
	v_pk_fma_f16 v40, v44, v40, v49
	s_delay_alu instid0(VALU_DEP_3)
	v_pk_fma_f16 v41, v44, v41, v47
	v_pk_fma_f16 v44, v44, v51, v48
	v_lshrrev_b32_e32 v47, 16, v42
	v_lshrrev_b32_e32 v48, 16, v43
	v_and_b32_e32 v42, 0xffff, v42
	v_and_b32_e32 v43, 0xffff, v43
	s_delay_alu instid0(VALU_DEP_4) | instskip(NEXT) | instid1(VALU_DEP_4)
	v_mul_u32_u24_e32 v47, 0x10001, v47
	v_mul_u32_u24_e32 v48, 0x10001, v48
	s_delay_alu instid0(VALU_DEP_4) | instskip(NEXT) | instid1(VALU_DEP_4)
	v_mul_u32_u24_e32 v42, 0x10001, v42
	v_mul_u32_u24_e32 v43, 0x10001, v43
	s_delay_alu instid0(VALU_DEP_4) | instskip(NEXT) | instid1(VALU_DEP_4)
	v_pk_fma_f16 v46, v45, v47, v46
	v_pk_fma_f16 v48, v45, v48, v44
	s_delay_alu instid0(VALU_DEP_4) | instskip(NEXT) | instid1(VALU_DEP_4)
	v_pk_fma_f16 v49, v45, v42, v40
	v_pk_fma_f16 v47, v45, v43, v41
	ds_load_2addr_b32 v[44:45], v94 offset0:64 offset1:96
	ds_load_b128 v[40:43], v76 offset:592
	s_wait_dscnt 0x0
	v_lshrrev_b32_e32 v50, 16, v40
	v_lshrrev_b32_e32 v51, 16, v41
	v_and_b32_e32 v40, 0xffff, v40
	v_and_b32_e32 v41, 0xffff, v41
	s_delay_alu instid0(VALU_DEP_4) | instskip(NEXT) | instid1(VALU_DEP_4)
	v_mul_u32_u24_e32 v50, 0x10001, v50
	v_mul_u32_u24_e32 v51, 0x10001, v51
	s_delay_alu instid0(VALU_DEP_4) | instskip(NEXT) | instid1(VALU_DEP_4)
	v_mul_u32_u24_e32 v40, 0x10001, v40
	v_mul_u32_u24_e32 v41, 0x10001, v41
	s_delay_alu instid0(VALU_DEP_4) | instskip(NEXT) | instid1(VALU_DEP_3)
	v_pk_fma_f16 v46, v44, v50, v46
	v_pk_fma_f16 v40, v44, v40, v49
	s_delay_alu instid0(VALU_DEP_3)
	v_pk_fma_f16 v41, v44, v41, v47
	v_pk_fma_f16 v44, v44, v51, v48
	v_lshrrev_b32_e32 v47, 16, v42
	v_lshrrev_b32_e32 v48, 16, v43
	v_and_b32_e32 v42, 0xffff, v42
	v_and_b32_e32 v43, 0xffff, v43
	s_delay_alu instid0(VALU_DEP_4) | instskip(NEXT) | instid1(VALU_DEP_4)
	v_mul_u32_u24_e32 v47, 0x10001, v47
	v_mul_u32_u24_e32 v48, 0x10001, v48
	s_delay_alu instid0(VALU_DEP_4) | instskip(NEXT) | instid1(VALU_DEP_4)
	v_mul_u32_u24_e32 v42, 0x10001, v42
	v_mul_u32_u24_e32 v43, 0x10001, v43
	s_delay_alu instid0(VALU_DEP_4) | instskip(NEXT) | instid1(VALU_DEP_4)
	v_pk_fma_f16 v46, v45, v47, v46
	v_pk_fma_f16 v48, v45, v48, v44
	s_delay_alu instid0(VALU_DEP_4) | instskip(NEXT) | instid1(VALU_DEP_4)
	v_pk_fma_f16 v49, v45, v42, v40
	v_pk_fma_f16 v47, v45, v43, v41
	ds_load_2addr_b32 v[44:45], v94 offset0:128 offset1:160
	;; [unrolled: 35-line block ×3, first 2 shown]
	ds_load_b128 v[40:43], v76 offset:624
	s_wait_dscnt 0x0
	v_lshrrev_b32_e32 v50, 16, v40
	v_lshrrev_b32_e32 v51, 16, v41
	v_and_b32_e32 v40, 0xffff, v40
	v_and_b32_e32 v41, 0xffff, v41
	s_delay_alu instid0(VALU_DEP_4) | instskip(NEXT) | instid1(VALU_DEP_4)
	v_mul_u32_u24_e32 v50, 0x10001, v50
	v_mul_u32_u24_e32 v51, 0x10001, v51
	s_delay_alu instid0(VALU_DEP_4) | instskip(NEXT) | instid1(VALU_DEP_4)
	v_mul_u32_u24_e32 v40, 0x10001, v40
	v_mul_u32_u24_e32 v41, 0x10001, v41
	s_delay_alu instid0(VALU_DEP_4) | instskip(NEXT) | instid1(VALU_DEP_3)
	v_pk_fma_f16 v46, v44, v50, v46
	v_pk_fma_f16 v40, v44, v40, v49
	s_delay_alu instid0(VALU_DEP_3)
	v_pk_fma_f16 v41, v44, v41, v47
	v_pk_fma_f16 v44, v44, v51, v48
	v_lshrrev_b32_e32 v47, 16, v42
	v_lshrrev_b32_e32 v48, 16, v43
	v_and_b32_e32 v42, 0xffff, v42
	v_and_b32_e32 v43, 0xffff, v43
	s_delay_alu instid0(VALU_DEP_4) | instskip(NEXT) | instid1(VALU_DEP_4)
	v_mul_u32_u24_e32 v47, 0x10001, v47
	v_mul_u32_u24_e32 v48, 0x10001, v48
	s_delay_alu instid0(VALU_DEP_4) | instskip(NEXT) | instid1(VALU_DEP_4)
	v_mul_u32_u24_e32 v42, 0x10001, v42
	v_mul_u32_u24_e32 v43, 0x10001, v43
	s_delay_alu instid0(VALU_DEP_4) | instskip(NEXT) | instid1(VALU_DEP_4)
	v_pk_fma_f16 v46, v45, v47, v46
	v_pk_fma_f16 v48, v45, v48, v44
	s_delay_alu instid0(VALU_DEP_4) | instskip(NEXT) | instid1(VALU_DEP_4)
	v_pk_fma_f16 v49, v45, v42, v40
	v_pk_fma_f16 v47, v45, v43, v41
	ds_load_2addr_b32 v[44:45], v95 offset1:32
	ds_load_b128 v[40:43], v76 offset:640
	s_wait_dscnt 0x0
	v_lshrrev_b32_e32 v50, 16, v40
	v_lshrrev_b32_e32 v51, 16, v41
	v_and_b32_e32 v40, 0xffff, v40
	v_and_b32_e32 v41, 0xffff, v41
	s_delay_alu instid0(VALU_DEP_4) | instskip(NEXT) | instid1(VALU_DEP_4)
	v_mul_u32_u24_e32 v50, 0x10001, v50
	v_mul_u32_u24_e32 v51, 0x10001, v51
	s_delay_alu instid0(VALU_DEP_4) | instskip(NEXT) | instid1(VALU_DEP_4)
	v_mul_u32_u24_e32 v40, 0x10001, v40
	v_mul_u32_u24_e32 v41, 0x10001, v41
	s_delay_alu instid0(VALU_DEP_4) | instskip(NEXT) | instid1(VALU_DEP_3)
	v_pk_fma_f16 v46, v44, v50, v46
	v_pk_fma_f16 v40, v44, v40, v49
	s_delay_alu instid0(VALU_DEP_3)
	v_pk_fma_f16 v41, v44, v41, v47
	v_pk_fma_f16 v44, v44, v51, v48
	v_lshrrev_b32_e32 v47, 16, v42
	v_lshrrev_b32_e32 v48, 16, v43
	v_and_b32_e32 v42, 0xffff, v42
	v_and_b32_e32 v43, 0xffff, v43
	s_delay_alu instid0(VALU_DEP_4) | instskip(NEXT) | instid1(VALU_DEP_4)
	v_mul_u32_u24_e32 v47, 0x10001, v47
	v_mul_u32_u24_e32 v48, 0x10001, v48
	s_delay_alu instid0(VALU_DEP_4) | instskip(NEXT) | instid1(VALU_DEP_4)
	v_mul_u32_u24_e32 v42, 0x10001, v42
	v_mul_u32_u24_e32 v43, 0x10001, v43
	s_delay_alu instid0(VALU_DEP_4) | instskip(NEXT) | instid1(VALU_DEP_4)
	v_pk_fma_f16 v46, v45, v47, v46
	v_pk_fma_f16 v48, v45, v48, v44
	s_delay_alu instid0(VALU_DEP_4) | instskip(NEXT) | instid1(VALU_DEP_4)
	v_pk_fma_f16 v49, v45, v42, v40
	v_pk_fma_f16 v47, v45, v43, v41
	ds_load_2addr_b32 v[44:45], v95 offset0:64 offset1:96
	ds_load_b128 v[40:43], v76 offset:656
	s_wait_dscnt 0x0
	v_lshrrev_b32_e32 v50, 16, v40
	v_lshrrev_b32_e32 v51, 16, v41
	v_and_b32_e32 v40, 0xffff, v40
	v_and_b32_e32 v41, 0xffff, v41
	s_delay_alu instid0(VALU_DEP_4) | instskip(NEXT) | instid1(VALU_DEP_4)
	v_mul_u32_u24_e32 v50, 0x10001, v50
	v_mul_u32_u24_e32 v51, 0x10001, v51
	s_delay_alu instid0(VALU_DEP_4) | instskip(NEXT) | instid1(VALU_DEP_4)
	v_mul_u32_u24_e32 v40, 0x10001, v40
	v_mul_u32_u24_e32 v41, 0x10001, v41
	s_delay_alu instid0(VALU_DEP_4) | instskip(NEXT) | instid1(VALU_DEP_3)
	v_pk_fma_f16 v46, v44, v50, v46
	v_pk_fma_f16 v40, v44, v40, v49
	s_delay_alu instid0(VALU_DEP_3)
	v_pk_fma_f16 v41, v44, v41, v47
	v_pk_fma_f16 v44, v44, v51, v48
	v_lshrrev_b32_e32 v47, 16, v42
	v_lshrrev_b32_e32 v48, 16, v43
	v_and_b32_e32 v42, 0xffff, v42
	v_and_b32_e32 v43, 0xffff, v43
	s_delay_alu instid0(VALU_DEP_4) | instskip(NEXT) | instid1(VALU_DEP_4)
	v_mul_u32_u24_e32 v47, 0x10001, v47
	v_mul_u32_u24_e32 v48, 0x10001, v48
	s_delay_alu instid0(VALU_DEP_4) | instskip(NEXT) | instid1(VALU_DEP_4)
	v_mul_u32_u24_e32 v42, 0x10001, v42
	v_mul_u32_u24_e32 v43, 0x10001, v43
	s_delay_alu instid0(VALU_DEP_4) | instskip(NEXT) | instid1(VALU_DEP_4)
	v_pk_fma_f16 v46, v45, v47, v46
	v_pk_fma_f16 v48, v45, v48, v44
	s_delay_alu instid0(VALU_DEP_4) | instskip(NEXT) | instid1(VALU_DEP_4)
	v_pk_fma_f16 v49, v45, v42, v40
	v_pk_fma_f16 v47, v45, v43, v41
	ds_load_2addr_b32 v[44:45], v95 offset0:128 offset1:160
	;; [unrolled: 35-line block ×3, first 2 shown]
	ds_load_b128 v[40:43], v76 offset:688
	s_wait_dscnt 0x0
	v_lshrrev_b32_e32 v50, 16, v40
	v_lshrrev_b32_e32 v51, 16, v41
	v_and_b32_e32 v40, 0xffff, v40
	v_and_b32_e32 v41, 0xffff, v41
	s_delay_alu instid0(VALU_DEP_4) | instskip(NEXT) | instid1(VALU_DEP_4)
	v_mul_u32_u24_e32 v50, 0x10001, v50
	v_mul_u32_u24_e32 v51, 0x10001, v51
	s_delay_alu instid0(VALU_DEP_4) | instskip(NEXT) | instid1(VALU_DEP_4)
	v_mul_u32_u24_e32 v40, 0x10001, v40
	v_mul_u32_u24_e32 v41, 0x10001, v41
	s_delay_alu instid0(VALU_DEP_4) | instskip(NEXT) | instid1(VALU_DEP_3)
	v_pk_fma_f16 v46, v44, v50, v46
	v_pk_fma_f16 v40, v44, v40, v49
	s_delay_alu instid0(VALU_DEP_3)
	v_pk_fma_f16 v41, v44, v41, v47
	v_pk_fma_f16 v44, v44, v51, v48
	v_lshrrev_b32_e32 v47, 16, v42
	v_lshrrev_b32_e32 v48, 16, v43
	v_and_b32_e32 v42, 0xffff, v42
	v_and_b32_e32 v43, 0xffff, v43
	s_delay_alu instid0(VALU_DEP_4) | instskip(NEXT) | instid1(VALU_DEP_4)
	v_mul_u32_u24_e32 v47, 0x10001, v47
	v_mul_u32_u24_e32 v48, 0x10001, v48
	s_delay_alu instid0(VALU_DEP_4) | instskip(NEXT) | instid1(VALU_DEP_4)
	v_mul_u32_u24_e32 v42, 0x10001, v42
	v_mul_u32_u24_e32 v43, 0x10001, v43
	s_delay_alu instid0(VALU_DEP_4) | instskip(NEXT) | instid1(VALU_DEP_4)
	v_pk_fma_f16 v46, v45, v47, v46
	v_pk_fma_f16 v48, v45, v48, v44
	s_delay_alu instid0(VALU_DEP_4) | instskip(NEXT) | instid1(VALU_DEP_4)
	v_pk_fma_f16 v49, v45, v42, v40
	v_pk_fma_f16 v47, v45, v43, v41
	ds_load_2addr_b32 v[44:45], v96 offset1:32
	ds_load_b128 v[40:43], v76 offset:704
	s_wait_dscnt 0x0
	v_lshrrev_b32_e32 v50, 16, v40
	v_lshrrev_b32_e32 v51, 16, v41
	v_and_b32_e32 v40, 0xffff, v40
	v_and_b32_e32 v41, 0xffff, v41
	s_delay_alu instid0(VALU_DEP_4) | instskip(NEXT) | instid1(VALU_DEP_4)
	v_mul_u32_u24_e32 v50, 0x10001, v50
	v_mul_u32_u24_e32 v51, 0x10001, v51
	s_delay_alu instid0(VALU_DEP_4) | instskip(NEXT) | instid1(VALU_DEP_4)
	v_mul_u32_u24_e32 v40, 0x10001, v40
	v_mul_u32_u24_e32 v41, 0x10001, v41
	s_delay_alu instid0(VALU_DEP_4) | instskip(NEXT) | instid1(VALU_DEP_3)
	v_pk_fma_f16 v46, v44, v50, v46
	v_pk_fma_f16 v40, v44, v40, v49
	s_delay_alu instid0(VALU_DEP_3)
	v_pk_fma_f16 v41, v44, v41, v47
	v_pk_fma_f16 v44, v44, v51, v48
	v_lshrrev_b32_e32 v47, 16, v42
	v_lshrrev_b32_e32 v48, 16, v43
	v_and_b32_e32 v42, 0xffff, v42
	v_and_b32_e32 v43, 0xffff, v43
	s_delay_alu instid0(VALU_DEP_4) | instskip(NEXT) | instid1(VALU_DEP_4)
	v_mul_u32_u24_e32 v47, 0x10001, v47
	v_mul_u32_u24_e32 v48, 0x10001, v48
	s_delay_alu instid0(VALU_DEP_4) | instskip(NEXT) | instid1(VALU_DEP_4)
	v_mul_u32_u24_e32 v42, 0x10001, v42
	v_mul_u32_u24_e32 v43, 0x10001, v43
	s_delay_alu instid0(VALU_DEP_4) | instskip(NEXT) | instid1(VALU_DEP_4)
	v_pk_fma_f16 v46, v45, v47, v46
	v_pk_fma_f16 v48, v45, v48, v44
	s_delay_alu instid0(VALU_DEP_4) | instskip(NEXT) | instid1(VALU_DEP_4)
	v_pk_fma_f16 v49, v45, v42, v40
	v_pk_fma_f16 v47, v45, v43, v41
	ds_load_2addr_b32 v[44:45], v96 offset0:64 offset1:96
	ds_load_b128 v[40:43], v76 offset:720
	s_wait_dscnt 0x0
	v_lshrrev_b32_e32 v50, 16, v40
	v_lshrrev_b32_e32 v51, 16, v41
	v_and_b32_e32 v40, 0xffff, v40
	v_and_b32_e32 v41, 0xffff, v41
	s_delay_alu instid0(VALU_DEP_4) | instskip(NEXT) | instid1(VALU_DEP_4)
	v_mul_u32_u24_e32 v50, 0x10001, v50
	v_mul_u32_u24_e32 v51, 0x10001, v51
	s_delay_alu instid0(VALU_DEP_4) | instskip(NEXT) | instid1(VALU_DEP_4)
	v_mul_u32_u24_e32 v40, 0x10001, v40
	v_mul_u32_u24_e32 v41, 0x10001, v41
	s_delay_alu instid0(VALU_DEP_4) | instskip(NEXT) | instid1(VALU_DEP_3)
	v_pk_fma_f16 v46, v44, v50, v46
	v_pk_fma_f16 v40, v44, v40, v49
	s_delay_alu instid0(VALU_DEP_3)
	v_pk_fma_f16 v41, v44, v41, v47
	v_pk_fma_f16 v44, v44, v51, v48
	v_lshrrev_b32_e32 v47, 16, v42
	v_lshrrev_b32_e32 v48, 16, v43
	v_and_b32_e32 v42, 0xffff, v42
	v_and_b32_e32 v43, 0xffff, v43
	s_delay_alu instid0(VALU_DEP_4) | instskip(NEXT) | instid1(VALU_DEP_4)
	v_mul_u32_u24_e32 v47, 0x10001, v47
	v_mul_u32_u24_e32 v48, 0x10001, v48
	s_delay_alu instid0(VALU_DEP_4) | instskip(NEXT) | instid1(VALU_DEP_4)
	v_mul_u32_u24_e32 v42, 0x10001, v42
	v_mul_u32_u24_e32 v43, 0x10001, v43
	s_delay_alu instid0(VALU_DEP_4) | instskip(NEXT) | instid1(VALU_DEP_4)
	v_pk_fma_f16 v46, v45, v47, v46
	v_pk_fma_f16 v48, v45, v48, v44
	s_delay_alu instid0(VALU_DEP_4) | instskip(NEXT) | instid1(VALU_DEP_4)
	v_pk_fma_f16 v49, v45, v42, v40
	v_pk_fma_f16 v47, v45, v43, v41
	ds_load_2addr_b32 v[44:45], v96 offset0:128 offset1:160
	ds_load_b128 v[40:43], v76 offset:736
	s_wait_dscnt 0x0
	v_lshrrev_b32_e32 v50, 16, v40
	v_lshrrev_b32_e32 v51, 16, v41
	v_and_b32_e32 v40, 0xffff, v40
	v_and_b32_e32 v41, 0xffff, v41
	s_delay_alu instid0(VALU_DEP_4) | instskip(NEXT) | instid1(VALU_DEP_4)
	v_mul_u32_u24_e32 v50, 0x10001, v50
	v_mul_u32_u24_e32 v51, 0x10001, v51
	s_delay_alu instid0(VALU_DEP_4) | instskip(NEXT) | instid1(VALU_DEP_4)
	v_mul_u32_u24_e32 v40, 0x10001, v40
	v_mul_u32_u24_e32 v41, 0x10001, v41
	s_delay_alu instid0(VALU_DEP_4) | instskip(NEXT) | instid1(VALU_DEP_3)
	v_pk_fma_f16 v46, v44, v50, v46
	v_pk_fma_f16 v40, v44, v40, v49
	s_delay_alu instid0(VALU_DEP_3)
	v_pk_fma_f16 v41, v44, v41, v47
	v_pk_fma_f16 v44, v44, v51, v48
	v_lshrrev_b32_e32 v47, 16, v42
	v_lshrrev_b32_e32 v48, 16, v43
	v_and_b32_e32 v42, 0xffff, v42
	v_and_b32_e32 v43, 0xffff, v43
	s_delay_alu instid0(VALU_DEP_4) | instskip(NEXT) | instid1(VALU_DEP_4)
	v_mul_u32_u24_e32 v47, 0x10001, v47
	v_mul_u32_u24_e32 v48, 0x10001, v48
	s_delay_alu instid0(VALU_DEP_4) | instskip(NEXT) | instid1(VALU_DEP_4)
	v_mul_u32_u24_e32 v42, 0x10001, v42
	v_mul_u32_u24_e32 v43, 0x10001, v43
	s_delay_alu instid0(VALU_DEP_4) | instskip(NEXT) | instid1(VALU_DEP_4)
	v_pk_fma_f16 v46, v45, v47, v46
	v_pk_fma_f16 v48, v45, v48, v44
	s_delay_alu instid0(VALU_DEP_4) | instskip(NEXT) | instid1(VALU_DEP_4)
	v_pk_fma_f16 v49, v45, v42, v40
	v_pk_fma_f16 v47, v45, v43, v41
	ds_load_2addr_b32 v[44:45], v96 offset0:192 offset1:224
	ds_load_b128 v[40:43], v76 offset:752
	s_wait_dscnt 0x0
	v_lshrrev_b32_e32 v50, 16, v40
	v_lshrrev_b32_e32 v51, 16, v41
	v_and_b32_e32 v40, 0xffff, v40
	v_and_b32_e32 v41, 0xffff, v41
	s_delay_alu instid0(VALU_DEP_4) | instskip(NEXT) | instid1(VALU_DEP_4)
	v_mul_u32_u24_e32 v50, 0x10001, v50
	v_mul_u32_u24_e32 v51, 0x10001, v51
	s_delay_alu instid0(VALU_DEP_4) | instskip(NEXT) | instid1(VALU_DEP_4)
	v_mul_u32_u24_e32 v40, 0x10001, v40
	v_mul_u32_u24_e32 v41, 0x10001, v41
	s_delay_alu instid0(VALU_DEP_4) | instskip(NEXT) | instid1(VALU_DEP_3)
	v_pk_fma_f16 v46, v44, v50, v46
	v_pk_fma_f16 v40, v44, v40, v49
	s_delay_alu instid0(VALU_DEP_3)
	v_pk_fma_f16 v41, v44, v41, v47
	v_pk_fma_f16 v44, v44, v51, v48
	v_lshrrev_b32_e32 v47, 16, v42
	v_lshrrev_b32_e32 v48, 16, v43
	v_and_b32_e32 v42, 0xffff, v42
	v_and_b32_e32 v43, 0xffff, v43
	s_delay_alu instid0(VALU_DEP_4) | instskip(NEXT) | instid1(VALU_DEP_4)
	v_mul_u32_u24_e32 v47, 0x10001, v47
	v_mul_u32_u24_e32 v48, 0x10001, v48
	s_delay_alu instid0(VALU_DEP_4) | instskip(NEXT) | instid1(VALU_DEP_4)
	v_mul_u32_u24_e32 v42, 0x10001, v42
	v_mul_u32_u24_e32 v43, 0x10001, v43
	s_delay_alu instid0(VALU_DEP_4) | instskip(NEXT) | instid1(VALU_DEP_4)
	v_pk_fma_f16 v46, v45, v47, v46
	v_pk_fma_f16 v48, v45, v48, v44
	s_delay_alu instid0(VALU_DEP_4) | instskip(NEXT) | instid1(VALU_DEP_4)
	v_pk_fma_f16 v49, v45, v42, v40
	v_pk_fma_f16 v47, v45, v43, v41
	ds_load_2addr_b32 v[44:45], v97 offset1:32
	ds_load_b128 v[40:43], v76 offset:768
	s_wait_dscnt 0x0
	v_lshrrev_b32_e32 v50, 16, v40
	v_lshrrev_b32_e32 v51, 16, v41
	v_and_b32_e32 v40, 0xffff, v40
	v_and_b32_e32 v41, 0xffff, v41
	s_delay_alu instid0(VALU_DEP_4) | instskip(NEXT) | instid1(VALU_DEP_4)
	v_mul_u32_u24_e32 v50, 0x10001, v50
	v_mul_u32_u24_e32 v51, 0x10001, v51
	s_delay_alu instid0(VALU_DEP_4) | instskip(NEXT) | instid1(VALU_DEP_4)
	v_mul_u32_u24_e32 v40, 0x10001, v40
	v_mul_u32_u24_e32 v41, 0x10001, v41
	s_delay_alu instid0(VALU_DEP_4) | instskip(NEXT) | instid1(VALU_DEP_3)
	v_pk_fma_f16 v46, v44, v50, v46
	v_pk_fma_f16 v40, v44, v40, v49
	s_delay_alu instid0(VALU_DEP_3)
	v_pk_fma_f16 v41, v44, v41, v47
	v_pk_fma_f16 v44, v44, v51, v48
	v_lshrrev_b32_e32 v47, 16, v42
	v_lshrrev_b32_e32 v48, 16, v43
	v_and_b32_e32 v42, 0xffff, v42
	v_and_b32_e32 v43, 0xffff, v43
	s_delay_alu instid0(VALU_DEP_4) | instskip(NEXT) | instid1(VALU_DEP_4)
	v_mul_u32_u24_e32 v47, 0x10001, v47
	v_mul_u32_u24_e32 v48, 0x10001, v48
	s_delay_alu instid0(VALU_DEP_4) | instskip(NEXT) | instid1(VALU_DEP_4)
	v_mul_u32_u24_e32 v42, 0x10001, v42
	v_mul_u32_u24_e32 v43, 0x10001, v43
	s_delay_alu instid0(VALU_DEP_4) | instskip(NEXT) | instid1(VALU_DEP_4)
	v_pk_fma_f16 v46, v45, v47, v46
	v_pk_fma_f16 v48, v45, v48, v44
	s_delay_alu instid0(VALU_DEP_4) | instskip(NEXT) | instid1(VALU_DEP_4)
	v_pk_fma_f16 v49, v45, v42, v40
	v_pk_fma_f16 v47, v45, v43, v41
	ds_load_2addr_b32 v[44:45], v97 offset0:64 offset1:96
	ds_load_b128 v[40:43], v76 offset:784
	s_wait_dscnt 0x0
	v_lshrrev_b32_e32 v50, 16, v40
	v_lshrrev_b32_e32 v51, 16, v41
	v_and_b32_e32 v40, 0xffff, v40
	v_and_b32_e32 v41, 0xffff, v41
	s_delay_alu instid0(VALU_DEP_4) | instskip(NEXT) | instid1(VALU_DEP_4)
	v_mul_u32_u24_e32 v50, 0x10001, v50
	v_mul_u32_u24_e32 v51, 0x10001, v51
	s_delay_alu instid0(VALU_DEP_4) | instskip(NEXT) | instid1(VALU_DEP_4)
	v_mul_u32_u24_e32 v40, 0x10001, v40
	v_mul_u32_u24_e32 v41, 0x10001, v41
	s_delay_alu instid0(VALU_DEP_4) | instskip(NEXT) | instid1(VALU_DEP_3)
	v_pk_fma_f16 v46, v44, v50, v46
	v_pk_fma_f16 v40, v44, v40, v49
	s_delay_alu instid0(VALU_DEP_3)
	v_pk_fma_f16 v41, v44, v41, v47
	v_pk_fma_f16 v44, v44, v51, v48
	v_lshrrev_b32_e32 v47, 16, v42
	v_lshrrev_b32_e32 v48, 16, v43
	v_and_b32_e32 v42, 0xffff, v42
	v_and_b32_e32 v43, 0xffff, v43
	s_delay_alu instid0(VALU_DEP_4) | instskip(NEXT) | instid1(VALU_DEP_4)
	v_mul_u32_u24_e32 v47, 0x10001, v47
	v_mul_u32_u24_e32 v48, 0x10001, v48
	s_delay_alu instid0(VALU_DEP_4) | instskip(NEXT) | instid1(VALU_DEP_4)
	v_mul_u32_u24_e32 v42, 0x10001, v42
	v_mul_u32_u24_e32 v43, 0x10001, v43
	s_delay_alu instid0(VALU_DEP_4) | instskip(NEXT) | instid1(VALU_DEP_4)
	v_pk_fma_f16 v46, v45, v47, v46
	v_pk_fma_f16 v48, v45, v48, v44
	s_delay_alu instid0(VALU_DEP_4) | instskip(NEXT) | instid1(VALU_DEP_4)
	v_pk_fma_f16 v49, v45, v42, v40
	v_pk_fma_f16 v47, v45, v43, v41
	ds_load_2addr_b32 v[44:45], v97 offset0:128 offset1:160
	;; [unrolled: 35-line block ×3, first 2 shown]
	ds_load_b128 v[40:43], v76 offset:816
	s_wait_dscnt 0x0
	v_lshrrev_b32_e32 v50, 16, v40
	v_lshrrev_b32_e32 v51, 16, v41
	v_and_b32_e32 v40, 0xffff, v40
	v_and_b32_e32 v41, 0xffff, v41
	s_delay_alu instid0(VALU_DEP_4) | instskip(NEXT) | instid1(VALU_DEP_4)
	v_mul_u32_u24_e32 v50, 0x10001, v50
	v_mul_u32_u24_e32 v51, 0x10001, v51
	s_delay_alu instid0(VALU_DEP_4) | instskip(NEXT) | instid1(VALU_DEP_4)
	v_mul_u32_u24_e32 v40, 0x10001, v40
	v_mul_u32_u24_e32 v41, 0x10001, v41
	s_delay_alu instid0(VALU_DEP_4) | instskip(NEXT) | instid1(VALU_DEP_3)
	v_pk_fma_f16 v46, v44, v50, v46
	v_pk_fma_f16 v40, v44, v40, v49
	s_delay_alu instid0(VALU_DEP_3)
	v_pk_fma_f16 v41, v44, v41, v47
	v_pk_fma_f16 v44, v44, v51, v48
	v_lshrrev_b32_e32 v47, 16, v42
	v_lshrrev_b32_e32 v48, 16, v43
	v_and_b32_e32 v42, 0xffff, v42
	v_and_b32_e32 v43, 0xffff, v43
	s_delay_alu instid0(VALU_DEP_4) | instskip(NEXT) | instid1(VALU_DEP_4)
	v_mul_u32_u24_e32 v47, 0x10001, v47
	v_mul_u32_u24_e32 v48, 0x10001, v48
	s_delay_alu instid0(VALU_DEP_4) | instskip(NEXT) | instid1(VALU_DEP_4)
	v_mul_u32_u24_e32 v42, 0x10001, v42
	v_mul_u32_u24_e32 v43, 0x10001, v43
	s_delay_alu instid0(VALU_DEP_4) | instskip(NEXT) | instid1(VALU_DEP_4)
	v_pk_fma_f16 v46, v45, v47, v46
	v_pk_fma_f16 v48, v45, v48, v44
	s_delay_alu instid0(VALU_DEP_4) | instskip(NEXT) | instid1(VALU_DEP_4)
	v_pk_fma_f16 v49, v45, v42, v40
	v_pk_fma_f16 v47, v45, v43, v41
	ds_load_2addr_b32 v[44:45], v98 offset1:32
	ds_load_b128 v[40:43], v76 offset:832
	s_wait_dscnt 0x0
	v_lshrrev_b32_e32 v50, 16, v40
	v_lshrrev_b32_e32 v51, 16, v41
	v_and_b32_e32 v40, 0xffff, v40
	v_and_b32_e32 v41, 0xffff, v41
	s_delay_alu instid0(VALU_DEP_4) | instskip(NEXT) | instid1(VALU_DEP_4)
	v_mul_u32_u24_e32 v50, 0x10001, v50
	v_mul_u32_u24_e32 v51, 0x10001, v51
	s_delay_alu instid0(VALU_DEP_4) | instskip(NEXT) | instid1(VALU_DEP_4)
	v_mul_u32_u24_e32 v40, 0x10001, v40
	v_mul_u32_u24_e32 v41, 0x10001, v41
	s_delay_alu instid0(VALU_DEP_4) | instskip(NEXT) | instid1(VALU_DEP_3)
	v_pk_fma_f16 v46, v44, v50, v46
	v_pk_fma_f16 v40, v44, v40, v49
	s_delay_alu instid0(VALU_DEP_3)
	v_pk_fma_f16 v41, v44, v41, v47
	v_pk_fma_f16 v44, v44, v51, v48
	v_lshrrev_b32_e32 v47, 16, v42
	v_lshrrev_b32_e32 v48, 16, v43
	v_and_b32_e32 v42, 0xffff, v42
	v_and_b32_e32 v43, 0xffff, v43
	s_delay_alu instid0(VALU_DEP_4) | instskip(NEXT) | instid1(VALU_DEP_4)
	v_mul_u32_u24_e32 v47, 0x10001, v47
	v_mul_u32_u24_e32 v48, 0x10001, v48
	s_delay_alu instid0(VALU_DEP_4) | instskip(NEXT) | instid1(VALU_DEP_4)
	v_mul_u32_u24_e32 v42, 0x10001, v42
	v_mul_u32_u24_e32 v43, 0x10001, v43
	s_delay_alu instid0(VALU_DEP_4) | instskip(NEXT) | instid1(VALU_DEP_4)
	v_pk_fma_f16 v46, v45, v47, v46
	v_pk_fma_f16 v48, v45, v48, v44
	s_delay_alu instid0(VALU_DEP_4) | instskip(NEXT) | instid1(VALU_DEP_4)
	v_pk_fma_f16 v49, v45, v42, v40
	v_pk_fma_f16 v47, v45, v43, v41
	ds_load_2addr_b32 v[44:45], v98 offset0:64 offset1:96
	ds_load_b128 v[40:43], v76 offset:848
	s_wait_dscnt 0x0
	v_lshrrev_b32_e32 v50, 16, v40
	v_lshrrev_b32_e32 v51, 16, v41
	v_and_b32_e32 v40, 0xffff, v40
	v_and_b32_e32 v41, 0xffff, v41
	s_delay_alu instid0(VALU_DEP_4) | instskip(NEXT) | instid1(VALU_DEP_4)
	v_mul_u32_u24_e32 v50, 0x10001, v50
	v_mul_u32_u24_e32 v51, 0x10001, v51
	s_delay_alu instid0(VALU_DEP_4) | instskip(NEXT) | instid1(VALU_DEP_4)
	v_mul_u32_u24_e32 v40, 0x10001, v40
	v_mul_u32_u24_e32 v41, 0x10001, v41
	s_delay_alu instid0(VALU_DEP_4) | instskip(NEXT) | instid1(VALU_DEP_3)
	v_pk_fma_f16 v46, v44, v50, v46
	v_pk_fma_f16 v40, v44, v40, v49
	s_delay_alu instid0(VALU_DEP_3)
	v_pk_fma_f16 v41, v44, v41, v47
	v_pk_fma_f16 v44, v44, v51, v48
	v_lshrrev_b32_e32 v47, 16, v42
	v_lshrrev_b32_e32 v48, 16, v43
	v_and_b32_e32 v42, 0xffff, v42
	v_and_b32_e32 v43, 0xffff, v43
	s_delay_alu instid0(VALU_DEP_4) | instskip(NEXT) | instid1(VALU_DEP_4)
	v_mul_u32_u24_e32 v47, 0x10001, v47
	v_mul_u32_u24_e32 v48, 0x10001, v48
	s_delay_alu instid0(VALU_DEP_4) | instskip(NEXT) | instid1(VALU_DEP_4)
	v_mul_u32_u24_e32 v42, 0x10001, v42
	v_mul_u32_u24_e32 v43, 0x10001, v43
	s_delay_alu instid0(VALU_DEP_4) | instskip(NEXT) | instid1(VALU_DEP_4)
	v_pk_fma_f16 v46, v45, v47, v46
	v_pk_fma_f16 v48, v45, v48, v44
	s_delay_alu instid0(VALU_DEP_4) | instskip(NEXT) | instid1(VALU_DEP_4)
	v_pk_fma_f16 v49, v45, v42, v40
	v_pk_fma_f16 v47, v45, v43, v41
	ds_load_2addr_b32 v[44:45], v98 offset0:128 offset1:160
	;; [unrolled: 35-line block ×3, first 2 shown]
	ds_load_b128 v[40:43], v76 offset:880
	s_wait_dscnt 0x0
	v_lshrrev_b32_e32 v50, 16, v40
	v_lshrrev_b32_e32 v51, 16, v41
	v_and_b32_e32 v40, 0xffff, v40
	v_and_b32_e32 v41, 0xffff, v41
	s_delay_alu instid0(VALU_DEP_4) | instskip(NEXT) | instid1(VALU_DEP_4)
	v_mul_u32_u24_e32 v50, 0x10001, v50
	v_mul_u32_u24_e32 v51, 0x10001, v51
	s_delay_alu instid0(VALU_DEP_4) | instskip(NEXT) | instid1(VALU_DEP_4)
	v_mul_u32_u24_e32 v40, 0x10001, v40
	v_mul_u32_u24_e32 v41, 0x10001, v41
	s_delay_alu instid0(VALU_DEP_4) | instskip(NEXT) | instid1(VALU_DEP_3)
	v_pk_fma_f16 v46, v44, v50, v46
	v_pk_fma_f16 v40, v44, v40, v49
	s_delay_alu instid0(VALU_DEP_3)
	v_pk_fma_f16 v41, v44, v41, v47
	v_pk_fma_f16 v44, v44, v51, v48
	v_lshrrev_b32_e32 v47, 16, v42
	v_lshrrev_b32_e32 v48, 16, v43
	v_and_b32_e32 v42, 0xffff, v42
	v_and_b32_e32 v43, 0xffff, v43
	s_delay_alu instid0(VALU_DEP_4) | instskip(NEXT) | instid1(VALU_DEP_4)
	v_mul_u32_u24_e32 v47, 0x10001, v47
	v_mul_u32_u24_e32 v48, 0x10001, v48
	s_delay_alu instid0(VALU_DEP_4) | instskip(NEXT) | instid1(VALU_DEP_4)
	v_mul_u32_u24_e32 v42, 0x10001, v42
	v_mul_u32_u24_e32 v43, 0x10001, v43
	s_delay_alu instid0(VALU_DEP_4) | instskip(NEXT) | instid1(VALU_DEP_4)
	v_pk_fma_f16 v46, v45, v47, v46
	v_pk_fma_f16 v48, v45, v48, v44
	s_delay_alu instid0(VALU_DEP_4) | instskip(NEXT) | instid1(VALU_DEP_4)
	v_pk_fma_f16 v49, v45, v42, v40
	v_pk_fma_f16 v47, v45, v43, v41
	ds_load_2addr_b32 v[44:45], v99 offset1:32
	ds_load_b128 v[40:43], v76 offset:896
	s_wait_dscnt 0x0
	v_lshrrev_b32_e32 v50, 16, v40
	v_lshrrev_b32_e32 v51, 16, v41
	v_and_b32_e32 v40, 0xffff, v40
	v_and_b32_e32 v41, 0xffff, v41
	s_delay_alu instid0(VALU_DEP_4) | instskip(NEXT) | instid1(VALU_DEP_4)
	v_mul_u32_u24_e32 v50, 0x10001, v50
	v_mul_u32_u24_e32 v51, 0x10001, v51
	s_delay_alu instid0(VALU_DEP_4) | instskip(NEXT) | instid1(VALU_DEP_4)
	v_mul_u32_u24_e32 v40, 0x10001, v40
	v_mul_u32_u24_e32 v41, 0x10001, v41
	s_delay_alu instid0(VALU_DEP_4) | instskip(NEXT) | instid1(VALU_DEP_3)
	v_pk_fma_f16 v46, v44, v50, v46
	v_pk_fma_f16 v40, v44, v40, v49
	s_delay_alu instid0(VALU_DEP_3)
	v_pk_fma_f16 v41, v44, v41, v47
	v_pk_fma_f16 v44, v44, v51, v48
	v_lshrrev_b32_e32 v47, 16, v42
	v_lshrrev_b32_e32 v48, 16, v43
	v_and_b32_e32 v42, 0xffff, v42
	v_and_b32_e32 v43, 0xffff, v43
	s_delay_alu instid0(VALU_DEP_4) | instskip(NEXT) | instid1(VALU_DEP_4)
	v_mul_u32_u24_e32 v47, 0x10001, v47
	v_mul_u32_u24_e32 v48, 0x10001, v48
	s_delay_alu instid0(VALU_DEP_4) | instskip(NEXT) | instid1(VALU_DEP_4)
	v_mul_u32_u24_e32 v42, 0x10001, v42
	v_mul_u32_u24_e32 v43, 0x10001, v43
	s_delay_alu instid0(VALU_DEP_4) | instskip(NEXT) | instid1(VALU_DEP_4)
	v_pk_fma_f16 v46, v45, v47, v46
	v_pk_fma_f16 v48, v45, v48, v44
	s_delay_alu instid0(VALU_DEP_4) | instskip(NEXT) | instid1(VALU_DEP_4)
	v_pk_fma_f16 v49, v45, v42, v40
	v_pk_fma_f16 v47, v45, v43, v41
	ds_load_2addr_b32 v[44:45], v99 offset0:64 offset1:96
	ds_load_b128 v[40:43], v76 offset:912
	s_wait_dscnt 0x0
	v_lshrrev_b32_e32 v50, 16, v40
	v_lshrrev_b32_e32 v51, 16, v41
	v_and_b32_e32 v40, 0xffff, v40
	v_and_b32_e32 v41, 0xffff, v41
	s_delay_alu instid0(VALU_DEP_4) | instskip(NEXT) | instid1(VALU_DEP_4)
	v_mul_u32_u24_e32 v50, 0x10001, v50
	v_mul_u32_u24_e32 v51, 0x10001, v51
	s_delay_alu instid0(VALU_DEP_4) | instskip(NEXT) | instid1(VALU_DEP_4)
	v_mul_u32_u24_e32 v40, 0x10001, v40
	v_mul_u32_u24_e32 v41, 0x10001, v41
	s_delay_alu instid0(VALU_DEP_4) | instskip(NEXT) | instid1(VALU_DEP_3)
	v_pk_fma_f16 v46, v44, v50, v46
	v_pk_fma_f16 v40, v44, v40, v49
	s_delay_alu instid0(VALU_DEP_3)
	v_pk_fma_f16 v41, v44, v41, v47
	v_pk_fma_f16 v44, v44, v51, v48
	v_lshrrev_b32_e32 v47, 16, v42
	v_lshrrev_b32_e32 v48, 16, v43
	v_and_b32_e32 v42, 0xffff, v42
	v_and_b32_e32 v43, 0xffff, v43
	s_delay_alu instid0(VALU_DEP_4) | instskip(NEXT) | instid1(VALU_DEP_4)
	v_mul_u32_u24_e32 v47, 0x10001, v47
	v_mul_u32_u24_e32 v48, 0x10001, v48
	s_delay_alu instid0(VALU_DEP_4) | instskip(NEXT) | instid1(VALU_DEP_4)
	v_mul_u32_u24_e32 v42, 0x10001, v42
	v_mul_u32_u24_e32 v43, 0x10001, v43
	s_delay_alu instid0(VALU_DEP_4) | instskip(NEXT) | instid1(VALU_DEP_4)
	v_pk_fma_f16 v46, v45, v47, v46
	v_pk_fma_f16 v48, v45, v48, v44
	s_delay_alu instid0(VALU_DEP_4) | instskip(NEXT) | instid1(VALU_DEP_4)
	v_pk_fma_f16 v49, v45, v42, v40
	v_pk_fma_f16 v47, v45, v43, v41
	ds_load_2addr_b32 v[44:45], v99 offset0:128 offset1:160
	;; [unrolled: 35-line block ×3, first 2 shown]
	ds_load_b128 v[40:43], v76 offset:944
	s_wait_dscnt 0x0
	v_lshrrev_b32_e32 v50, 16, v40
	v_lshrrev_b32_e32 v51, 16, v41
	v_and_b32_e32 v40, 0xffff, v40
	v_and_b32_e32 v41, 0xffff, v41
	s_delay_alu instid0(VALU_DEP_4) | instskip(NEXT) | instid1(VALU_DEP_4)
	v_mul_u32_u24_e32 v50, 0x10001, v50
	v_mul_u32_u24_e32 v51, 0x10001, v51
	s_delay_alu instid0(VALU_DEP_4) | instskip(NEXT) | instid1(VALU_DEP_4)
	v_mul_u32_u24_e32 v40, 0x10001, v40
	v_mul_u32_u24_e32 v41, 0x10001, v41
	s_delay_alu instid0(VALU_DEP_4) | instskip(NEXT) | instid1(VALU_DEP_3)
	v_pk_fma_f16 v46, v44, v50, v46
	v_pk_fma_f16 v40, v44, v40, v49
	s_delay_alu instid0(VALU_DEP_3)
	v_pk_fma_f16 v41, v44, v41, v47
	v_pk_fma_f16 v44, v44, v51, v48
	v_lshrrev_b32_e32 v47, 16, v42
	v_lshrrev_b32_e32 v48, 16, v43
	v_and_b32_e32 v42, 0xffff, v42
	v_and_b32_e32 v43, 0xffff, v43
	s_delay_alu instid0(VALU_DEP_4) | instskip(NEXT) | instid1(VALU_DEP_4)
	v_mul_u32_u24_e32 v47, 0x10001, v47
	v_mul_u32_u24_e32 v48, 0x10001, v48
	s_delay_alu instid0(VALU_DEP_4) | instskip(NEXT) | instid1(VALU_DEP_4)
	v_mul_u32_u24_e32 v42, 0x10001, v42
	v_mul_u32_u24_e32 v43, 0x10001, v43
	s_delay_alu instid0(VALU_DEP_4) | instskip(NEXT) | instid1(VALU_DEP_4)
	v_pk_fma_f16 v46, v45, v47, v46
	v_pk_fma_f16 v48, v45, v48, v44
	s_delay_alu instid0(VALU_DEP_4) | instskip(NEXT) | instid1(VALU_DEP_4)
	v_pk_fma_f16 v49, v45, v42, v40
	v_pk_fma_f16 v47, v45, v43, v41
	ds_load_2addr_b32 v[44:45], v100 offset1:32
	ds_load_b128 v[40:43], v76 offset:960
	s_wait_dscnt 0x0
	v_lshrrev_b32_e32 v50, 16, v40
	v_lshrrev_b32_e32 v51, 16, v41
	v_and_b32_e32 v40, 0xffff, v40
	v_and_b32_e32 v41, 0xffff, v41
	s_delay_alu instid0(VALU_DEP_4) | instskip(NEXT) | instid1(VALU_DEP_4)
	v_mul_u32_u24_e32 v50, 0x10001, v50
	v_mul_u32_u24_e32 v51, 0x10001, v51
	s_delay_alu instid0(VALU_DEP_4) | instskip(NEXT) | instid1(VALU_DEP_4)
	v_mul_u32_u24_e32 v40, 0x10001, v40
	v_mul_u32_u24_e32 v41, 0x10001, v41
	s_delay_alu instid0(VALU_DEP_4) | instskip(NEXT) | instid1(VALU_DEP_3)
	v_pk_fma_f16 v46, v44, v50, v46
	v_pk_fma_f16 v40, v44, v40, v49
	s_delay_alu instid0(VALU_DEP_3)
	v_pk_fma_f16 v41, v44, v41, v47
	v_pk_fma_f16 v44, v44, v51, v48
	v_lshrrev_b32_e32 v47, 16, v42
	v_lshrrev_b32_e32 v48, 16, v43
	v_and_b32_e32 v42, 0xffff, v42
	v_and_b32_e32 v43, 0xffff, v43
	s_delay_alu instid0(VALU_DEP_4) | instskip(NEXT) | instid1(VALU_DEP_4)
	v_mul_u32_u24_e32 v47, 0x10001, v47
	v_mul_u32_u24_e32 v48, 0x10001, v48
	s_delay_alu instid0(VALU_DEP_4) | instskip(NEXT) | instid1(VALU_DEP_4)
	v_mul_u32_u24_e32 v42, 0x10001, v42
	v_mul_u32_u24_e32 v43, 0x10001, v43
	s_delay_alu instid0(VALU_DEP_4) | instskip(NEXT) | instid1(VALU_DEP_4)
	v_pk_fma_f16 v46, v45, v47, v46
	v_pk_fma_f16 v48, v45, v48, v44
	s_delay_alu instid0(VALU_DEP_4) | instskip(NEXT) | instid1(VALU_DEP_4)
	v_pk_fma_f16 v49, v45, v42, v40
	v_pk_fma_f16 v47, v45, v43, v41
	ds_load_2addr_b32 v[44:45], v100 offset0:64 offset1:96
	ds_load_b128 v[40:43], v76 offset:976
	s_wait_dscnt 0x0
	v_lshrrev_b32_e32 v50, 16, v40
	v_lshrrev_b32_e32 v51, 16, v41
	v_and_b32_e32 v40, 0xffff, v40
	v_and_b32_e32 v41, 0xffff, v41
	s_delay_alu instid0(VALU_DEP_4) | instskip(NEXT) | instid1(VALU_DEP_4)
	v_mul_u32_u24_e32 v50, 0x10001, v50
	v_mul_u32_u24_e32 v51, 0x10001, v51
	s_delay_alu instid0(VALU_DEP_4) | instskip(NEXT) | instid1(VALU_DEP_4)
	v_mul_u32_u24_e32 v40, 0x10001, v40
	v_mul_u32_u24_e32 v41, 0x10001, v41
	s_delay_alu instid0(VALU_DEP_4) | instskip(NEXT) | instid1(VALU_DEP_3)
	v_pk_fma_f16 v46, v44, v50, v46
	v_pk_fma_f16 v40, v44, v40, v49
	s_delay_alu instid0(VALU_DEP_3)
	v_pk_fma_f16 v41, v44, v41, v47
	v_pk_fma_f16 v44, v44, v51, v48
	v_lshrrev_b32_e32 v47, 16, v42
	v_lshrrev_b32_e32 v48, 16, v43
	v_and_b32_e32 v42, 0xffff, v42
	v_and_b32_e32 v43, 0xffff, v43
	s_delay_alu instid0(VALU_DEP_4) | instskip(NEXT) | instid1(VALU_DEP_4)
	v_mul_u32_u24_e32 v47, 0x10001, v47
	v_mul_u32_u24_e32 v48, 0x10001, v48
	s_delay_alu instid0(VALU_DEP_4) | instskip(NEXT) | instid1(VALU_DEP_4)
	v_mul_u32_u24_e32 v42, 0x10001, v42
	v_mul_u32_u24_e32 v43, 0x10001, v43
	s_delay_alu instid0(VALU_DEP_4) | instskip(NEXT) | instid1(VALU_DEP_4)
	v_pk_fma_f16 v46, v45, v47, v46
	v_pk_fma_f16 v48, v45, v48, v44
	s_delay_alu instid0(VALU_DEP_4) | instskip(NEXT) | instid1(VALU_DEP_4)
	v_pk_fma_f16 v49, v45, v42, v40
	v_pk_fma_f16 v47, v45, v43, v41
	ds_load_2addr_b32 v[44:45], v100 offset0:128 offset1:160
	;; [unrolled: 35-line block ×3, first 2 shown]
	ds_load_b128 v[45:48], v76 offset:1008
	s_wait_loadcnt_dscnt 0x0
	s_barrier_signal -1
	s_barrier_wait -1
	global_inv scope:SCOPE_SE
	s_load_b32 s3, s[24:25], 0x4
	v_lshrrev_b32_e32 v43, 16, v45
	v_lshrrev_b32_e32 v44, 16, v46
	v_and_b32_e32 v45, 0xffff, v45
	v_and_b32_e32 v46, 0xffff, v46
	s_delay_alu instid0(VALU_DEP_4) | instskip(NEXT) | instid1(VALU_DEP_4)
	v_mul_u32_u24_e32 v43, 0x10001, v43
	v_mul_u32_u24_e32 v52, 0x10001, v44
	s_delay_alu instid0(VALU_DEP_4) | instskip(NEXT) | instid1(VALU_DEP_4)
	v_mul_u32_u24_e32 v45, 0x10001, v45
	v_mul_u32_u24_e32 v46, 0x10001, v46
	s_wait_kmcnt 0x0
	s_lshl_b32 s3, s3, 7
	v_pk_fma_f16 v43, v40, v43, v49
	v_lshrrev_b32_e32 v49, 16, v47
	v_pk_fma_f16 v42, v40, v45, v42
	v_pk_fma_f16 v44, v40, v46, v50
	v_lshrrev_b32_e32 v45, 16, v48
	v_and_b32_e32 v46, 0xffff, v47
	v_and_b32_e32 v48, 0xffff, v48
	v_pk_fma_f16 v40, v40, v52, v51
	v_mul_u32_u24_e32 v47, 0x10001, v49
	v_mul_u32_u24_e32 v45, 0x10001, v45
	;; [unrolled: 1-line block ×4, first 2 shown]
	s_wait_alu 0xfffe
	s_add_co_i32 s10, s3, s10
	v_pk_fma_f16 v105, v41, v47, v43
	v_pk_fma_f16 v40, v41, v45, v40
	;; [unrolled: 1-line block ×4, first 2 shown]
	s_wait_alu 0xfffe
	s_cmp_ge_i32 s10, s28
	s_cbranch_scc0 .LBB9_9
; %bb.10:
	v_mov_b32_e32 v5, v11
	v_lshlrev_b32_e32 v15, 1, v12
.LBB9_11:
	v_cmp_lt_i32_e32 vcc_lo, v65, v57
	s_cmp_lg_u64 s[12:13], 0
	s_cselect_b32 s3, -1, 0
	s_cmp_eq_u32 s4, 0
	s_wait_alu 0xfffd
	v_cndmask_b32_e32 v4, v5, v65, vcc_lo
	v_cmp_lt_i32_e32 vcc_lo, v62, v57
	s_cselect_b32 s5, -1, 0
	s_wait_alu 0xfffe
	s_and_b32 s3, s5, s3
	s_wait_alu 0xfffd
	v_dual_cndmask_b32 v9, v5, v62 :: v_dual_lshlrev_b32 v4, 2, v4
	v_cmp_lt_i32_e32 vcc_lo, v61, v57
	ds_bpermute_b32 v7, v4, v102
	ds_bpermute_b32 v6, v4, v101
	;; [unrolled: 1-line block ×4, first 2 shown]
	v_lshlrev_b32_e32 v9, 2, v9
	s_wait_dscnt 0x2
	v_dual_add_f32 v7, v102, v7 :: v_dual_add_f32 v6, v101, v6
	s_wait_dscnt 0x1
	v_add_f32_e32 v8, v103, v8
	ds_bpermute_b32 v11, v9, v7
	s_wait_dscnt 0x1
	v_add_f32_e32 v4, v68, v4
	ds_bpermute_b32 v10, v9, v6
	ds_bpermute_b32 v14, v9, v8
	s_wait_dscnt 0x2
	v_add_f32_e32 v7, v7, v11
	ds_bpermute_b32 v9, v9, v4
	s_wait_alu 0xfffd
	v_cndmask_b32_e32 v16, v5, v61, vcc_lo
	s_wait_dscnt 0x1
	v_add_f32_e32 v8, v8, v14
	v_add_f32_e32 v6, v6, v10
	v_cmp_lt_i32_e32 vcc_lo, v60, v57
	v_lshlrev_b32_e32 v16, 2, v16
	ds_bpermute_b32 v10, v16, v7
	ds_bpermute_b32 v11, v16, v8
	s_wait_dscnt 0x2
	v_add_f32_e32 v4, v4, v9
	ds_bpermute_b32 v9, v16, v6
	ds_bpermute_b32 v14, v16, v4
	s_wait_dscnt 0x2
	v_dual_add_f32 v7, v7, v10 :: v_dual_add_f32 v8, v8, v11
	s_wait_dscnt 0x0
	v_add_f32_e32 v4, v4, v14
	s_wait_alu 0xfffd
	v_cndmask_b32_e32 v16, v5, v60, vcc_lo
	v_cmp_lt_i32_e32 vcc_lo, v58, v57
	s_wait_alu 0xfffd
	s_delay_alu instid0(VALU_DEP_2)
	v_dual_cndmask_b32 v5, v5, v58 :: v_dual_lshlrev_b32 v16, 2, v16
	s_wait_alu 0xfffe
	s_and_b32 vcc_lo, exec_lo, s3
	ds_bpermute_b32 v10, v16, v7
	v_lshlrev_b32_e32 v5, 2, v5
	v_add_f32_e32 v6, v6, v9
	ds_bpermute_b32 v11, v16, v8
	ds_bpermute_b32 v14, v16, v4
	;; [unrolled: 1-line block ×3, first 2 shown]
	s_wait_dscnt 0x2
	v_dual_add_f32 v7, v7, v10 :: v_dual_add_f32 v8, v8, v11
	ds_bpermute_b32 v10, v5, v7
	s_wait_dscnt 0x1
	v_dual_add_f32 v6, v6, v9 :: v_dual_add_f32 v9, v4, v14
	ds_bpermute_b32 v11, v5, v8
	ds_bpermute_b32 v4, v5, v6
	;; [unrolled: 1-line block ×3, first 2 shown]
	s_wait_dscnt 0x1
	v_dual_add_f32 v5, v7, v10 :: v_dual_add_f32 v4, v6, v4
	s_wait_dscnt 0x0
	v_dual_add_f32 v6, v8, v11 :: v_dual_add_f32 v7, v9, v14
	s_wait_alu 0xfffe
	s_cbranch_vccz .LBB9_14
; %bb.12:
	v_dual_max_num_f32 v17, v1, v1 :: v_dual_add_nc_u32 v8, s33, v56
	v_dual_max_num_f32 v14, v0, v0 :: v_dual_max_num_f32 v19, v3, v3
	s_delay_alu instid0(VALU_DEP_2) | instskip(NEXT) | instid1(VALU_DEP_1)
	v_ashrrev_i32_e32 v9, 31, v8
	v_lshlrev_b64_e32 v[8:9], 2, v[8:9]
	s_delay_alu instid0(VALU_DEP_1) | instskip(SKIP_1) | instid1(VALU_DEP_2)
	v_add_co_u32 v8, vcc_lo, s12, v8
	s_wait_alu 0xfffd
	v_add_co_ci_u32_e64 v9, null, s13, v9, vcc_lo
	global_load_b128 v[8:11], v[8:9], off
	s_wait_loadcnt 0x0
	v_dual_max_num_f32 v16, v8, v8 :: v_dual_max_num_f32 v21, v10, v10
	v_max_num_f32_e32 v22, v11, v11
	s_delay_alu instid0(VALU_DEP_1) | instskip(NEXT) | instid1(VALU_DEP_1)
	v_dual_max_num_f32 v20, v9, v9 :: v_dual_max_num_f32 v19, v19, v22
	v_dual_max_num_f32 v18, v2, v2 :: v_dual_max_num_f32 v17, v17, v20
	s_delay_alu instid0(VALU_DEP_2) | instskip(NEXT) | instid1(VALU_DEP_1)
	v_dual_max_num_f32 v16, v14, v16 :: v_dual_sub_f32 v11, v11, v19
	v_dual_sub_f32 v9, v9, v17 :: v_dual_sub_f32 v8, v8, v16
	s_delay_alu instid0(VALU_DEP_3) | instskip(SKIP_1) | instid1(VALU_DEP_2)
	v_max_num_f32_e32 v18, v18, v21
	v_sub_f32_e32 v14, v0, v16
	v_dual_sub_f32 v20, v1, v17 :: v_dual_sub_f32 v21, v2, v18
	v_sub_f32_e32 v22, v3, v19
	s_delay_alu instid0(VALU_DEP_3) | instskip(NEXT) | instid1(VALU_DEP_3)
	v_cmp_ngt_f32_e32 vcc_lo, 0xc2ce8ed0, v14
	v_dual_mul_f32 v23, 0x3fb8aa3b, v21 :: v_dual_mov_b32 v0, v16
	s_delay_alu instid0(VALU_DEP_3) | instskip(SKIP_2) | instid1(VALU_DEP_4)
	v_mul_f32_e32 v25, 0x3fb8aa3b, v22
	v_dual_mov_b32 v1, v17 :: v_dual_mov_b32 v2, v18
	v_mov_b32_e32 v3, v19
	v_rndne_f32_e32 v36, v23
	v_dual_mul_f32 v16, 0x3fb8aa3b, v14 :: v_dual_mul_f32 v17, 0x3fb8aa3b, v8
	v_dual_sub_f32 v10, v10, v18 :: v_dual_mul_f32 v19, 0x3fb8aa3b, v9
	v_fma_f32 v35, 0x3fb8aa3b, v21, -v23
	s_delay_alu instid0(VALU_DEP_4) | instskip(NEXT) | instid1(VALU_DEP_4)
	v_sub_f32_e32 v23, v23, v36
	v_fma_f32 v27, 0x3fb8aa3b, v14, -v16
	v_rndne_f32_e32 v28, v16
	v_fma_f32 v29, 0x3fb8aa3b, v8, -v17
	v_rndne_f32_e32 v30, v17
	v_mul_f32_e32 v18, 0x3fb8aa3b, v20
	v_fma_f32 v33, 0x3fb8aa3b, v9, -v19
	v_rndne_f32_e32 v34, v19
	v_mul_f32_e32 v26, 0x3fb8aa3b, v11
	;; [unrolled: 3-line block ×3, first 2 shown]
	v_dual_fmac_f32 v27, 0x32a5705f, v14 :: v_dual_sub_f32 v16, v16, v28
	v_fmac_f32_e32 v33, 0x32a5705f, v9
	v_sub_f32_e32 v17, v17, v30
	v_fma_f32 v31, 0x3fb8aa3b, v20, -v18
	v_rndne_f32_e32 v32, v18
	v_sub_f32_e32 v19, v19, v34
	v_fma_f32 v42, 0x3fb8aa3b, v11, -v26
	v_dual_fmac_f32 v39, 0x32a5705f, v22 :: v_dual_add_f32 v16, v16, v27
	v_sub_f32_e32 v25, v25, v41
	v_rndne_f32_e32 v38, v24
	v_fmac_f32_e32 v29, 0x32a5705f, v8
	v_fma_f32 v37, 0x3fb8aa3b, v10, -v24
	v_dual_fmac_f32 v31, 0x32a5705f, v20 :: v_dual_fmac_f32 v42, 0x32a5705f, v11
	v_dual_sub_f32 v18, v18, v32 :: v_dual_fmac_f32 v35, 0x32a5705f, v21
	s_delay_alu instid0(VALU_DEP_4)
	v_dual_sub_f32 v24, v24, v38 :: v_dual_add_f32 v17, v17, v29
	v_exp_f32_e32 v16, v16
	v_rndne_f32_e32 v43, v26
	v_cvt_i32_f32_e32 v28, v28
	v_add_f32_e32 v18, v18, v31
	v_exp_f32_e32 v17, v17
	v_cvt_i32_f32_e32 v30, v30
	v_dual_fmac_f32 v37, 0x32a5705f, v10 :: v_dual_sub_f32 v26, v26, v43
	v_add_f32_e32 v19, v19, v33
	v_exp_f32_e32 v18, v18
	s_delay_alu instid0(TRANS32_DEP_3) | instskip(SKIP_3) | instid1(VALU_DEP_3)
	v_ldexp_f32 v16, v16, v28
	v_cvt_i32_f32_e32 v32, v32
	v_dual_add_f32 v23, v23, v35 :: v_dual_add_f32 v24, v24, v37
	s_wait_alu 0xfffd
	v_dual_add_f32 v25, v25, v39 :: v_dual_cndmask_b32 v16, 0, v16
	v_add_f32_e32 v26, v26, v42
	v_exp_f32_e32 v19, v19
	v_ldexp_f32 v17, v17, v30
	v_cmp_ngt_f32_e32 vcc_lo, 0xc2ce8ed0, v8
	v_cvt_i32_f32_e32 v34, v34
	v_exp_f32_e32 v23, v23
	v_exp_f32_e32 v24, v24
	v_ldexp_f32 v18, v18, v32
	s_wait_alu 0xfffd
	v_cndmask_b32_e32 v17, 0, v17, vcc_lo
	v_cmp_ngt_f32_e32 vcc_lo, 0xc2ce8ed0, v20
	v_cvt_i32_f32_e32 v36, v36
	v_cvt_i32_f32_e32 v38, v38
	v_exp_f32_e32 v26, v26
	v_ldexp_f32 v19, v19, v34
	s_wait_alu 0xfffd
	v_cndmask_b32_e32 v18, 0, v18, vcc_lo
	v_cmp_ngt_f32_e32 vcc_lo, 0xc2ce8ed0, v9
	v_exp_f32_e32 v25, v25
	v_cvt_i32_f32_e32 v29, v43
	v_ldexp_f32 v23, v23, v36
	v_ldexp_f32 v24, v24, v38
	s_wait_alu 0xfffd
	v_cndmask_b32_e32 v19, 0, v19, vcc_lo
	v_cmp_ngt_f32_e32 vcc_lo, 0xc2ce8ed0, v21
	v_cvt_i32_f32_e32 v27, v41
	v_ldexp_f32 v26, v26, v29
	s_wait_alu 0xfffd
	v_cndmask_b32_e32 v23, 0, v23, vcc_lo
	v_cmp_ngt_f32_e32 vcc_lo, 0xc2ce8ed0, v10
	v_ldexp_f32 v25, v25, v27
	s_wait_alu 0xfffd
	v_cndmask_b32_e32 v24, 0, v24, vcc_lo
	v_cmp_ngt_f32_e32 vcc_lo, 0xc2ce8ed0, v22
	s_wait_alu 0xfffd
	v_cndmask_b32_e32 v25, 0, v25, vcc_lo
	v_cmp_ngt_f32_e32 vcc_lo, 0xc2ce8ed0, v11
	s_wait_alu 0xfffd
	v_cndmask_b32_e32 v26, 0, v26, vcc_lo
	v_cmp_nlt_f32_e32 vcc_lo, 0x42b17218, v14
	s_wait_alu 0xfffd
	v_cndmask_b32_e32 v14, 0x7f800000, v16, vcc_lo
	v_cmp_nlt_f32_e32 vcc_lo, 0x42b17218, v8
	;; [unrolled: 3-line block ×7, first 2 shown]
	s_delay_alu instid0(VALU_DEP_2)
	v_dual_fmac_f32 v10, v6, v17 :: v_dual_fmac_f32 v9, v5, v16
	v_fmac_f32_e32 v8, v4, v14
	s_wait_alu 0xfffd
	v_cndmask_b32_e32 v18, 0x7f800000, v25, vcc_lo
	v_cmp_nlt_f32_e32 vcc_lo, 0x42b17218, v11
	v_cvt_f16_f32_e32 v5, v16
	s_wait_alu 0xfffd
	v_cndmask_b32_e32 v11, 0x7f800000, v26, vcc_lo
	s_delay_alu instid0(VALU_DEP_2) | instskip(NEXT) | instid1(VALU_DEP_2)
	v_dual_mov_b32 v5, v9 :: v_dual_and_b32 v16, 0xffff, v5
	v_fmac_f32_e32 v11, v7, v18
	v_cvt_f16_f32_e32 v4, v14
	v_cvt_f16_f32_e32 v14, v18
	s_delay_alu instid0(VALU_DEP_4) | instskip(NEXT) | instid1(VALU_DEP_3)
	v_mul_u32_u24_e32 v16, 0x10001, v16
	v_dual_mov_b32 v4, v8 :: v_dual_and_b32 v7, 0xffff, v4
	v_cvt_f16_f32_e32 v6, v17
	s_delay_alu instid0(VALU_DEP_4) | instskip(NEXT) | instid1(VALU_DEP_4)
	v_and_b32_e32 v14, 0xffff, v14
	v_pk_mul_f16 v105, v105, v16
	s_delay_alu instid0(VALU_DEP_4) | instskip(NEXT) | instid1(VALU_DEP_4)
	v_mul_u32_u24_e32 v7, 0x10001, v7
	v_and_b32_e32 v6, 0xffff, v6
	s_delay_alu instid0(VALU_DEP_4) | instskip(NEXT) | instid1(VALU_DEP_3)
	v_mul_u32_u24_e32 v14, 0x10001, v14
	v_pk_mul_f16 v106, v106, v7
	v_mov_b32_e32 v7, v11
	s_delay_alu instid0(VALU_DEP_4) | instskip(SKIP_2) | instid1(VALU_DEP_3)
	v_mul_u32_u24_e32 v17, 0x10001, v6
	v_mov_b32_e32 v6, v10
	v_pk_mul_f16 v40, v40, v14
	v_pk_mul_f16 v104, v104, v17
	s_mov_b32 s3, exec_lo
	v_cmpx_gt_i32_e64 s22, v13
	s_cbranch_execnz .LBB9_15
.LBB9_13:
	s_nop 0
	s_sendmsg sendmsg(MSG_DEALLOC_VGPRS)
	s_endpgm
.LBB9_14:
	s_delay_alu instid0(VALU_DEP_1)
	v_dual_mov_b32 v11, v7 :: v_dual_mov_b32 v10, v6
	v_dual_mov_b32 v9, v5 :: v_dual_mov_b32 v8, v4
	s_mov_b32 s3, exec_lo
	v_cmpx_gt_i32_e64 s22, v13
	s_cbranch_execz .LBB9_13
.LBB9_15:
	s_load_b32 s1, s[0:1], 0xd4
	v_mov_b32_e32 v16, 1.0
	s_wait_kmcnt 0x0
	s_cmp_lg_u32 s1, 1
	s_cselect_b32 s5, -1, 0
	s_cmp_eq_u32 s1, 1
	s_cselect_b32 s3, -1, 0
	s_wait_alu 0xfffe
	s_and_b32 vcc_lo, exec_lo, s5
	s_wait_alu 0xfffe
	s_cbranch_vccnz .LBB9_17
; %bb.16:
	v_div_scale_f32 v14, null, v4, v4, 1.0
	s_delay_alu instid0(VALU_DEP_1) | instskip(NEXT) | instid1(TRANS32_DEP_1)
	v_rcp_f32_e32 v16, v14
	v_fma_f32 v17, -v14, v16, 1.0
	s_delay_alu instid0(VALU_DEP_1) | instskip(SKIP_1) | instid1(VALU_DEP_1)
	v_fmac_f32_e32 v16, v17, v16
	v_div_scale_f32 v17, vcc_lo, 1.0, v4, 1.0
	v_mul_f32_e32 v18, v17, v16
	s_delay_alu instid0(VALU_DEP_1) | instskip(NEXT) | instid1(VALU_DEP_1)
	v_fma_f32 v19, -v14, v18, v17
	v_fmac_f32_e32 v18, v19, v16
	s_delay_alu instid0(VALU_DEP_1) | instskip(SKIP_1) | instid1(VALU_DEP_1)
	v_fma_f32 v14, -v14, v18, v17
	s_wait_alu 0xfffd
	v_div_fmas_f32 v14, v14, v16, v18
	s_delay_alu instid0(VALU_DEP_1)
	v_div_fixup_f32 v16, v14, v4, 1.0
.LBB9_17:
	v_mad_co_u64_u32 v[13:14], null, s2, s22, v[13:14]
	v_cmp_eq_u32_e32 vcc_lo, 0, v12
	s_delay_alu instid0(VALU_DEP_2) | instskip(NEXT) | instid1(VALU_DEP_1)
	v_mul_lo_u32 v4, v13, s23
	v_add3_u32 v4, s33, v56, v4
	s_delay_alu instid0(VALU_DEP_1) | instskip(SKIP_3) | instid1(VALU_DEP_3)
	v_mad_co_u64_u32 v[13:14], null, s1, v4, s[4:5]
	v_cvt_f32_f16_e32 v14, v106
	v_mov_b32_e32 v18, 0
	v_lshrrev_b32_e32 v4, 16, v106
	v_mul_f32_e32 v19, v16, v14
	v_lshl_add_u32 v17, v13, 6, v15
	s_delay_alu instid0(VALU_DEP_3) | instskip(NEXT) | instid1(VALU_DEP_2)
	v_cvt_f32_f16_e32 v4, v4
	v_lshlrev_b64_e32 v[17:18], 2, v[17:18]
	s_delay_alu instid0(VALU_DEP_2) | instskip(NEXT) | instid1(VALU_DEP_2)
	v_mul_f32_e32 v20, v16, v4
	v_add_co_u32 v16, s0, s16, v17
	s_wait_alu 0xf1ff
	s_delay_alu instid0(VALU_DEP_3)
	v_add_co_ci_u32_e64 v17, null, s17, v18, s0
	s_and_b32 s0, vcc_lo, s5
	global_store_b64 v[16:17], v[19:20], off
	s_wait_alu 0xfffe
	s_and_saveexec_b32 s2, s0
	s_cbranch_execz .LBB9_19
; %bb.18:
	v_ashrrev_i32_e32 v14, 31, v13
	v_dual_mov_b32 v18, v0 :: v_dual_mov_b32 v19, v8
	s_delay_alu instid0(VALU_DEP_2) | instskip(NEXT) | instid1(VALU_DEP_1)
	v_lshlrev_b64_e32 v[16:17], 3, v[13:14]
	v_add_co_u32 v16, vcc_lo, s18, v16
	s_wait_alu 0xfffd
	s_delay_alu instid0(VALU_DEP_2)
	v_add_co_ci_u32_e64 v17, null, s19, v17, vcc_lo
	global_store_b64 v[16:17], v[18:19], off
.LBB9_19:
	s_wait_alu 0xfffe
	s_or_b32 exec_lo, exec_lo, s2
	v_cndmask_b32_e64 v12, 0, 1, s3
	v_mov_b32_e32 v0, 1.0
	s_and_not1_b32 vcc_lo, exec_lo, s3
	s_wait_alu 0xfffe
	s_cbranch_vccnz .LBB9_21
; %bb.20:
	v_div_scale_f32 v0, null, v5, v5, 1.0
	s_delay_alu instid0(VALU_DEP_1) | instskip(NEXT) | instid1(TRANS32_DEP_1)
	v_rcp_f32_e32 v4, v0
	v_fma_f32 v8, -v0, v4, 1.0
	s_delay_alu instid0(VALU_DEP_1) | instskip(SKIP_1) | instid1(VALU_DEP_1)
	v_fmac_f32_e32 v4, v8, v4
	v_div_scale_f32 v8, vcc_lo, 1.0, v5, 1.0
	v_mul_f32_e32 v14, v8, v4
	s_delay_alu instid0(VALU_DEP_1) | instskip(NEXT) | instid1(VALU_DEP_1)
	v_fma_f32 v16, -v0, v14, v8
	v_fmac_f32_e32 v14, v16, v4
	s_delay_alu instid0(VALU_DEP_1) | instskip(SKIP_1) | instid1(VALU_DEP_1)
	v_fma_f32 v0, -v0, v14, v8
	s_wait_alu 0xfffd
	v_div_fmas_f32 v0, v0, v4, v14
	s_delay_alu instid0(VALU_DEP_1)
	v_div_fixup_f32 v0, v0, v5, 1.0
.LBB9_21:
	v_add_nc_u32_e32 v4, s1, v13
	v_lshrrev_b32_e32 v5, 16, v105
	v_cvt_f32_f16_e32 v8, v105
	s_delay_alu instid0(VALU_DEP_3) | instskip(NEXT) | instid1(VALU_DEP_3)
	v_lshl_add_u32 v13, v4, 6, v15
	v_cvt_f32_f16_e32 v5, v5
	v_mov_b32_e32 v14, 0
	s_delay_alu instid0(VALU_DEP_4) | instskip(NEXT) | instid1(VALU_DEP_3)
	v_mul_f32_e32 v16, v0, v8
	v_mul_f32_e32 v17, v0, v5
	s_delay_alu instid0(VALU_DEP_3) | instskip(NEXT) | instid1(VALU_DEP_1)
	v_lshlrev_b64_e32 v[13:14], 2, v[13:14]
	v_add_co_u32 v13, vcc_lo, s16, v13
	s_wait_alu 0xfffd
	s_delay_alu instid0(VALU_DEP_2)
	v_add_co_ci_u32_e64 v14, null, s17, v14, vcc_lo
	global_store_b64 v[13:14], v[16:17], off
	s_and_saveexec_b32 s2, s0
	s_cbranch_execz .LBB9_23
; %bb.22:
	v_ashrrev_i32_e32 v5, 31, v4
	v_mov_b32_e32 v8, v1
	s_delay_alu instid0(VALU_DEP_2) | instskip(NEXT) | instid1(VALU_DEP_1)
	v_lshlrev_b64_e32 v[13:14], 3, v[4:5]
	v_add_co_u32 v13, vcc_lo, s18, v13
	s_wait_alu 0xfffd
	s_delay_alu instid0(VALU_DEP_2)
	v_add_co_ci_u32_e64 v14, null, s19, v14, vcc_lo
	global_store_b64 v[13:14], v[8:9], off
.LBB9_23:
	s_wait_alu 0xfffe
	s_or_b32 exec_lo, exec_lo, s2
	v_cmp_ne_u32_e32 vcc_lo, 1, v12
	v_mov_b32_e32 v1, 1.0
	s_cbranch_vccnz .LBB9_25
; %bb.24:
	v_div_scale_f32 v0, null, v6, v6, 1.0
	s_delay_alu instid0(VALU_DEP_1) | instskip(NEXT) | instid1(TRANS32_DEP_1)
	v_rcp_f32_e32 v1, v0
	v_fma_f32 v5, -v0, v1, 1.0
	s_delay_alu instid0(VALU_DEP_1) | instskip(SKIP_1) | instid1(VALU_DEP_1)
	v_fmac_f32_e32 v1, v5, v1
	v_div_scale_f32 v5, vcc_lo, 1.0, v6, 1.0
	v_mul_f32_e32 v8, v5, v1
	s_delay_alu instid0(VALU_DEP_1) | instskip(NEXT) | instid1(VALU_DEP_1)
	v_fma_f32 v9, -v0, v8, v5
	v_fmac_f32_e32 v8, v9, v1
	s_delay_alu instid0(VALU_DEP_1) | instskip(SKIP_1) | instid1(VALU_DEP_1)
	v_fma_f32 v0, -v0, v8, v5
	s_wait_alu 0xfffd
	v_div_fmas_f32 v0, v0, v1, v8
	s_delay_alu instid0(VALU_DEP_1)
	v_div_fixup_f32 v1, v0, v6, 1.0
.LBB9_25:
	v_dual_mov_b32 v5, 0 :: v_dual_add_nc_u32 v0, s1, v4
	v_lshrrev_b32_e32 v6, 16, v104
	v_cvt_f32_f16_e32 v8, v104
	s_delay_alu instid0(VALU_DEP_3) | instskip(NEXT) | instid1(VALU_DEP_3)
	v_lshl_add_u32 v4, v0, 6, v15
	v_cvt_f32_f16_e32 v6, v6
	s_delay_alu instid0(VALU_DEP_3) | instskip(NEXT) | instid1(VALU_DEP_3)
	v_mul_f32_e32 v8, v1, v8
	v_lshlrev_b64_e32 v[4:5], 2, v[4:5]
	s_delay_alu instid0(VALU_DEP_3) | instskip(NEXT) | instid1(VALU_DEP_2)
	v_mul_f32_e32 v9, v1, v6
	v_add_co_u32 v4, vcc_lo, s16, v4
	s_wait_alu 0xfffd
	s_delay_alu instid0(VALU_DEP_3)
	v_add_co_ci_u32_e64 v5, null, s17, v5, vcc_lo
	global_store_b64 v[4:5], v[8:9], off
	s_and_saveexec_b32 s2, s0
	s_cbranch_execz .LBB9_27
; %bb.26:
	v_ashrrev_i32_e32 v1, 31, v0
	v_mov_b32_e32 v9, v2
	s_delay_alu instid0(VALU_DEP_2) | instskip(NEXT) | instid1(VALU_DEP_1)
	v_lshlrev_b64_e32 v[4:5], 3, v[0:1]
	v_add_co_u32 v4, vcc_lo, s18, v4
	s_wait_alu 0xfffd
	s_delay_alu instid0(VALU_DEP_2)
	v_add_co_ci_u32_e64 v5, null, s19, v5, vcc_lo
	global_store_b64 v[4:5], v[9:10], off
.LBB9_27:
	s_wait_alu 0xfffe
	s_or_b32 exec_lo, exec_lo, s2
	v_cmp_ne_u32_e32 vcc_lo, 1, v12
	v_mov_b32_e32 v1, 1.0
	s_cbranch_vccnz .LBB9_29
; %bb.28:
	v_div_scale_f32 v1, null, v7, v7, 1.0
	s_delay_alu instid0(VALU_DEP_1) | instskip(NEXT) | instid1(TRANS32_DEP_1)
	v_rcp_f32_e32 v2, v1
	v_fma_f32 v4, -v1, v2, 1.0
	s_delay_alu instid0(VALU_DEP_1) | instskip(SKIP_1) | instid1(VALU_DEP_1)
	v_fmac_f32_e32 v2, v4, v2
	v_div_scale_f32 v4, vcc_lo, 1.0, v7, 1.0
	v_mul_f32_e32 v5, v4, v2
	s_delay_alu instid0(VALU_DEP_1) | instskip(NEXT) | instid1(VALU_DEP_1)
	v_fma_f32 v6, -v1, v5, v4
	v_fmac_f32_e32 v5, v6, v2
	s_delay_alu instid0(VALU_DEP_1) | instskip(SKIP_1) | instid1(VALU_DEP_1)
	v_fma_f32 v1, -v1, v5, v4
	s_wait_alu 0xfffd
	v_div_fmas_f32 v1, v1, v2, v5
	s_delay_alu instid0(VALU_DEP_1)
	v_div_fixup_f32 v1, v1, v7, 1.0
.LBB9_29:
	v_dual_mov_b32 v5, 0 :: v_dual_add_nc_u32 v0, s1, v0
	v_lshrrev_b32_e32 v2, 16, v40
	v_cvt_f32_f16_e32 v6, v40
	s_delay_alu instid0(VALU_DEP_3) | instskip(NEXT) | instid1(VALU_DEP_3)
	v_lshl_add_u32 v4, v0, 6, v15
	v_cvt_f32_f16_e32 v2, v2
	s_delay_alu instid0(VALU_DEP_3) | instskip(NEXT) | instid1(VALU_DEP_3)
	v_mul_f32_e32 v6, v1, v6
	v_lshlrev_b64_e32 v[4:5], 2, v[4:5]
	s_delay_alu instid0(VALU_DEP_3) | instskip(NEXT) | instid1(VALU_DEP_2)
	v_mul_f32_e32 v7, v1, v2
	v_add_co_u32 v1, vcc_lo, s16, v4
	s_wait_alu 0xfffd
	s_delay_alu instid0(VALU_DEP_3)
	v_add_co_ci_u32_e64 v2, null, s17, v5, vcc_lo
	global_store_b64 v[1:2], v[6:7], off
	s_and_b32 exec_lo, exec_lo, s0
	s_cbranch_execz .LBB9_13
; %bb.30:
	v_ashrrev_i32_e32 v1, 31, v0
	v_mov_b32_e32 v10, v3
	s_delay_alu instid0(VALU_DEP_2) | instskip(NEXT) | instid1(VALU_DEP_1)
	v_lshlrev_b64_e32 v[0:1], 3, v[0:1]
	v_add_co_u32 v0, vcc_lo, s18, v0
	s_wait_alu 0xfffd
	s_delay_alu instid0(VALU_DEP_2)
	v_add_co_ci_u32_e64 v1, null, s19, v1, vcc_lo
	global_store_b64 v[0:1], v[10:11], off
	s_nop 0
	s_sendmsg sendmsg(MSG_DEALLOC_VGPRS)
	s_endpgm
	.section	.rodata,"a",@progbits
	.p2align	6, 0x0
	.amdhsa_kernel _ZL15flash_attn_tileILi64ELi64ELi2ELi8ELb0EEvPKcS1_S1_S1_S1_PKiPfP15HIP_vector_typeIfLj2EEffffjfiS5_IjLj3EEiiiiiiiiiiiliiliiiiil
		.amdhsa_group_segment_fixed_size 24576
		.amdhsa_private_segment_fixed_size 0
		.amdhsa_kernarg_size 464
		.amdhsa_user_sgpr_count 2
		.amdhsa_user_sgpr_dispatch_ptr 0
		.amdhsa_user_sgpr_queue_ptr 0
		.amdhsa_user_sgpr_kernarg_segment_ptr 1
		.amdhsa_user_sgpr_dispatch_id 0
		.amdhsa_user_sgpr_private_segment_size 0
		.amdhsa_wavefront_size32 1
		.amdhsa_uses_dynamic_stack 0
		.amdhsa_enable_private_segment 0
		.amdhsa_system_sgpr_workgroup_id_x 1
		.amdhsa_system_sgpr_workgroup_id_y 1
		.amdhsa_system_sgpr_workgroup_id_z 1
		.amdhsa_system_sgpr_workgroup_info 0
		.amdhsa_system_vgpr_workitem_id 1
		.amdhsa_next_free_vgpr 241
		.amdhsa_next_free_sgpr 46
		.amdhsa_reserve_vcc 1
		.amdhsa_float_round_mode_32 0
		.amdhsa_float_round_mode_16_64 0
		.amdhsa_float_denorm_mode_32 3
		.amdhsa_float_denorm_mode_16_64 3
		.amdhsa_fp16_overflow 0
		.amdhsa_workgroup_processor_mode 1
		.amdhsa_memory_ordered 1
		.amdhsa_forward_progress 1
		.amdhsa_inst_pref_size 197
		.amdhsa_round_robin_scheduling 0
		.amdhsa_exception_fp_ieee_invalid_op 0
		.amdhsa_exception_fp_denorm_src 0
		.amdhsa_exception_fp_ieee_div_zero 0
		.amdhsa_exception_fp_ieee_overflow 0
		.amdhsa_exception_fp_ieee_underflow 0
		.amdhsa_exception_fp_ieee_inexact 0
		.amdhsa_exception_int_div_zero 0
	.end_amdhsa_kernel
	.section	.text._ZL15flash_attn_tileILi64ELi64ELi2ELi8ELb0EEvPKcS1_S1_S1_S1_PKiPfP15HIP_vector_typeIfLj2EEffffjfiS5_IjLj3EEiiiiiiiiiiiliiliiiiil,"axG",@progbits,_ZL15flash_attn_tileILi64ELi64ELi2ELi8ELb0EEvPKcS1_S1_S1_S1_PKiPfP15HIP_vector_typeIfLj2EEffffjfiS5_IjLj3EEiiiiiiiiiiiliiliiiiil,comdat
.Lfunc_end9:
	.size	_ZL15flash_attn_tileILi64ELi64ELi2ELi8ELb0EEvPKcS1_S1_S1_S1_PKiPfP15HIP_vector_typeIfLj2EEffffjfiS5_IjLj3EEiiiiiiiiiiiliiliiiiil, .Lfunc_end9-_ZL15flash_attn_tileILi64ELi64ELi2ELi8ELb0EEvPKcS1_S1_S1_S1_PKiPfP15HIP_vector_typeIfLj2EEffffjfiS5_IjLj3EEiiiiiiiiiiiliiliiiiil
                                        ; -- End function
	.set _ZL15flash_attn_tileILi64ELi64ELi2ELi8ELb0EEvPKcS1_S1_S1_S1_PKiPfP15HIP_vector_typeIfLj2EEffffjfiS5_IjLj3EEiiiiiiiiiiiliiliiiiil.num_vgpr, 140
	.set _ZL15flash_attn_tileILi64ELi64ELi2ELi8ELb0EEvPKcS1_S1_S1_S1_PKiPfP15HIP_vector_typeIfLj2EEffffjfiS5_IjLj3EEiiiiiiiiiiiliiliiiiil.num_agpr, 0
	.set _ZL15flash_attn_tileILi64ELi64ELi2ELi8ELb0EEvPKcS1_S1_S1_S1_PKiPfP15HIP_vector_typeIfLj2EEffffjfiS5_IjLj3EEiiiiiiiiiiiliiliiiiil.numbered_sgpr, 46
	.set _ZL15flash_attn_tileILi64ELi64ELi2ELi8ELb0EEvPKcS1_S1_S1_S1_PKiPfP15HIP_vector_typeIfLj2EEffffjfiS5_IjLj3EEiiiiiiiiiiiliiliiiiil.num_named_barrier, 0
	.set _ZL15flash_attn_tileILi64ELi64ELi2ELi8ELb0EEvPKcS1_S1_S1_S1_PKiPfP15HIP_vector_typeIfLj2EEffffjfiS5_IjLj3EEiiiiiiiiiiiliiliiiiil.private_seg_size, 0
	.set _ZL15flash_attn_tileILi64ELi64ELi2ELi8ELb0EEvPKcS1_S1_S1_S1_PKiPfP15HIP_vector_typeIfLj2EEffffjfiS5_IjLj3EEiiiiiiiiiiiliiliiiiil.uses_vcc, 1
	.set _ZL15flash_attn_tileILi64ELi64ELi2ELi8ELb0EEvPKcS1_S1_S1_S1_PKiPfP15HIP_vector_typeIfLj2EEffffjfiS5_IjLj3EEiiiiiiiiiiiliiliiiiil.uses_flat_scratch, 0
	.set _ZL15flash_attn_tileILi64ELi64ELi2ELi8ELb0EEvPKcS1_S1_S1_S1_PKiPfP15HIP_vector_typeIfLj2EEffffjfiS5_IjLj3EEiiiiiiiiiiiliiliiiiil.has_dyn_sized_stack, 0
	.set _ZL15flash_attn_tileILi64ELi64ELi2ELi8ELb0EEvPKcS1_S1_S1_S1_PKiPfP15HIP_vector_typeIfLj2EEffffjfiS5_IjLj3EEiiiiiiiiiiiliiliiiiil.has_recursion, 0
	.set _ZL15flash_attn_tileILi64ELi64ELi2ELi8ELb0EEvPKcS1_S1_S1_S1_PKiPfP15HIP_vector_typeIfLj2EEffffjfiS5_IjLj3EEiiiiiiiiiiiliiliiiiil.has_indirect_call, 0
	.section	.AMDGPU.csdata,"",@progbits
; Kernel info:
; codeLenInByte = 25196
; TotalNumSgprs: 48
; NumVgprs: 140
; ScratchSize: 0
; MemoryBound: 0
; FloatMode: 240
; IeeeMode: 1
; LDSByteSize: 24576 bytes/workgroup (compile time only)
; SGPRBlocks: 0
; VGPRBlocks: 30
; NumSGPRsForWavesPerEU: 48
; NumVGPRsForWavesPerEU: 241
; Occupancy: 5
; WaveLimiterHint : 1
; COMPUTE_PGM_RSRC2:SCRATCH_EN: 0
; COMPUTE_PGM_RSRC2:USER_SGPR: 2
; COMPUTE_PGM_RSRC2:TRAP_HANDLER: 0
; COMPUTE_PGM_RSRC2:TGID_X_EN: 1
; COMPUTE_PGM_RSRC2:TGID_Y_EN: 1
; COMPUTE_PGM_RSRC2:TGID_Z_EN: 1
; COMPUTE_PGM_RSRC2:TIDIG_COMP_CNT: 1
	.section	.text._ZL25flash_attn_mask_to_KV_maxILi2EEvPK7__half2Piiii,"axG",@progbits,_ZL25flash_attn_mask_to_KV_maxILi2EEvPK7__half2Piiii,comdat
	.globl	_ZL25flash_attn_mask_to_KV_maxILi2EEvPK7__half2Piiii ; -- Begin function _ZL25flash_attn_mask_to_KV_maxILi2EEvPK7__half2Piiii
	.p2align	8
	.type	_ZL25flash_attn_mask_to_KV_maxILi2EEvPK7__half2Piiii,@function
_ZL25flash_attn_mask_to_KV_maxILi2EEvPK7__half2Piiii: ; @_ZL25flash_attn_mask_to_KV_maxILi2EEvPK7__half2Piiii
; %bb.0:
	s_load_b64 s[8:9], s[0:1], 0x0
	s_mov_b32 s2, exec_lo
	v_cmpx_gt_u32_e32 32, v0
; %bb.1:
	v_dual_mov_b32 v2, 1 :: v_dual_lshlrev_b32 v1, 2, v0
	ds_store_b32 v1, v2
; %bb.2:
	s_or_b32 exec_lo, exec_lo, s2
	s_clause 0x2
	s_load_b96 s[4:6], s[0:1], 0x10
	s_load_b64 s[2:3], s[0:1], 0x8
	s_load_b32 s1, s[0:1], 0x20
	v_dual_mov_b32 v2, 0 :: v_dual_and_b32 v1, 31, v0
	v_lshrrev_b32_e32 v3, 3, v0
	s_wait_dscnt 0x0
	s_barrier_signal -1
	s_delay_alu instid0(VALU_DEP_2)
	v_lshlrev_b32_e32 v4, 2, v1
	s_barrier_wait -1
	global_inv scope:SCOPE_SE
	s_wait_kmcnt 0x0
	s_mul_i32 s0, ttmp9, s5
	s_mul_i32 s6, s6, ttmp7
	s_lshl_b32 s0, s0, 1
	s_delay_alu instid0(SALU_CYCLE_1) | instskip(SKIP_2) | instid1(SALU_CYCLE_1)
	s_add_co_i32 s6, s6, s0
	v_cmp_eq_u32_e64 s0, 0, v1
	s_ashr_i32 s7, s6, 31
	s_lshl_b64 s[6:7], s[6:7], 2
	s_delay_alu instid0(SALU_CYCLE_1)
	s_add_nc_u64 s[6:7], s[8:9], s[6:7]
	s_lshl_b32 s8, s4, 8
	s_branch .LBB10_4
.LBB10_3:                               ;   in Loop: Header=BB10_4 Depth=1
	s_wait_alu 0xfffe
	s_or_b32 exec_lo, exec_lo, s9
	s_wait_dscnt 0x0
	s_barrier_signal -1
	s_barrier_wait -1
	global_inv scope:SCOPE_SE
	ds_load_b32 v1, v4
	s_wait_loadcnt_dscnt 0x0
	s_barrier_signal -1
	s_barrier_wait -1
	global_inv scope:SCOPE_SE
	v_cmp_ne_u32_e32 vcc_lo, 0, v1
	s_cmp_lg_u32 vcc_lo, exec_lo
	s_cselect_b32 s9, -1, 0
	s_wait_alu 0xfffe
	s_and_b32 vcc_lo, exec_lo, s9
	s_wait_alu 0xfffe
	s_cbranch_vccnz .LBB10_12
.LBB10_4:                               ; =>This Inner Loop Header: Depth=1
	s_mov_b32 s4, s8
	s_addk_co_i32 s8, 0xff00
	s_wait_alu 0xfffe
	s_cmp_lt_i32 s8, 0
	s_cbranch_scc1 .LBB10_11
; %bb.5:                                ;   in Loop: Header=BB10_4 Depth=1
	s_lshr_b32 s9, s8, 1
	s_wait_alu 0xfffe
	v_add_nc_u32_e32 v1, s9, v0
	s_delay_alu instid0(VALU_DEP_1) | instskip(NEXT) | instid1(VALU_DEP_1)
	v_lshlrev_b64_e32 v[5:6], 2, v[1:2]
	v_add_co_u32 v5, vcc_lo, s6, v5
	s_wait_alu 0xfffd
	s_delay_alu instid0(VALU_DEP_2) | instskip(SKIP_4) | instid1(VALU_DEP_2)
	v_add_co_ci_u32_e64 v6, null, s7, v6, vcc_lo
	global_load_b32 v5, v[5:6], off
	s_wait_loadcnt 0x0
	v_lshrrev_b32_e32 v6, 16, v5
	v_cmp_class_f16_e64 s9, v5, 0x204
	v_cmp_class_f16_e64 s10, v6, 0x204
	s_and_b32 s11, s9, s10
	s_mov_b32 s10, 0
	s_wait_alu 0xfffe
	s_and_saveexec_b32 s9, s11
	s_cbranch_execz .LBB10_9
; %bb.6:                                ;   in Loop: Header=BB10_4 Depth=1
	v_add_nc_u32_e32 v5, s5, v1
	s_delay_alu instid0(VALU_DEP_1) | instskip(NEXT) | instid1(VALU_DEP_1)
	v_ashrrev_i32_e32 v6, 31, v5
	v_lshlrev_b64_e32 v[5:6], 2, v[5:6]
	s_delay_alu instid0(VALU_DEP_1) | instskip(SKIP_1) | instid1(VALU_DEP_2)
	v_add_co_u32 v5, vcc_lo, s6, v5
	s_wait_alu 0xfffd
	v_add_co_ci_u32_e64 v6, null, s7, v6, vcc_lo
	global_load_b32 v1, v[5:6], off
	s_wait_loadcnt 0x0
	v_cmp_class_f16_e64 s12, v1, 0x204
	s_and_saveexec_b32 s11, s12
; %bb.7:                                ;   in Loop: Header=BB10_4 Depth=1
	v_lshrrev_b32_e32 v1, 16, v1
	s_delay_alu instid0(VALU_DEP_1)
	v_cmp_class_f16_e64 s10, v1, 0x204
	s_and_b32 s10, s10, exec_lo
; %bb.8:                                ;   in Loop: Header=BB10_4 Depth=1
	s_wait_alu 0xfffe
	s_or_b32 exec_lo, exec_lo, s11
	s_delay_alu instid0(SALU_CYCLE_1)
	s_and_b32 s10, s10, exec_lo
.LBB10_9:                               ;   in Loop: Header=BB10_4 Depth=1
	s_wait_alu 0xfffe
	s_or_b32 exec_lo, exec_lo, s9
	v_cndmask_b32_e64 v1, 0, 1, s10
	s_mov_b32 s11, exec_lo
	s_delay_alu instid0(VALU_DEP_1)
	v_cmp_ne_u32_e32 vcc_lo, 0, v1
	s_and_saveexec_b32 s9, s0
	s_cbranch_execz .LBB10_3
; %bb.10:                               ;   in Loop: Header=BB10_4 Depth=1
	s_wait_alu 0xfffe
	s_cmp_eq_u32 vcc_lo, s11
	s_cselect_b32 s10, -1, 0
	s_wait_alu 0xfffe
	v_cndmask_b32_e64 v1, 0, 1, s10
	ds_store_b32 v3, v1
	s_branch .LBB10_3
.LBB10_11:                              ;   in Loop: Header=BB10_4 Depth=1
	s_cbranch_execz .LBB10_4
.LBB10_12:
	s_mov_b32 s0, exec_lo
	v_cmpx_eq_u32_e32 0, v0
	s_cbranch_execz .LBB10_14
; %bb.13:
	s_mul_i32 s0, s1, ttmp7
	v_dual_mov_b32 v0, 0 :: v_dual_mov_b32 v1, s4
	s_add_co_i32 s0, s0, ttmp9
	s_delay_alu instid0(SALU_CYCLE_1) | instskip(NEXT) | instid1(SALU_CYCLE_1)
	s_ashr_i32 s1, s0, 31
	s_lshl_b64 s[0:1], s[0:1], 2
	s_delay_alu instid0(SALU_CYCLE_1)
	s_add_nc_u64 s[0:1], s[2:3], s[0:1]
	global_store_b32 v0, v1, s[0:1]
.LBB10_14:
	s_endpgm
	.section	.rodata,"a",@progbits
	.p2align	6, 0x0
	.amdhsa_kernel _ZL25flash_attn_mask_to_KV_maxILi2EEvPK7__half2Piiii
		.amdhsa_group_segment_fixed_size 128
		.amdhsa_private_segment_fixed_size 0
		.amdhsa_kernarg_size 288
		.amdhsa_user_sgpr_count 2
		.amdhsa_user_sgpr_dispatch_ptr 0
		.amdhsa_user_sgpr_queue_ptr 0
		.amdhsa_user_sgpr_kernarg_segment_ptr 1
		.amdhsa_user_sgpr_dispatch_id 0
		.amdhsa_user_sgpr_private_segment_size 0
		.amdhsa_wavefront_size32 1
		.amdhsa_uses_dynamic_stack 0
		.amdhsa_enable_private_segment 0
		.amdhsa_system_sgpr_workgroup_id_x 1
		.amdhsa_system_sgpr_workgroup_id_y 1
		.amdhsa_system_sgpr_workgroup_id_z 0
		.amdhsa_system_sgpr_workgroup_info 0
		.amdhsa_system_vgpr_workitem_id 0
		.amdhsa_next_free_vgpr 7
		.amdhsa_next_free_sgpr 13
		.amdhsa_reserve_vcc 1
		.amdhsa_float_round_mode_32 0
		.amdhsa_float_round_mode_16_64 0
		.amdhsa_float_denorm_mode_32 3
		.amdhsa_float_denorm_mode_16_64 3
		.amdhsa_fp16_overflow 0
		.amdhsa_workgroup_processor_mode 1
		.amdhsa_memory_ordered 1
		.amdhsa_forward_progress 1
		.amdhsa_inst_pref_size 5
		.amdhsa_round_robin_scheduling 0
		.amdhsa_exception_fp_ieee_invalid_op 0
		.amdhsa_exception_fp_denorm_src 0
		.amdhsa_exception_fp_ieee_div_zero 0
		.amdhsa_exception_fp_ieee_overflow 0
		.amdhsa_exception_fp_ieee_underflow 0
		.amdhsa_exception_fp_ieee_inexact 0
		.amdhsa_exception_int_div_zero 0
	.end_amdhsa_kernel
	.section	.text._ZL25flash_attn_mask_to_KV_maxILi2EEvPK7__half2Piiii,"axG",@progbits,_ZL25flash_attn_mask_to_KV_maxILi2EEvPK7__half2Piiii,comdat
.Lfunc_end10:
	.size	_ZL25flash_attn_mask_to_KV_maxILi2EEvPK7__half2Piiii, .Lfunc_end10-_ZL25flash_attn_mask_to_KV_maxILi2EEvPK7__half2Piiii
                                        ; -- End function
	.set _ZL25flash_attn_mask_to_KV_maxILi2EEvPK7__half2Piiii.num_vgpr, 7
	.set _ZL25flash_attn_mask_to_KV_maxILi2EEvPK7__half2Piiii.num_agpr, 0
	.set _ZL25flash_attn_mask_to_KV_maxILi2EEvPK7__half2Piiii.numbered_sgpr, 13
	.set _ZL25flash_attn_mask_to_KV_maxILi2EEvPK7__half2Piiii.num_named_barrier, 0
	.set _ZL25flash_attn_mask_to_KV_maxILi2EEvPK7__half2Piiii.private_seg_size, 0
	.set _ZL25flash_attn_mask_to_KV_maxILi2EEvPK7__half2Piiii.uses_vcc, 1
	.set _ZL25flash_attn_mask_to_KV_maxILi2EEvPK7__half2Piiii.uses_flat_scratch, 0
	.set _ZL25flash_attn_mask_to_KV_maxILi2EEvPK7__half2Piiii.has_dyn_sized_stack, 0
	.set _ZL25flash_attn_mask_to_KV_maxILi2EEvPK7__half2Piiii.has_recursion, 0
	.set _ZL25flash_attn_mask_to_KV_maxILi2EEvPK7__half2Piiii.has_indirect_call, 0
	.section	.AMDGPU.csdata,"",@progbits
; Kernel info:
; codeLenInByte = 636
; TotalNumSgprs: 15
; NumVgprs: 7
; ScratchSize: 0
; MemoryBound: 0
; FloatMode: 240
; IeeeMode: 1
; LDSByteSize: 128 bytes/workgroup (compile time only)
; SGPRBlocks: 0
; VGPRBlocks: 0
; NumSGPRsForWavesPerEU: 15
; NumVGPRsForWavesPerEU: 7
; Occupancy: 16
; WaveLimiterHint : 0
; COMPUTE_PGM_RSRC2:SCRATCH_EN: 0
; COMPUTE_PGM_RSRC2:USER_SGPR: 2
; COMPUTE_PGM_RSRC2:TRAP_HANDLER: 0
; COMPUTE_PGM_RSRC2:TGID_X_EN: 1
; COMPUTE_PGM_RSRC2:TGID_Y_EN: 1
; COMPUTE_PGM_RSRC2:TGID_Z_EN: 0
; COMPUTE_PGM_RSRC2:TIDIG_COMP_CNT: 0
	.section	.text._ZL33flash_attn_stream_k_fixup_uniformILi64ELi2ELi8EEvPfPK15HIP_vector_typeIfLj2EEiiiiiiS1_IjLj3EES5_S5_,"axG",@progbits,_ZL33flash_attn_stream_k_fixup_uniformILi64ELi2ELi8EEvPfPK15HIP_vector_typeIfLj2EEiiiiiiS1_IjLj3EES5_S5_,comdat
	.globl	_ZL33flash_attn_stream_k_fixup_uniformILi64ELi2ELi8EEvPfPK15HIP_vector_typeIfLj2EEiiiiiiS1_IjLj3EES5_S5_ ; -- Begin function _ZL33flash_attn_stream_k_fixup_uniformILi64ELi2ELi8EEvPfPK15HIP_vector_typeIfLj2EEiiiiiiS1_IjLj3EES5_S5_
	.p2align	8
	.type	_ZL33flash_attn_stream_k_fixup_uniformILi64ELi2ELi8EEvPfPK15HIP_vector_typeIfLj2EEiiiiiiS1_IjLj3EES5_S5_,@function
_ZL33flash_attn_stream_k_fixup_uniformILi64ELi2ELi8EEvPfPK15HIP_vector_typeIfLj2EEiiiiiiS1_IjLj3EES5_S5_: ; @_ZL33flash_attn_stream_k_fixup_uniformILi64ELi2ELi8EEvPfPK15HIP_vector_typeIfLj2EEiiiiiiS1_IjLj3EES5_S5_
; %bb.0:
	s_clause 0x1
	s_load_b256 s[4:11], s[0:1], 0x1c
	s_load_b128 s[12:15], s[0:1], 0x3c
	s_wait_kmcnt 0x0
	s_mul_hi_u32 s2, s7, ttmp9
	s_delay_alu instid0(SALU_CYCLE_1) | instskip(NEXT) | instid1(SALU_CYCLE_1)
	s_add_co_i32 s2, ttmp9, s2
	s_lshr_b32 s2, s2, s8
	s_delay_alu instid0(SALU_CYCLE_1) | instskip(SKIP_2) | instid1(SALU_CYCLE_1)
	s_mul_i32 s3, s2, s9
	s_load_b64 s[8:9], s[0:1], 0x10
	s_sub_co_i32 s7, ttmp9, s3
	s_mul_hi_u32 s3, s7, s10
	s_delay_alu instid0(SALU_CYCLE_1) | instskip(NEXT) | instid1(SALU_CYCLE_1)
	s_add_co_i32 s3, s7, s3
	s_lshr_b32 s3, s3, s11
	s_delay_alu instid0(SALU_CYCLE_1) | instskip(NEXT) | instid1(SALU_CYCLE_1)
	s_mul_i32 s10, s3, s12
	s_sub_co_i32 s7, s7, s10
	s_delay_alu instid0(SALU_CYCLE_1) | instskip(NEXT) | instid1(SALU_CYCLE_1)
	s_mul_hi_u32 s10, s7, s13
	s_add_co_i32 s10, s7, s10
	s_delay_alu instid0(SALU_CYCLE_1) | instskip(NEXT) | instid1(SALU_CYCLE_1)
	s_lshr_b32 s12, s10, s14
	s_mul_i32 s10, s12, s15
	s_lshl_b32 s12, s12, 3
	s_sub_co_i32 s11, s7, s10
	s_and_b32 s7, ttmp7, 0xffff
	s_lshl_b32 s13, s11, 1
	s_lshr_b32 s10, ttmp7, 16
	s_add_co_i32 s13, s13, s7
	s_wait_kmcnt 0x0
	s_cmp_lt_i32 s13, s8
	s_cselect_b32 s13, -1, 0
	s_add_co_i32 s14, s12, s10
	s_delay_alu instid0(SALU_CYCLE_1) | instskip(SKIP_1) | instid1(SALU_CYCLE_1)
	s_cmp_lt_i32 s14, s5
	s_cselect_b32 s14, -1, 0
	s_and_b32 s13, s13, s14
	s_delay_alu instid0(SALU_CYCLE_1)
	s_and_not1_b32 vcc_lo, exec_lo, s13
	s_cbranch_vccnz .LBB11_6
; %bb.1:
	s_mul_i32 s2, s2, s8
	s_mul_i32 s5, s3, s5
	s_add_co_i32 s2, s2, s7
	s_delay_alu instid0(SALU_CYCLE_1) | instskip(NEXT) | instid1(SALU_CYCLE_1)
	s_mul_i32 s2, s2, s9
	s_add_co_i32 s8, s2, s10
	s_load_b128 s[0:3], s[0:1], 0x0
	s_add_co_i32 s5, s8, s5
	s_mul_i32 s8, s9, s11
	s_add_co_i32 s5, s5, s12
	s_lshl_b32 s8, s8, 7
	s_lshl_b32 s5, s5, 6
	s_delay_alu instid0(SALU_CYCLE_1)
	s_add_co_i32 s8, s8, s5
	s_lshl_b32 s5, s7, 3
	v_or_b32_e32 v1, s8, v0
	s_mul_i32 s8, s6, ttmp9
	s_wait_alu 0xfffe
	s_add_co_i32 s9, s8, s6
	s_wait_alu 0xfffe
	s_add_co_i32 s12, s9, -2
	v_ashrrev_i32_e32 v2, 31, v1
	s_delay_alu instid0(VALU_DEP_1) | instskip(SKIP_1) | instid1(VALU_DEP_1)
	v_lshlrev_b64_e32 v[1:2], 2, v[1:2]
	s_wait_kmcnt 0x0
	v_add_co_u32 v1, vcc_lo, s0, v1
	s_delay_alu instid0(VALU_DEP_1)
	v_add_co_ci_u32_e64 v2, null, s1, v2, vcc_lo
	s_add_co_i32 s0, s5, s10
	s_lshl_b32 s1, s9, 4
	global_load_b32 v5, v[1:2], off
	s_wait_alu 0xfffe
	s_add_co_i32 s0, s0, s1
	s_wait_alu 0xfffe
	s_add_co_i32 s0, s0, -16
	s_wait_alu 0xfffe
	s_ashr_i32 s1, s0, 31
	s_wait_alu 0xfffe
	s_lshl_b64 s[0:1], s[0:1], 3
	s_cmp_lt_i32 s12, s8
	s_wait_alu 0xfffe
	s_add_nc_u64 s[0:1], s[2:3], s[0:1]
	s_load_b32 s11, s[0:1], 0x4
	s_cbranch_scc1 .LBB11_4
; %bb.2:
	s_load_b32 s0, s[0:1], 0x0
	s_add_co_i32 s13, ttmp9, 1
	s_lshl_b32 s12, s4, 6
	s_mul_i32 s1, s6, s13
	s_lshl_b32 s6, s7, 9
	s_lshl_b32 s7, s10, 6
	s_wait_alu 0xfffe
	s_lshl_b32 s14, s1, 10
	s_add_co_i32 s6, s7, s6
	s_lshl_b32 s1, s1, 4
	s_add_co_i32 s14, s6, s14
	s_wait_alu 0xfffe
	s_add_co_i32 s1, s10, s1
	v_or_b32_e32 v0, s14, v0
	s_lshl_b32 s4, s4, 4
	s_ashr_i32 s13, s12, 31
	s_wait_alu 0xfffe
	s_add_co_i32 s1, s1, s4
	s_wait_kmcnt 0x0
	v_dual_mov_b32 v6, s11 :: v_dual_add_nc_u32 v3, 0xfffff800, v0
	s_lshl_b64 s[6:7], s[12:13], 2
	s_wait_alu 0xfffe
	s_add_co_i32 s4, s1, s5
	s_add_nc_u64 s[6:7], s[2:3], s[6:7]
	s_add_co_i32 s1, s9, -1
	s_sub_co_i32 s4, s4, 32
.LBB11_3:                               ; =>This Inner Loop Header: Depth=1
	v_ashrrev_i32_e32 v4, 31, v3
	s_ashr_i32 s5, s4, 31
	v_mov_b32_e32 v10, v6
	s_lshl_b64 s[10:11], s[4:5], 3
	s_wait_loadcnt 0x0
	v_mov_b32_e32 v9, v5
	v_lshlrev_b64_e32 v[7:8], 2, v[3:4]
	s_wait_alu 0xfffe
	s_add_nc_u64 s[10:11], s[2:3], s[10:11]
	v_max_num_f32_e64 v4, s0, s0
	s_load_b64 s[10:11], s[10:11], 0x0
	v_add_nc_u32_e32 v3, 0xfffffc00, v3
	v_add_co_u32 v7, vcc_lo, s6, v7
	s_wait_alu 0xfffd
	v_add_co_ci_u32_e64 v8, null, s7, v8, vcc_lo
	v_readfirstlane_b32 s5, v4
	global_load_b32 v0, v[7:8], off
	s_wait_kmcnt 0x0
	v_max_num_f32_e64 v4, s10, s10
	s_delay_alu instid0(VALU_DEP_1) | instskip(SKIP_1) | instid1(SALU_CYCLE_3)
	v_readfirstlane_b32 s9, v4
	s_max_num_f32 s5, s5, s9
	s_sub_f32 s0, s0, s5
	s_sub_f32 s9, s10, s5
	s_wait_alu 0xfffe
	s_delay_alu instid0(SALU_CYCLE_1) | instskip(NEXT) | instid1(SALU_CYCLE_1)
	s_mul_f32 s10, s0, 0x3fb8aa3b
	s_mul_f32 s12, s9, 0x3fb8aa3b
	s_wait_alu 0xfffe
	s_delay_alu instid0(SALU_CYCLE_1)
	s_xor_b32 s13, s10, 0x80000000
	s_rndne_f32 s14, s10
	s_fmamk_f32 s13, s0, 0x3fb8aa3b, s13
	s_cmp_nlt_f32 s0, 0xc2ce8ed0
	s_rndne_f32 s15, s12
	s_wait_alu 0xfffe
	s_sub_f32 s10, s10, s14
	s_fmamk_f32 s13, s0, 0x32a5705f, s13
	s_cvt_i32_f32 s14, s14
	s_cselect_b32 vcc_lo, -1, 0
	s_cmp_ngt_f32 s0, 0x42b17218
	s_wait_alu 0xfffe
	s_add_f32 s10, s10, s13
	s_sub_f32 s13, s12, s15
	s_wait_alu 0xfffe
	s_delay_alu instid0(SALU_CYCLE_1) | instskip(SKIP_1) | instid1(TRANS32_DEP_1)
	v_s_exp_f32 s10, s10
	s_wait_alu 0xf1ff
	v_ldexp_f32 v4, s10, s14
	s_cvt_i32_f32 s10, s15
	s_delay_alu instid0(VALU_DEP_1) | instskip(SKIP_3) | instid1(VALU_DEP_1)
	v_cndmask_b32_e32 v4, 0, v4, vcc_lo
	s_cselect_b32 vcc_lo, -1, 0
	s_cmp_ge_f32 s0, 0xc1a00000
	s_wait_alu 0xfffe
	v_cndmask_b32_e32 v4, 0x7f800000, v4, vcc_lo
	s_cselect_b32 vcc_lo, -1, 0
	s_xor_b32 s0, s12, 0x80000000
	s_cmp_nlt_f32 s9, 0xc2ce8ed0
	s_wait_alu 0xfffe
	s_fmamk_f32 s0, s9, 0x3fb8aa3b, s0
	s_wait_alu 0xfffe
	s_delay_alu instid0(SALU_CYCLE_2) | instskip(SKIP_1) | instid1(SALU_CYCLE_2)
	s_fmamk_f32 s0, s9, 0x32a5705f, s0
	s_wait_alu 0xfffe
	s_add_f32 s0, s13, s0
	s_wait_alu 0xfffe
	s_delay_alu instid0(SALU_CYCLE_2) | instskip(SKIP_1) | instid1(TRANS32_DEP_1)
	v_s_exp_f32 s0, s0
	s_wait_alu 0xf1ff
	v_ldexp_f32 v7, s0, s10
	s_cselect_b32 s0, -1, 0
	s_cmp_ngt_f32 s9, 0x42b17218
	s_wait_alu 0xfffe
	s_delay_alu instid0(VALU_DEP_1) | instskip(SKIP_3) | instid1(VALU_DEP_1)
	v_cndmask_b32_e64 v7, 0, v7, s0
	s_cselect_b32 s0, -1, 0
	s_cmp_ge_f32 s9, 0xc1a00000
	s_wait_alu 0xfffe
	v_cndmask_b32_e64 v7, 0x7f800000, v7, s0
	s_cselect_b32 s0, -1, 0
	s_add_co_i32 s1, s1, -1
	s_add_co_i32 s4, s4, -16
	s_wait_alu 0xfffe
	s_cmp_le_i32 s1, s8
	v_cndmask_b32_e64 v7, 0, v7, s0
	s_mov_b32 s0, s5
	s_wait_loadcnt 0x0
	s_delay_alu instid0(VALU_DEP_1) | instskip(NEXT) | instid1(VALU_DEP_1)
	v_dual_mul_f32 v5, v0, v7 :: v_dual_cndmask_b32 v4, 0, v4
	v_dual_mul_f32 v8, s11, v7 :: v_dual_fmac_f32 v5, v9, v4
	s_delay_alu instid0(VALU_DEP_1) | instskip(NEXT) | instid1(VALU_DEP_1)
	v_mov_b32_e32 v6, v8
	v_fmac_f32_e32 v6, v10, v4
	s_cbranch_scc0 .LBB11_3
	s_branch .LBB11_5
.LBB11_4:
	s_wait_kmcnt 0x0
	v_mov_b32_e32 v6, s11
.LBB11_5:
	s_wait_loadcnt 0x0
	s_delay_alu instid0(VALU_DEP_1) | instskip(NEXT) | instid1(VALU_DEP_1)
	v_div_scale_f32 v0, null, v6, v6, v5
	v_rcp_f32_e32 v3, v0
	s_delay_alu instid0(TRANS32_DEP_1) | instskip(NEXT) | instid1(VALU_DEP_1)
	v_fma_f32 v4, -v0, v3, 1.0
	v_fmac_f32_e32 v3, v4, v3
	v_div_scale_f32 v4, vcc_lo, v5, v6, v5
	s_delay_alu instid0(VALU_DEP_1) | instskip(NEXT) | instid1(VALU_DEP_1)
	v_mul_f32_e32 v7, v4, v3
	v_fma_f32 v8, -v0, v7, v4
	s_delay_alu instid0(VALU_DEP_1) | instskip(NEXT) | instid1(VALU_DEP_1)
	v_fmac_f32_e32 v7, v8, v3
	v_fma_f32 v0, -v0, v7, v4
	s_wait_alu 0xfffd
	s_delay_alu instid0(VALU_DEP_1) | instskip(NEXT) | instid1(VALU_DEP_1)
	v_div_fmas_f32 v0, v0, v3, v7
	v_div_fixup_f32 v0, v0, v6, v5
	global_store_b32 v[1:2], v0, off
.LBB11_6:
	s_endpgm
	.section	.rodata,"a",@progbits
	.p2align	6, 0x0
	.amdhsa_kernel _ZL33flash_attn_stream_k_fixup_uniformILi64ELi2ELi8EEvPfPK15HIP_vector_typeIfLj2EEiiiiiiS1_IjLj3EES5_S5_
		.amdhsa_group_segment_fixed_size 0
		.amdhsa_private_segment_fixed_size 0
		.amdhsa_kernarg_size 76
		.amdhsa_user_sgpr_count 2
		.amdhsa_user_sgpr_dispatch_ptr 0
		.amdhsa_user_sgpr_queue_ptr 0
		.amdhsa_user_sgpr_kernarg_segment_ptr 1
		.amdhsa_user_sgpr_dispatch_id 0
		.amdhsa_user_sgpr_private_segment_size 0
		.amdhsa_wavefront_size32 1
		.amdhsa_uses_dynamic_stack 0
		.amdhsa_enable_private_segment 0
		.amdhsa_system_sgpr_workgroup_id_x 1
		.amdhsa_system_sgpr_workgroup_id_y 1
		.amdhsa_system_sgpr_workgroup_id_z 1
		.amdhsa_system_sgpr_workgroup_info 0
		.amdhsa_system_vgpr_workitem_id 0
		.amdhsa_next_free_vgpr 11
		.amdhsa_next_free_sgpr 16
		.amdhsa_reserve_vcc 1
		.amdhsa_float_round_mode_32 0
		.amdhsa_float_round_mode_16_64 0
		.amdhsa_float_denorm_mode_32 3
		.amdhsa_float_denorm_mode_16_64 3
		.amdhsa_fp16_overflow 0
		.amdhsa_workgroup_processor_mode 1
		.amdhsa_memory_ordered 1
		.amdhsa_forward_progress 1
		.amdhsa_inst_pref_size 9
		.amdhsa_round_robin_scheduling 0
		.amdhsa_exception_fp_ieee_invalid_op 0
		.amdhsa_exception_fp_denorm_src 0
		.amdhsa_exception_fp_ieee_div_zero 0
		.amdhsa_exception_fp_ieee_overflow 0
		.amdhsa_exception_fp_ieee_underflow 0
		.amdhsa_exception_fp_ieee_inexact 0
		.amdhsa_exception_int_div_zero 0
	.end_amdhsa_kernel
	.section	.text._ZL33flash_attn_stream_k_fixup_uniformILi64ELi2ELi8EEvPfPK15HIP_vector_typeIfLj2EEiiiiiiS1_IjLj3EES5_S5_,"axG",@progbits,_ZL33flash_attn_stream_k_fixup_uniformILi64ELi2ELi8EEvPfPK15HIP_vector_typeIfLj2EEiiiiiiS1_IjLj3EES5_S5_,comdat
.Lfunc_end11:
	.size	_ZL33flash_attn_stream_k_fixup_uniformILi64ELi2ELi8EEvPfPK15HIP_vector_typeIfLj2EEiiiiiiS1_IjLj3EES5_S5_, .Lfunc_end11-_ZL33flash_attn_stream_k_fixup_uniformILi64ELi2ELi8EEvPfPK15HIP_vector_typeIfLj2EEiiiiiiS1_IjLj3EES5_S5_
                                        ; -- End function
	.set _ZL33flash_attn_stream_k_fixup_uniformILi64ELi2ELi8EEvPfPK15HIP_vector_typeIfLj2EEiiiiiiS1_IjLj3EES5_S5_.num_vgpr, 11
	.set _ZL33flash_attn_stream_k_fixup_uniformILi64ELi2ELi8EEvPfPK15HIP_vector_typeIfLj2EEiiiiiiS1_IjLj3EES5_S5_.num_agpr, 0
	.set _ZL33flash_attn_stream_k_fixup_uniformILi64ELi2ELi8EEvPfPK15HIP_vector_typeIfLj2EEiiiiiiS1_IjLj3EES5_S5_.numbered_sgpr, 16
	.set _ZL33flash_attn_stream_k_fixup_uniformILi64ELi2ELi8EEvPfPK15HIP_vector_typeIfLj2EEiiiiiiS1_IjLj3EES5_S5_.num_named_barrier, 0
	.set _ZL33flash_attn_stream_k_fixup_uniformILi64ELi2ELi8EEvPfPK15HIP_vector_typeIfLj2EEiiiiiiS1_IjLj3EES5_S5_.private_seg_size, 0
	.set _ZL33flash_attn_stream_k_fixup_uniformILi64ELi2ELi8EEvPfPK15HIP_vector_typeIfLj2EEiiiiiiS1_IjLj3EES5_S5_.uses_vcc, 1
	.set _ZL33flash_attn_stream_k_fixup_uniformILi64ELi2ELi8EEvPfPK15HIP_vector_typeIfLj2EEiiiiiiS1_IjLj3EES5_S5_.uses_flat_scratch, 0
	.set _ZL33flash_attn_stream_k_fixup_uniformILi64ELi2ELi8EEvPfPK15HIP_vector_typeIfLj2EEiiiiiiS1_IjLj3EES5_S5_.has_dyn_sized_stack, 0
	.set _ZL33flash_attn_stream_k_fixup_uniformILi64ELi2ELi8EEvPfPK15HIP_vector_typeIfLj2EEiiiiiiS1_IjLj3EES5_S5_.has_recursion, 0
	.set _ZL33flash_attn_stream_k_fixup_uniformILi64ELi2ELi8EEvPfPK15HIP_vector_typeIfLj2EEiiiiiiS1_IjLj3EES5_S5_.has_indirect_call, 0
	.section	.AMDGPU.csdata,"",@progbits
; Kernel info:
; codeLenInByte = 1140
; TotalNumSgprs: 18
; NumVgprs: 11
; ScratchSize: 0
; MemoryBound: 0
; FloatMode: 240
; IeeeMode: 1
; LDSByteSize: 0 bytes/workgroup (compile time only)
; SGPRBlocks: 0
; VGPRBlocks: 1
; NumSGPRsForWavesPerEU: 18
; NumVGPRsForWavesPerEU: 11
; Occupancy: 16
; WaveLimiterHint : 0
; COMPUTE_PGM_RSRC2:SCRATCH_EN: 0
; COMPUTE_PGM_RSRC2:USER_SGPR: 2
; COMPUTE_PGM_RSRC2:TRAP_HANDLER: 0
; COMPUTE_PGM_RSRC2:TGID_X_EN: 1
; COMPUTE_PGM_RSRC2:TGID_Y_EN: 1
; COMPUTE_PGM_RSRC2:TGID_Z_EN: 1
; COMPUTE_PGM_RSRC2:TIDIG_COMP_CNT: 0
	.section	.text._ZL33flash_attn_stream_k_fixup_generalILi64ELi2ELi8EEvPfPK15HIP_vector_typeIfLj2EEiiiiS1_IjLj3EES5_S5_S5_,"axG",@progbits,_ZL33flash_attn_stream_k_fixup_generalILi64ELi2ELi8EEvPfPK15HIP_vector_typeIfLj2EEiiiiS1_IjLj3EES5_S5_S5_,comdat
	.globl	_ZL33flash_attn_stream_k_fixup_generalILi64ELi2ELi8EEvPfPK15HIP_vector_typeIfLj2EEiiiiS1_IjLj3EES5_S5_S5_ ; -- Begin function _ZL33flash_attn_stream_k_fixup_generalILi64ELi2ELi8EEvPfPK15HIP_vector_typeIfLj2EEiiiiS1_IjLj3EES5_S5_S5_
	.p2align	8
	.type	_ZL33flash_attn_stream_k_fixup_generalILi64ELi2ELi8EEvPfPK15HIP_vector_typeIfLj2EEiiiiS1_IjLj3EES5_S5_S5_,@function
_ZL33flash_attn_stream_k_fixup_generalILi64ELi2ELi8EEvPfPK15HIP_vector_typeIfLj2EEiiiiS1_IjLj3EES5_S5_S5_: ; @_ZL33flash_attn_stream_k_fixup_generalILi64ELi2ELi8EEvPfPK15HIP_vector_typeIfLj2EEiiiiS1_IjLj3EES5_S5_S5_
; %bb.0:
	s_clause 0x1
	s_load_b128 s[4:7], s[0:1], 0x10
	s_load_b32 s16, s[0:1], 0x50
	s_mov_b32 s2, ttmp9
	s_ashr_i32 s3, ttmp9, 31
	s_mov_b32 s17, 0
	s_delay_alu instid0(SALU_CYCLE_1) | instskip(SKIP_3) | instid1(SALU_CYCLE_1)
	s_mov_b32 s8, s17
	s_wait_kmcnt 0x0
	s_ashr_i32 s19, s7, 31
	s_mov_b32 s18, s7
	s_mul_u64 s[2:3], s[18:19], s[2:3]
	s_delay_alu instid0(SALU_CYCLE_1) | instskip(NEXT) | instid1(SALU_CYCLE_1)
	s_mov_b32 s9, s3
	s_cmp_lg_u64 s[8:9], 0
	s_cbranch_scc0 .LBB12_21
; %bb.1:
	s_add_nc_u64 s[8:9], s[16:17], 0
	s_mov_b32 s15, s17
	s_xor_b64 s[8:9], s[8:9], 0
	s_mov_b32 s23, s17
	s_cvt_f32_u32 s7, s8
	s_cvt_f32_u32 s10, s9
	s_sub_nc_u64 s[12:13], 0, s[8:9]
	s_delay_alu instid0(SALU_CYCLE_2) | instskip(NEXT) | instid1(SALU_CYCLE_3)
	s_fmamk_f32 s7, s10, 0x4f800000, s7
	v_s_rcp_f32 s7, s7
	s_delay_alu instid0(TRANS32_DEP_1) | instskip(SKIP_1) | instid1(SALU_CYCLE_2)
	s_mul_f32 s7, s7, 0x5f7ffffc
	s_wait_alu 0xfffe
	s_mul_f32 s10, s7, 0x2f800000
	s_delay_alu instid0(SALU_CYCLE_3) | instskip(NEXT) | instid1(SALU_CYCLE_3)
	s_trunc_f32 s10, s10
	s_fmamk_f32 s7, s10, 0xcf800000, s7
	s_cvt_u32_f32 s11, s10
	s_wait_alu 0xfffe
	s_delay_alu instid0(SALU_CYCLE_1) | instskip(NEXT) | instid1(SALU_CYCLE_3)
	s_cvt_u32_f32 s10, s7
	s_mul_u64 s[20:21], s[12:13], s[10:11]
	s_delay_alu instid0(SALU_CYCLE_1)
	s_mul_hi_u32 s25, s10, s21
	s_mul_i32 s24, s10, s21
	s_mul_hi_u32 s14, s10, s20
	s_mul_i32 s22, s11, s20
	s_add_nc_u64 s[14:15], s[14:15], s[24:25]
	s_mul_hi_u32 s7, s11, s20
	s_mul_hi_u32 s26, s11, s21
	s_add_co_u32 s14, s14, s22
	s_wait_alu 0xfffe
	s_add_co_ci_u32 s22, s15, s7
	s_mul_i32 s20, s11, s21
	s_add_co_ci_u32 s21, s26, 0
	s_delay_alu instid0(SALU_CYCLE_1)
	s_add_nc_u64 s[14:15], s[22:23], s[20:21]
	s_mov_b32 s21, s17
	s_add_co_u32 s10, s10, s14
	s_cselect_b32 s7, -1, 0
	s_wait_alu 0xfffe
	s_cmp_lg_u32 s7, 0
	s_add_co_ci_u32 s11, s11, s15
	s_mov_b32 s15, s17
	s_mul_u64 s[12:13], s[12:13], s[10:11]
	s_delay_alu instid0(SALU_CYCLE_1)
	s_mul_hi_u32 s23, s10, s13
	s_mul_i32 s22, s10, s13
	s_mul_hi_u32 s14, s10, s12
	s_mul_i32 s20, s11, s12
	s_add_nc_u64 s[14:15], s[14:15], s[22:23]
	s_mul_hi_u32 s7, s11, s12
	s_mul_hi_u32 s24, s11, s13
	s_mul_i32 s12, s11, s13
	s_add_co_u32 s13, s14, s20
	s_wait_alu 0xfffe
	s_add_co_ci_u32 s20, s15, s7
	s_add_co_ci_u32 s13, s24, 0
	s_mov_b32 s15, s17
	s_add_nc_u64 s[12:13], s[20:21], s[12:13]
	s_delay_alu instid0(SALU_CYCLE_1) | instskip(SKIP_1) | instid1(SALU_CYCLE_1)
	s_add_co_u32 s7, s10, s12
	s_cselect_b32 s10, -1, 0
	s_cmp_lg_u32 s10, 0
	s_add_co_ci_u32 s20, s11, s13
	s_ashr_i32 s10, s3, 31
	s_delay_alu instid0(SALU_CYCLE_1) | instskip(NEXT) | instid1(SALU_CYCLE_1)
	s_mov_b32 s11, s10
	s_add_nc_u64 s[12:13], s[2:3], s[10:11]
	s_delay_alu instid0(SALU_CYCLE_1) | instskip(NEXT) | instid1(SALU_CYCLE_1)
	s_xor_b64 s[12:13], s[12:13], s[10:11]
	s_mul_hi_u32 s23, s12, s20
	s_mul_i32 s22, s12, s20
	s_wait_alu 0xfffe
	s_mul_hi_u32 s14, s12, s7
	s_mul_hi_u32 s24, s13, s7
	s_mul_i32 s7, s13, s7
	s_add_nc_u64 s[14:15], s[14:15], s[22:23]
	s_mul_hi_u32 s3, s13, s20
	s_wait_alu 0xfffe
	s_add_co_u32 s7, s14, s7
	s_mul_i32 s22, s13, s20
	s_add_co_ci_u32 s20, s15, s24
	s_add_co_ci_u32 s23, s3, 0
	s_delay_alu instid0(SALU_CYCLE_1) | instskip(NEXT) | instid1(SALU_CYCLE_1)
	s_add_nc_u64 s[14:15], s[20:21], s[22:23]
	s_mul_u64 s[20:21], s[8:9], s[14:15]
	s_delay_alu instid0(SALU_CYCLE_1)
	s_sub_co_u32 s3, s12, s20
	s_cselect_b32 s7, -1, 0
	s_sub_co_i32 s12, s13, s21
	s_wait_alu 0xfffe
	s_cmp_lg_u32 s7, 0
	s_sub_co_ci_u32 s12, s12, s9
	s_sub_co_u32 s20, s3, s8
	s_cselect_b32 s22, -1, 0
	s_delay_alu instid0(SALU_CYCLE_1) | instskip(SKIP_2) | instid1(SALU_CYCLE_1)
	s_cmp_lg_u32 s22, 0
	s_add_nc_u64 s[22:23], s[14:15], 1
	s_sub_co_ci_u32 s12, s12, 0
	s_cmp_ge_u32 s12, s9
	s_cselect_b32 s24, -1, 0
	s_cmp_ge_u32 s20, s8
	s_cselect_b32 s20, -1, 0
	s_cmp_eq_u32 s12, s9
	s_cselect_b32 s12, s20, s24
	s_add_nc_u64 s[24:25], s[14:15], 2
	s_cmp_lg_u32 s12, 0
	s_cselect_b32 s12, s24, s22
	s_cselect_b32 s20, s25, s23
	s_cmp_lg_u32 s7, 0
	s_sub_co_ci_u32 s7, s13, s21
	s_wait_alu 0xfffe
	s_cmp_ge_u32 s7, s9
	s_cselect_b32 s13, -1, 0
	s_cmp_ge_u32 s3, s8
	s_cselect_b32 s3, -1, 0
	s_cmp_eq_u32 s7, s9
	s_cselect_b32 s3, s3, s13
	s_delay_alu instid0(SALU_CYCLE_1) | instskip(SKIP_4) | instid1(SALU_CYCLE_1)
	s_cmp_lg_u32 s3, 0
	s_mov_b32 s3, s17
	s_cselect_b32 s9, s20, s15
	s_cselect_b32 s8, s12, s14
	s_xor_b64 s[10:11], s[10:11], 0
	s_xor_b64 s[8:9], s[8:9], s[10:11]
	s_delay_alu instid0(SALU_CYCLE_1)
	s_sub_nc_u64 s[20:21], s[8:9], s[10:11]
	s_and_not1_b32 vcc_lo, exec_lo, s3
	s_cbranch_vccnz .LBB12_3
.LBB12_2:
	v_cvt_f32_u32_e32 v1, s16
	s_sub_co_i32 s7, 0, s16
	s_delay_alu instid0(VALU_DEP_1) | instskip(NEXT) | instid1(TRANS32_DEP_1)
	v_rcp_iflag_f32_e32 v1, v1
	v_mul_f32_e32 v1, 0x4f7ffffe, v1
	s_delay_alu instid0(VALU_DEP_1) | instskip(NEXT) | instid1(VALU_DEP_1)
	v_cvt_u32_f32_e32 v1, v1
	v_readfirstlane_b32 s3, v1
	s_wait_alu 0xfffe
	s_mul_i32 s7, s7, s3
	s_wait_alu 0xfffe
	s_mul_hi_u32 s7, s3, s7
	s_wait_alu 0xfffe
	s_add_co_i32 s3, s3, s7
	s_delay_alu instid0(SALU_CYCLE_1) | instskip(NEXT) | instid1(SALU_CYCLE_1)
	s_mul_hi_u32 s3, s2, s3
	s_mul_i32 s7, s3, s16
	s_wait_alu 0xfffe
	s_sub_co_i32 s2, s2, s7
	s_add_co_i32 s7, s3, 1
	s_sub_co_i32 s8, s2, s16
	s_cmp_ge_u32 s2, s16
	s_wait_alu 0xfffe
	s_cselect_b32 s3, s7, s3
	s_cselect_b32 s2, s8, s2
	s_add_co_i32 s7, s3, 1
	s_cmp_ge_u32 s2, s16
	s_wait_alu 0xfffe
	s_cselect_b32 s20, s7, s3
.LBB12_3:
	s_add_co_i32 s2, ttmp9, 1
	s_mov_b32 s8, 0
	s_ashr_i32 s3, s2, 31
	s_delay_alu instid0(SALU_CYCLE_1) | instskip(NEXT) | instid1(SALU_CYCLE_1)
	s_mul_u64 s[2:3], s[18:19], s[2:3]
	s_mov_b32 s9, s3
	s_delay_alu instid0(SALU_CYCLE_1)
	s_cmp_lg_u64 s[8:9], 0
	s_cbranch_scc0 .LBB12_22
; %bb.4:
	s_add_nc_u64 s[10:11], s[16:17], 0
	s_mov_b32 s23, s8
	s_xor_b64 s[10:11], s[10:11], 0
	s_mov_b32 s27, s8
	s_cvt_f32_u32 s7, s10
	s_cvt_f32_u32 s9, s11
	s_sub_nc_u64 s[14:15], 0, s[10:11]
	s_wait_alu 0xfffe
	s_delay_alu instid0(SALU_CYCLE_1) | instskip(SKIP_1) | instid1(SALU_CYCLE_2)
	s_fmamk_f32 s7, s9, 0x4f800000, s7
	s_wait_alu 0xfffe
	v_s_rcp_f32 s7, s7
	s_delay_alu instid0(TRANS32_DEP_1) | instskip(SKIP_1) | instid1(SALU_CYCLE_2)
	s_mul_f32 s7, s7, 0x5f7ffffc
	s_wait_alu 0xfffe
	s_mul_f32 s9, s7, 0x2f800000
	s_delay_alu instid0(SALU_CYCLE_3) | instskip(NEXT) | instid1(SALU_CYCLE_3)
	s_trunc_f32 s9, s9
	s_fmamk_f32 s7, s9, 0xcf800000, s7
	s_cvt_u32_f32 s13, s9
	s_wait_alu 0xfffe
	s_delay_alu instid0(SALU_CYCLE_1) | instskip(NEXT) | instid1(SALU_CYCLE_3)
	s_cvt_u32_f32 s12, s7
	s_mul_u64 s[24:25], s[14:15], s[12:13]
	s_delay_alu instid0(SALU_CYCLE_1)
	s_mul_hi_u32 s29, s12, s25
	s_mul_i32 s28, s12, s25
	s_mul_hi_u32 s22, s12, s24
	s_mul_i32 s9, s13, s24
	s_add_nc_u64 s[22:23], s[22:23], s[28:29]
	s_mul_hi_u32 s7, s13, s24
	s_mul_hi_u32 s21, s13, s25
	s_add_co_u32 s9, s22, s9
	s_wait_alu 0xfffe
	s_add_co_ci_u32 s26, s23, s7
	s_mul_i32 s24, s13, s25
	s_add_co_ci_u32 s25, s21, 0
	s_delay_alu instid0(SALU_CYCLE_1)
	s_add_nc_u64 s[22:23], s[26:27], s[24:25]
	s_mov_b32 s25, s8
	s_add_co_u32 s12, s12, s22
	s_cselect_b32 s7, -1, 0
	s_wait_alu 0xfffe
	s_cmp_lg_u32 s7, 0
	s_add_co_ci_u32 s13, s13, s23
	s_mov_b32 s23, s8
	s_mul_u64 s[14:15], s[14:15], s[12:13]
	s_delay_alu instid0(SALU_CYCLE_1)
	s_mul_hi_u32 s27, s12, s15
	s_mul_i32 s26, s12, s15
	s_mul_hi_u32 s22, s12, s14
	s_mul_i32 s9, s13, s14
	s_add_nc_u64 s[22:23], s[22:23], s[26:27]
	s_mul_hi_u32 s7, s13, s14
	s_mul_hi_u32 s21, s13, s15
	s_add_co_u32 s9, s22, s9
	s_wait_alu 0xfffe
	s_add_co_ci_u32 s24, s23, s7
	s_mul_i32 s14, s13, s15
	s_add_co_ci_u32 s15, s21, 0
	s_mov_b32 s23, s8
	s_add_nc_u64 s[14:15], s[24:25], s[14:15]
	s_delay_alu instid0(SALU_CYCLE_1) | instskip(SKIP_1) | instid1(SALU_CYCLE_1)
	s_add_co_u32 s7, s12, s14
	s_cselect_b32 s9, -1, 0
	s_cmp_lg_u32 s9, 0
	s_add_co_ci_u32 s9, s13, s15
	s_ashr_i32 s12, s3, 31
	s_delay_alu instid0(SALU_CYCLE_1) | instskip(NEXT) | instid1(SALU_CYCLE_1)
	s_mov_b32 s13, s12
	s_add_nc_u64 s[14:15], s[2:3], s[12:13]
	s_delay_alu instid0(SALU_CYCLE_1) | instskip(NEXT) | instid1(SALU_CYCLE_1)
	s_xor_b64 s[14:15], s[14:15], s[12:13]
	s_mul_hi_u32 s27, s14, s9
	s_mul_i32 s26, s14, s9
	s_wait_alu 0xfffe
	s_mul_hi_u32 s22, s14, s7
	s_mul_hi_u32 s21, s15, s7
	s_mul_i32 s7, s15, s7
	s_add_nc_u64 s[22:23], s[22:23], s[26:27]
	s_mul_hi_u32 s3, s15, s9
	s_wait_alu 0xfffe
	s_add_co_u32 s7, s22, s7
	s_add_co_ci_u32 s24, s23, s21
	s_mul_i32 s26, s15, s9
	s_add_co_ci_u32 s27, s3, 0
	s_delay_alu instid0(SALU_CYCLE_1) | instskip(NEXT) | instid1(SALU_CYCLE_1)
	s_add_nc_u64 s[22:23], s[24:25], s[26:27]
	s_mul_u64 s[24:25], s[10:11], s[22:23]
	s_add_nc_u64 s[26:27], s[22:23], 1
	s_sub_co_u32 s3, s14, s24
	s_cselect_b32 s7, -1, 0
	s_sub_co_i32 s9, s15, s25
	s_wait_alu 0xfffe
	s_cmp_lg_u32 s7, 0
	s_add_nc_u64 s[28:29], s[22:23], 2
	s_sub_co_ci_u32 s9, s9, s11
	s_sub_co_u32 s14, s3, s10
	s_cselect_b32 s21, -1, 0
	s_delay_alu instid0(SALU_CYCLE_1) | instskip(SKIP_1) | instid1(SALU_CYCLE_1)
	s_cmp_lg_u32 s21, 0
	s_sub_co_ci_u32 s9, s9, 0
	s_cmp_ge_u32 s9, s11
	s_cselect_b32 s21, -1, 0
	s_cmp_ge_u32 s14, s10
	s_cselect_b32 s14, -1, 0
	s_cmp_eq_u32 s9, s11
	s_cselect_b32 s9, s14, s21
	s_delay_alu instid0(SALU_CYCLE_1)
	s_cmp_lg_u32 s9, 0
	s_cselect_b32 s9, s28, s26
	s_cselect_b32 s14, s29, s27
	s_cmp_lg_u32 s7, 0
	s_sub_co_ci_u32 s7, s15, s25
	s_wait_alu 0xfffe
	s_cmp_ge_u32 s7, s11
	s_cselect_b32 s15, -1, 0
	s_cmp_ge_u32 s3, s10
	s_cselect_b32 s3, -1, 0
	s_cmp_eq_u32 s7, s11
	s_cselect_b32 s3, s3, s15
	s_delay_alu instid0(SALU_CYCLE_1) | instskip(SKIP_3) | instid1(SALU_CYCLE_1)
	s_cmp_lg_u32 s3, 0
	s_cselect_b32 s11, s14, s23
	s_cselect_b32 s10, s9, s22
	s_xor_b64 s[12:13], s[12:13], 0
	s_xor_b64 s[10:11], s[10:11], s[12:13]
	s_delay_alu instid0(SALU_CYCLE_1)
	s_sub_nc_u64 s[10:11], s[10:11], s[12:13]
	s_load_b96 s[12:14], s[0:1], 0x44
	s_and_not1_b32 vcc_lo, exec_lo, s8
	s_cbranch_vccnz .LBB12_6
.LBB12_5:
	v_cvt_f32_u32_e32 v1, s16
	s_sub_co_i32 s7, 0, s16
	s_delay_alu instid0(VALU_DEP_1) | instskip(NEXT) | instid1(TRANS32_DEP_1)
	v_rcp_iflag_f32_e32 v1, v1
	v_mul_f32_e32 v1, 0x4f7ffffe, v1
	s_delay_alu instid0(VALU_DEP_1) | instskip(NEXT) | instid1(VALU_DEP_1)
	v_cvt_u32_f32_e32 v1, v1
	v_readfirstlane_b32 s3, v1
	s_wait_alu 0xfffe
	s_mul_i32 s7, s7, s3
	s_wait_alu 0xfffe
	s_mul_hi_u32 s7, s3, s7
	s_wait_alu 0xfffe
	s_add_co_i32 s3, s3, s7
	s_delay_alu instid0(SALU_CYCLE_1) | instskip(NEXT) | instid1(SALU_CYCLE_1)
	s_mul_hi_u32 s3, s2, s3
	s_mul_i32 s7, s3, s16
	s_wait_alu 0xfffe
	s_sub_co_i32 s2, s2, s7
	s_add_co_i32 s7, s3, 1
	s_sub_co_i32 s8, s2, s16
	s_cmp_ge_u32 s2, s16
	s_wait_alu 0xfffe
	s_cselect_b32 s3, s7, s3
	s_cselect_b32 s2, s8, s2
	s_add_co_i32 s7, s3, 1
	s_cmp_ge_u32 s2, s16
	s_wait_alu 0xfffe
	s_cselect_b32 s10, s7, s3
.LBB12_6:
	s_mov_b32 s21, 0
	s_wait_kmcnt 0x0
	s_mov_b32 s22, s12
	s_mov_b32 s23, s21
	s_cmp_eq_u32 s20, s10
	s_mul_u64 s[2:3], s[20:21], s[22:23]
	s_cselect_b32 s7, -1, 0
	s_add_co_i32 s2, s3, s20
	s_mov_b32 s11, s21
	s_lshr_b32 s12, s2, s13
	s_mul_u64 s[2:3], s[10:11], s[22:23]
	s_mul_i32 s2, s12, s14
	s_delay_alu instid0(SALU_CYCLE_1) | instskip(SKIP_2) | instid1(SALU_CYCLE_1)
	s_cmp_eq_u32 s2, s20
	s_cselect_b32 s2, -1, 0
	s_add_co_i32 s3, s3, s10
	s_lshr_b32 s3, s3, s13
	s_delay_alu instid0(SALU_CYCLE_1)
	s_cmp_eq_u32 s12, s3
	s_mul_i32 s3, s3, s14
	s_cselect_b32 s8, -1, 0
	s_cmp_lg_u32 s3, s10
	s_cselect_b32 s3, -1, 0
	s_wait_alu 0xfffe
	s_or_b32 s2, s7, s2
	s_and_b32 s3, s8, s3
	s_delay_alu instid0(SALU_CYCLE_1) | instskip(NEXT) | instid1(SALU_CYCLE_1)
	s_or_b32 s2, s2, s3
	s_and_b32 vcc_lo, exec_lo, s2
	s_cbranch_vccnz .LBB12_24
; %bb.7:
	s_load_b256 s[24:31], s[0:1], 0x20
	s_mov_b32 s3, s21
	s_wait_kmcnt 0x0
	s_mov_b32 s2, s24
	s_delay_alu instid0(SALU_CYCLE_1) | instskip(NEXT) | instid1(SALU_CYCLE_1)
	s_mul_u64 s[2:3], s[20:21], s[2:3]
	s_add_co_i32 s2, s3, s20
	s_delay_alu instid0(SALU_CYCLE_1) | instskip(SKIP_2) | instid1(SALU_CYCLE_1)
	s_lshr_b32 s7, s2, s25
	s_load_b32 s2, s[0:1], 0x40
	s_mul_i32 s3, s7, s26
	s_sub_co_i32 s3, s20, s3
	s_delay_alu instid0(SALU_CYCLE_1) | instskip(NEXT) | instid1(SALU_CYCLE_1)
	s_mul_hi_u32 s8, s3, s27
	s_add_co_i32 s8, s3, s8
	s_delay_alu instid0(SALU_CYCLE_1) | instskip(NEXT) | instid1(SALU_CYCLE_1)
	s_lshr_b32 s8, s8, s28
	s_mul_i32 s9, s8, s29
	s_delay_alu instid0(SALU_CYCLE_1) | instskip(NEXT) | instid1(SALU_CYCLE_1)
	s_sub_co_i32 s9, s3, s9
	s_mul_hi_u32 s3, s9, s30
	s_delay_alu instid0(SALU_CYCLE_1) | instskip(NEXT) | instid1(SALU_CYCLE_1)
	s_add_co_i32 s3, s9, s3
	s_lshr_b32 s24, s3, s31
	s_mov_b32 s3, s21
	s_wait_kmcnt 0x0
	s_mul_i32 s2, s24, s2
	s_lshl_b32 s21, s24, 3
	s_sub_co_i32 s2, s9, s2
	s_delay_alu instid0(SALU_CYCLE_1) | instskip(SKIP_2) | instid1(SALU_CYCLE_1)
	s_mul_u64 s[10:11], s[2:3], s[22:23]
	s_lshr_b32 s3, ttmp7, 16
	s_add_co_i32 s2, s2, s11
	s_lshr_b32 s15, s2, s13
	s_and_b32 s2, ttmp7, 0xffff
	s_lshl_b32 s9, s15, 1
	s_delay_alu instid0(SALU_CYCLE_1) | instskip(NEXT) | instid1(SALU_CYCLE_1)
	s_add_co_i32 s9, s9, s2
	s_cmp_lt_i32 s9, s4
	s_cselect_b32 s9, -1, 0
	s_add_co_i32 s10, s21, s3
	s_delay_alu instid0(SALU_CYCLE_1) | instskip(SKIP_1) | instid1(SALU_CYCLE_1)
	s_cmp_lt_i32 s10, s6
	s_cselect_b32 s10, -1, 0
	s_and_b32 s9, s9, s10
	s_delay_alu instid0(SALU_CYCLE_1)
	s_and_not1_b32 vcc_lo, exec_lo, s9
	s_cbranch_vccnz .LBB12_24
; %bb.8:
	s_mul_i32 s4, s7, s4
	s_mul_i32 s6, s8, s6
	s_add_co_i32 s4, s4, s2
	s_load_b128 s[8:11], s[0:1], 0x0
	s_mul_i32 s4, s4, s5
	s_mul_i32 s1, s5, s15
	s_add_co_i32 s4, s4, s3
	s_lshl_b32 s1, s1, 7
	s_add_co_i32 s0, s4, s6
	s_lshl_b32 s15, s2, 3
	s_add_co_i32 s0, s0, s21
	s_add_co_i32 s15, s15, s3
	s_lshl_b32 s0, s0, 6
	v_cvt_f32_u32_e32 v4, s16
	s_add_co_i32 s1, s1, s0
	s_add_co_i32 s34, ttmp9, -1
	v_or_b32_e32 v1, s1, v0
	s_add_nc_u64 s[0:1], s[16:17], 0
	v_rcp_iflag_f32_e32 v4, v4
	s_wait_alu 0xfffe
	s_xor_b64 s[6:7], s[0:1], 0
	s_lshl_b32 s0, ttmp9, 4
	v_ashrrev_i32_e32 v2, 31, v1
	s_wait_alu 0xfffe
	s_cvt_f32_u32 s1, s6
	s_cvt_f32_u32 s2, s7
	s_add_co_i32 s0, s15, s0
	v_lshl_or_b32 v0, s15, 6, v0
	v_lshlrev_b64_e32 v[1:2], 2, v[1:2]
	s_wait_alu 0xfffe
	s_fmamk_f32 s2, s2, 0x4f800000, s1
	s_ashr_i32 s1, s0, 31
	s_sub_nc_u64 s[30:31], 0, s[6:7]
	s_wait_alu 0xfffe
	s_lshl_b64 s[0:1], s[0:1], 3
	v_s_rcp_f32 s2, s2
	s_wait_kmcnt 0x0
	v_add_co_u32 v1, vcc_lo, s8, v1
	s_delay_alu instid0(VALU_DEP_1)
	v_add_co_ci_u32_e64 v2, null, s9, v2, vcc_lo
	s_wait_alu 0xfffe
	s_add_nc_u64 s[0:1], s[10:11], s[0:1]
	s_mov_b32 s8, 0
	s_load_b64 s[26:27], s[0:1], 0x0
	global_load_b32 v3, v[1:2], off
	s_mul_f32 s2, s2, 0x5f7ffffc
	v_mul_f32_e32 v4, 0x4f7ffffe, v4
	s_lshl_b32 s0, s16, 6
	s_wait_alu 0xfffe
	s_mul_f32 s1, s2, 0x2f800000
	s_wait_alu 0xfffe
	s_delay_alu instid0(SALU_CYCLE_2)
	s_trunc_f32 s3, s1
	s_mov_b32 s1, s8
	s_wait_alu 0xfffe
	s_lshl_b64 s[0:1], s[0:1], 2
	s_fmamk_f32 s2, s3, 0xcf800000, s2
	s_cvt_u32_f32 s29, s3
	s_wait_alu 0xfffe
	s_add_nc_u64 s[24:25], s[10:11], s[0:1]
	s_cvt_u32_f32 s28, s2
	s_wait_kmcnt 0x0
	v_mov_b32_e32 v5, s27
	v_cvt_u32_f32_e32 v4, v4
.LBB12_9:                               ; =>This Inner Loop Header: Depth=1
	s_wait_alu 0xfffe
	s_ashr_i32 s35, s34, 31
	s_mov_b32 s2, -1
	s_wait_alu 0xfffe
	s_mul_u64 s[0:1], s[34:35], s[18:19]
                                        ; implicit-def: $sgpr38_sgpr39
	s_wait_alu 0xfffe
	s_mov_b32 s9, s1
	s_wait_alu 0xfffe
	s_cmp_lg_u64 s[8:9], 0
	s_cbranch_scc0 .LBB12_11
; %bb.10:                               ;   in Loop: Header=BB12_9 Depth=1
	s_mul_u64 s[2:3], s[30:31], s[28:29]
	s_mov_b32 s37, s8
	s_wait_alu 0xfffe
	s_mul_hi_u32 s5, s28, s3
	s_mul_i32 s4, s28, s3
	s_mul_hi_u32 s36, s28, s2
	s_mul_hi_u32 s9, s29, s2
	s_wait_alu 0xfffe
	s_add_nc_u64 s[4:5], s[36:37], s[4:5]
	s_mul_i32 s2, s29, s2
	s_mul_hi_u32 s17, s29, s3
	s_wait_alu 0xfffe
	s_add_co_u32 s2, s4, s2
	s_add_co_ci_u32 s2, s5, s9
	s_add_co_ci_u32 s5, s17, 0
	s_mul_i32 s4, s29, s3
	s_mov_b32 s3, s8
	s_mov_b32 s39, s8
	s_wait_alu 0xfffe
	s_add_nc_u64 s[2:3], s[2:3], s[4:5]
	s_wait_alu 0xfffe
	s_add_co_u32 s2, s28, s2
	s_cselect_b32 s4, -1, 0
	s_wait_alu 0xfffe
	s_cmp_lg_u32 s4, 0
	s_add_co_ci_u32 s3, s29, s3
	s_wait_alu 0xfffe
	s_mul_u64 s[4:5], s[30:31], s[2:3]
	s_wait_alu 0xfffe
	s_mul_hi_u32 s37, s2, s5
	s_mul_i32 s36, s2, s5
	s_mul_hi_u32 s38, s2, s4
	s_mul_hi_u32 s9, s3, s4
	s_mul_i32 s4, s3, s4
	s_wait_alu 0xfffe
	s_add_nc_u64 s[36:37], s[38:39], s[36:37]
	s_mul_hi_u32 s17, s3, s5
	s_wait_alu 0xfffe
	s_add_co_u32 s4, s36, s4
	s_add_co_ci_u32 s4, s37, s9
	s_add_co_ci_u32 s37, s17, 0
	s_mul_i32 s36, s3, s5
	s_mov_b32 s5, s8
	s_wait_alu 0xfffe
	s_add_nc_u64 s[4:5], s[4:5], s[36:37]
	s_mov_b32 s37, s8
	s_wait_alu 0xfffe
	s_add_co_u32 s9, s2, s4
	s_cselect_b32 s2, -1, 0
	s_wait_alu 0xfffe
	s_cmp_lg_u32 s2, 0
	s_add_co_ci_u32 s17, s3, s5
	s_ashr_i32 s2, s1, 31
	s_wait_alu 0xfffe
	s_mov_b32 s3, s2
	s_wait_alu 0xfffe
	s_add_nc_u64 s[4:5], s[0:1], s[2:3]
	s_wait_alu 0xfffe
	s_xor_b64 s[4:5], s[4:5], s[2:3]
	s_wait_alu 0xfffe
	s_mul_hi_u32 s39, s4, s17
	s_mul_i32 s38, s4, s17
	s_mul_hi_u32 s36, s4, s9
	s_mul_i32 s21, s5, s9
	s_wait_alu 0xfffe
	s_add_nc_u64 s[36:37], s[36:37], s[38:39]
	s_mul_hi_u32 s9, s5, s9
	s_mul_hi_u32 s1, s5, s17
	s_wait_alu 0xfffe
	s_add_co_u32 s21, s36, s21
	s_add_co_ci_u32 s36, s37, s9
	s_add_co_ci_u32 s39, s1, 0
	s_mul_i32 s38, s5, s17
	s_mov_b32 s37, s8
	s_wait_alu 0xfffe
	s_add_nc_u64 s[36:37], s[36:37], s[38:39]
	s_wait_alu 0xfffe
	s_mul_u64 s[38:39], s[6:7], s[36:37]
	s_add_nc_u64 s[40:41], s[36:37], 1
	s_sub_co_u32 s1, s4, s38
	s_cselect_b32 s4, -1, 0
	s_sub_co_i32 s9, s5, s39
	s_wait_alu 0xfffe
	s_cmp_lg_u32 s4, 0
	s_add_nc_u64 s[42:43], s[36:37], 2
	s_sub_co_ci_u32 s9, s9, s7
	s_sub_co_u32 s17, s1, s6
	s_cselect_b32 s21, -1, 0
	s_delay_alu instid0(SALU_CYCLE_1)
	s_cmp_lg_u32 s21, 0
	s_wait_alu 0xfffe
	s_sub_co_ci_u32 s9, s9, 0
	s_wait_alu 0xfffe
	s_cmp_ge_u32 s9, s7
	s_cselect_b32 s21, -1, 0
	s_cmp_ge_u32 s17, s6
	s_cselect_b32 s17, -1, 0
	s_cmp_eq_u32 s9, s7
	s_wait_alu 0xfffe
	s_cselect_b32 s9, s17, s21
	s_wait_alu 0xfffe
	s_cmp_lg_u32 s9, 0
	s_cselect_b32 s9, s42, s40
	s_cselect_b32 s17, s43, s41
	s_cmp_lg_u32 s4, 0
	s_sub_co_ci_u32 s4, s5, s39
	s_wait_alu 0xfffe
	s_cmp_ge_u32 s4, s7
	s_cselect_b32 s5, -1, 0
	s_cmp_ge_u32 s1, s6
	s_cselect_b32 s1, -1, 0
	s_cmp_eq_u32 s4, s7
	s_wait_alu 0xfffe
	s_cselect_b32 s1, s1, s5
	s_wait_alu 0xfffe
	s_cmp_lg_u32 s1, 0
	s_cselect_b32 s5, s17, s37
	s_cselect_b32 s4, s9, s36
	s_xor_b64 s[2:3], s[2:3], 0
	s_wait_alu 0xfffe
	s_xor_b64 s[4:5], s[4:5], s[2:3]
	s_wait_alu 0xfffe
	s_sub_nc_u64 s[38:39], s[4:5], s[2:3]
	s_mov_b32 s2, 0
.LBB12_11:                              ;   in Loop: Header=BB12_9 Depth=1
	s_wait_alu 0xfffe
	s_and_not1_b32 vcc_lo, exec_lo, s2
	s_wait_alu 0xfffe
	s_cbranch_vccnz .LBB12_13
; %bb.12:                               ;   in Loop: Header=BB12_9 Depth=1
	v_readfirstlane_b32 s1, v4
	s_sub_co_i32 s2, 0, s16
	s_wait_alu 0xfffe
	s_mul_i32 s2, s2, s1
	s_wait_alu 0xfffe
	s_mul_hi_u32 s2, s1, s2
	s_wait_alu 0xfffe
	s_add_co_i32 s1, s1, s2
	s_wait_alu 0xfffe
	s_mul_hi_u32 s1, s0, s1
	s_wait_alu 0xfffe
	s_mul_i32 s2, s1, s16
	s_wait_alu 0xfffe
	s_sub_co_i32 s0, s0, s2
	s_add_co_i32 s2, s1, 1
	s_wait_alu 0xfffe
	s_sub_co_i32 s3, s0, s16
	s_cmp_ge_u32 s0, s16
	s_cselect_b32 s1, s2, s1
	s_wait_alu 0xfffe
	s_cselect_b32 s0, s3, s0
	s_add_co_i32 s2, s1, 1
	s_wait_alu 0xfffe
	s_cmp_ge_u32 s0, s16
	s_cselect_b32 s38, s2, s1
.LBB12_13:                              ;   in Loop: Header=BB12_9 Depth=1
	v_readfirstlane_b32 s9, v0
	s_cmp_lg_u32 s20, s38
	s_mov_b32 s0, -1
                                        ; implicit-def: $sgpr21
                                        ; implicit-def: $vgpr6
                                        ; implicit-def: $vgpr7
                                        ; implicit-def: $sgpr17
                                        ; implicit-def: $sgpr27
	s_cbranch_scc1 .LBB12_16
; %bb.14:                               ;   in Loop: Header=BB12_9 Depth=1
	s_wait_alu 0xfffe
	s_and_not1_b32 vcc_lo, exec_lo, s0
	s_wait_alu 0xfffe
	s_cbranch_vccz .LBB12_19
.LBB12_15:                              ;   in Loop: Header=BB12_9 Depth=1
	s_and_not1_b32 vcc_lo, exec_lo, s21
	s_wait_alu 0xfffe
	s_cbranch_vccnz .LBB12_20
	s_branch .LBB12_23
.LBB12_16:                              ;   in Loop: Header=BB12_9 Depth=1
	s_add_co_i32 s0, s34, s16
	s_mov_b32 s1, s8
	s_wait_alu 0xfffe
	s_lshl_b32 s0, s0, 4
	v_max_num_f32_e64 v6, s26, s26
	s_wait_alu 0xfffe
	s_add_co_i32 s0, s0, s15
	s_mov_b32 s39, s8
	s_wait_alu 0xfffe
	s_lshl_b64 s[0:1], s[0:1], 3
	s_mul_u64 s[40:41], s[38:39], s[22:23]
	s_wait_alu 0xfffe
	s_add_nc_u64 s[0:1], s[10:11], s[0:1]
	s_mov_b32 s27, s20
	s_load_b64 s[36:37], s[0:1], 0x0
	v_readfirstlane_b32 s0, v6
	s_wait_kmcnt 0x0
	v_max_num_f32_e64 v7, s36, s36
	s_delay_alu instid0(VALU_DEP_1) | instskip(SKIP_2) | instid1(SALU_CYCLE_2)
	v_readfirstlane_b32 s1, v7
	s_max_num_f32 s9, s0, s1
	s_wait_alu 0xfffe
	s_sub_f32 s33, s26, s9
	s_sub_f32 s35, s36, s9
	s_wait_alu 0xfffe
	s_delay_alu instid0(SALU_CYCLE_1)
	s_cmp_nlt_f32 s33, 0xc2ce8ed0
	s_cselect_b32 s0, -1, 0
	s_cmp_ngt_f32 s33, 0x42b17218
	s_cselect_b32 s1, -1, 0
	s_cmp_ge_f32 s33, 0xc1a00000
	s_cselect_b32 s2, -1, 0
	s_cmp_nlt_f32 s35, 0xc2ce8ed0
	s_cselect_b32 s3, -1, 0
	s_cmp_ngt_f32 s35, 0x42b17218
	s_cselect_b32 s4, -1, 0
	s_cmp_ge_f32 s35, 0xc1a00000
	s_cselect_b32 s5, -1, 0
	s_add_co_i32 s17, s41, s38
	s_wait_alu 0xfffe
	s_lshr_b32 s17, s17, s13
	s_wait_alu 0xfffe
	s_mul_i32 s21, s17, s14
	s_delay_alu instid0(SALU_CYCLE_1)
	s_cmp_eq_u32 s21, s38
	s_cselect_b32 s21, -1, 0
	s_cmp_lt_u32 s17, s12
	s_cselect_b32 s17, -1, 0
	s_wait_alu 0xfffe
	s_or_b32 s17, s17, s21
	s_mov_b32 s21, -1
	s_wait_alu 0xfffe
	s_and_b32 vcc_lo, exec_lo, s17
	s_mov_b32 s17, s34
	s_wait_alu 0xfffe
	s_cbranch_vccnz .LBB12_18
; %bb.17:                               ;   in Loop: Header=BB12_9 Depth=1
	s_add_co_i32 s17, s34, -1
	s_mov_b32 s21, 0
	s_mov_b32 s27, s38
.LBB12_18:                              ;   in Loop: Header=BB12_9 Depth=1
	v_lshl_add_u32 v6, s34, 10, v0
	s_mul_f32 s36, s35, 0x3fb8aa3b
	s_mul_f32 s38, s33, 0x3fb8aa3b
	s_wait_alu 0xfffe
	s_delay_alu instid0(SALU_CYCLE_1)
	s_xor_b32 s39, s36, 0x80000000
	v_ashrrev_i32_e32 v7, 31, v6
	s_rndne_f32 s40, s36
	s_fmamk_f32 s39, s35, 0x3fb8aa3b, s39
	s_xor_b32 s41, s38, 0x80000000
	s_rndne_f32 s42, s38
	v_lshlrev_b64_e32 v[6:7], 2, v[6:7]
	s_sub_f32 s36, s36, s40
	s_fmamk_f32 s35, s35, 0x32a5705f, s39
	s_fmamk_f32 s39, s33, 0x3fb8aa3b, s41
	s_sub_f32 s38, s38, s42
	s_delay_alu instid0(VALU_DEP_1)
	v_add_co_u32 v6, vcc_lo, s24, v6
	s_wait_alu 0xfffd
	v_add_co_ci_u32_e64 v7, null, s25, v7, vcc_lo
	s_wait_alu 0xfffe
	s_add_f32 s35, s36, s35
	s_fmamk_f32 s33, s33, 0x32a5705f, s39
	s_cvt_i32_f32 s36, s40
	global_load_b32 v6, v[6:7], off
	s_wait_alu 0xfffe
	v_s_exp_f32 s35, s35
	s_add_f32 s33, s38, s33
	s_wait_alu 0xfffe
	s_delay_alu instid0(SALU_CYCLE_2) | instskip(NEXT) | instid1(TRANS32_DEP_2)
	v_s_exp_f32 s33, s33
	v_ldexp_f32 v7, s35, s36
	s_cvt_i32_f32 s35, s42
	s_wait_alu 0xf1fe
	s_delay_alu instid0(TRANS32_DEP_1) | instid1(SALU_CYCLE_2)
	v_ldexp_f32 v8, s33, s35
	s_delay_alu instid0(VALU_DEP_2) | instskip(NEXT) | instid1(VALU_DEP_2)
	v_cndmask_b32_e64 v7, 0, v7, s3
	v_cndmask_b32_e64 v8, 0, v8, s0
	s_delay_alu instid0(VALU_DEP_2) | instskip(NEXT) | instid1(VALU_DEP_2)
	v_cndmask_b32_e64 v7, 0x7f800000, v7, s4
	v_cndmask_b32_e64 v8, 0x7f800000, v8, s1
	;; [unrolled: 3-line block ×3, first 2 shown]
	s_wait_loadcnt 0x0
	s_delay_alu instid0(VALU_DEP_2) | instskip(SKIP_1) | instid1(VALU_DEP_1)
	v_mul_f32_e32 v6, v6, v7
	v_mul_f32_e32 v7, s37, v7
	v_fmac_f32_e32 v7, v5, v8
	s_delay_alu instid0(VALU_DEP_3)
	v_fmac_f32_e32 v6, v3, v8
	s_cbranch_execnz .LBB12_15
.LBB12_19:                              ;   in Loop: Header=BB12_9 Depth=1
	s_wait_loadcnt 0x0
	v_dual_mov_b32 v7, v5 :: v_dual_mov_b32 v6, v3
	s_add_co_i32 s17, s34, -1
	s_mov_b32 s27, s20
	s_mov_b32 s9, s26
	s_cbranch_execz .LBB12_23
.LBB12_20:                              ;   in Loop: Header=BB12_9 Depth=1
	v_mov_b32_e32 v5, v7
	s_wait_loadcnt 0x0
	v_mov_b32_e32 v3, v6
	s_wait_alu 0xfffe
	s_mov_b32 s20, s27
	s_mov_b32 s34, s17
	s_mov_b32 s26, s9
	s_branch .LBB12_9
.LBB12_21:
                                        ; implicit-def: $sgpr20_sgpr21
	s_branch .LBB12_2
.LBB12_22:
                                        ; implicit-def: $sgpr10_sgpr11
	s_load_b96 s[12:14], s[0:1], 0x44
	s_branch .LBB12_5
.LBB12_23:
	v_div_scale_f32 v0, null, v7, v7, v6
	s_wait_loadcnt 0x0
	s_delay_alu instid0(VALU_DEP_1) | instskip(NEXT) | instid1(TRANS32_DEP_1)
	v_rcp_f32_e32 v3, v0
	v_fma_f32 v4, -v0, v3, 1.0
	s_delay_alu instid0(VALU_DEP_1) | instskip(SKIP_1) | instid1(VALU_DEP_1)
	v_fmac_f32_e32 v3, v4, v3
	v_div_scale_f32 v4, vcc_lo, v6, v7, v6
	v_mul_f32_e32 v5, v4, v3
	s_delay_alu instid0(VALU_DEP_1) | instskip(NEXT) | instid1(VALU_DEP_1)
	v_fma_f32 v8, -v0, v5, v4
	v_fmac_f32_e32 v5, v8, v3
	s_delay_alu instid0(VALU_DEP_1) | instskip(SKIP_1) | instid1(VALU_DEP_1)
	v_fma_f32 v0, -v0, v5, v4
	s_wait_alu 0xfffd
	v_div_fmas_f32 v0, v0, v3, v5
	s_delay_alu instid0(VALU_DEP_1)
	v_div_fixup_f32 v0, v0, v7, v6
	global_store_b32 v[1:2], v0, off
.LBB12_24:
	s_endpgm
	.section	.rodata,"a",@progbits
	.p2align	6, 0x0
	.amdhsa_kernel _ZL33flash_attn_stream_k_fixup_generalILi64ELi2ELi8EEvPfPK15HIP_vector_typeIfLj2EEiiiiS1_IjLj3EES5_S5_S5_
		.amdhsa_group_segment_fixed_size 0
		.amdhsa_private_segment_fixed_size 0
		.amdhsa_kernarg_size 336
		.amdhsa_user_sgpr_count 2
		.amdhsa_user_sgpr_dispatch_ptr 0
		.amdhsa_user_sgpr_queue_ptr 0
		.amdhsa_user_sgpr_kernarg_segment_ptr 1
		.amdhsa_user_sgpr_dispatch_id 0
		.amdhsa_user_sgpr_private_segment_size 0
		.amdhsa_wavefront_size32 1
		.amdhsa_uses_dynamic_stack 0
		.amdhsa_enable_private_segment 0
		.amdhsa_system_sgpr_workgroup_id_x 1
		.amdhsa_system_sgpr_workgroup_id_y 1
		.amdhsa_system_sgpr_workgroup_id_z 1
		.amdhsa_system_sgpr_workgroup_info 0
		.amdhsa_system_vgpr_workitem_id 0
		.amdhsa_next_free_vgpr 9
		.amdhsa_next_free_sgpr 44
		.amdhsa_reserve_vcc 1
		.amdhsa_float_round_mode_32 0
		.amdhsa_float_round_mode_16_64 0
		.amdhsa_float_denorm_mode_32 3
		.amdhsa_float_denorm_mode_16_64 3
		.amdhsa_fp16_overflow 0
		.amdhsa_workgroup_processor_mode 1
		.amdhsa_memory_ordered 1
		.amdhsa_forward_progress 1
		.amdhsa_inst_pref_size 28
		.amdhsa_round_robin_scheduling 0
		.amdhsa_exception_fp_ieee_invalid_op 0
		.amdhsa_exception_fp_denorm_src 0
		.amdhsa_exception_fp_ieee_div_zero 0
		.amdhsa_exception_fp_ieee_overflow 0
		.amdhsa_exception_fp_ieee_underflow 0
		.amdhsa_exception_fp_ieee_inexact 0
		.amdhsa_exception_int_div_zero 0
	.end_amdhsa_kernel
	.section	.text._ZL33flash_attn_stream_k_fixup_generalILi64ELi2ELi8EEvPfPK15HIP_vector_typeIfLj2EEiiiiS1_IjLj3EES5_S5_S5_,"axG",@progbits,_ZL33flash_attn_stream_k_fixup_generalILi64ELi2ELi8EEvPfPK15HIP_vector_typeIfLj2EEiiiiS1_IjLj3EES5_S5_S5_,comdat
.Lfunc_end12:
	.size	_ZL33flash_attn_stream_k_fixup_generalILi64ELi2ELi8EEvPfPK15HIP_vector_typeIfLj2EEiiiiS1_IjLj3EES5_S5_S5_, .Lfunc_end12-_ZL33flash_attn_stream_k_fixup_generalILi64ELi2ELi8EEvPfPK15HIP_vector_typeIfLj2EEiiiiS1_IjLj3EES5_S5_S5_
                                        ; -- End function
	.set _ZL33flash_attn_stream_k_fixup_generalILi64ELi2ELi8EEvPfPK15HIP_vector_typeIfLj2EEiiiiS1_IjLj3EES5_S5_S5_.num_vgpr, 9
	.set _ZL33flash_attn_stream_k_fixup_generalILi64ELi2ELi8EEvPfPK15HIP_vector_typeIfLj2EEiiiiS1_IjLj3EES5_S5_S5_.num_agpr, 0
	.set _ZL33flash_attn_stream_k_fixup_generalILi64ELi2ELi8EEvPfPK15HIP_vector_typeIfLj2EEiiiiS1_IjLj3EES5_S5_S5_.numbered_sgpr, 44
	.set _ZL33flash_attn_stream_k_fixup_generalILi64ELi2ELi8EEvPfPK15HIP_vector_typeIfLj2EEiiiiS1_IjLj3EES5_S5_S5_.num_named_barrier, 0
	.set _ZL33flash_attn_stream_k_fixup_generalILi64ELi2ELi8EEvPfPK15HIP_vector_typeIfLj2EEiiiiS1_IjLj3EES5_S5_S5_.private_seg_size, 0
	.set _ZL33flash_attn_stream_k_fixup_generalILi64ELi2ELi8EEvPfPK15HIP_vector_typeIfLj2EEiiiiS1_IjLj3EES5_S5_S5_.uses_vcc, 1
	.set _ZL33flash_attn_stream_k_fixup_generalILi64ELi2ELi8EEvPfPK15HIP_vector_typeIfLj2EEiiiiS1_IjLj3EES5_S5_S5_.uses_flat_scratch, 0
	.set _ZL33flash_attn_stream_k_fixup_generalILi64ELi2ELi8EEvPfPK15HIP_vector_typeIfLj2EEiiiiS1_IjLj3EES5_S5_S5_.has_dyn_sized_stack, 0
	.set _ZL33flash_attn_stream_k_fixup_generalILi64ELi2ELi8EEvPfPK15HIP_vector_typeIfLj2EEiiiiS1_IjLj3EES5_S5_S5_.has_recursion, 0
	.set _ZL33flash_attn_stream_k_fixup_generalILi64ELi2ELi8EEvPfPK15HIP_vector_typeIfLj2EEiiiiS1_IjLj3EES5_S5_S5_.has_indirect_call, 0
	.section	.AMDGPU.csdata,"",@progbits
; Kernel info:
; codeLenInByte = 3548
; TotalNumSgprs: 46
; NumVgprs: 9
; ScratchSize: 0
; MemoryBound: 0
; FloatMode: 240
; IeeeMode: 1
; LDSByteSize: 0 bytes/workgroup (compile time only)
; SGPRBlocks: 0
; VGPRBlocks: 1
; NumSGPRsForWavesPerEU: 46
; NumVGPRsForWavesPerEU: 9
; Occupancy: 16
; WaveLimiterHint : 0
; COMPUTE_PGM_RSRC2:SCRATCH_EN: 0
; COMPUTE_PGM_RSRC2:USER_SGPR: 2
; COMPUTE_PGM_RSRC2:TRAP_HANDLER: 0
; COMPUTE_PGM_RSRC2:TGID_X_EN: 1
; COMPUTE_PGM_RSRC2:TGID_Y_EN: 1
; COMPUTE_PGM_RSRC2:TGID_Z_EN: 1
; COMPUTE_PGM_RSRC2:TIDIG_COMP_CNT: 0
	.section	.text._ZL15flash_attn_tileILi64ELi64ELi1ELi8ELb0EEvPKcS1_S1_S1_S1_PKiPfP15HIP_vector_typeIfLj2EEffffjfiS5_IjLj3EEiiiiiiiiiiiliiliiiiil,"axG",@progbits,_ZL15flash_attn_tileILi64ELi64ELi1ELi8ELb0EEvPKcS1_S1_S1_S1_PKiPfP15HIP_vector_typeIfLj2EEffffjfiS5_IjLj3EEiiiiiiiiiiiliiliiiiil,comdat
	.globl	_ZL15flash_attn_tileILi64ELi64ELi1ELi8ELb0EEvPKcS1_S1_S1_S1_PKiPfP15HIP_vector_typeIfLj2EEffffjfiS5_IjLj3EEiiiiiiiiiiiliiliiiiil ; -- Begin function _ZL15flash_attn_tileILi64ELi64ELi1ELi8ELb0EEvPKcS1_S1_S1_S1_PKiPfP15HIP_vector_typeIfLj2EEffffjfiS5_IjLj3EEiiiiiiiiiiiliiliiiiil
	.p2align	8
	.type	_ZL15flash_attn_tileILi64ELi64ELi1ELi8ELb0EEvPKcS1_S1_S1_S1_PKiPfP15HIP_vector_typeIfLj2EEffffjfiS5_IjLj3EEiiiiiiiiiiiliiliiiiil,@function
_ZL15flash_attn_tileILi64ELi64ELi1ELi8ELb0EEvPKcS1_S1_S1_S1_PKiPfP15HIP_vector_typeIfLj2EEffffjfiS5_IjLj3EEiiiiiiiiiiiliiliiiiil: ; @_ZL15flash_attn_tileILi64ELi64ELi1ELi8ELb0EEvPKcS1_S1_S1_S1_PKiPfP15HIP_vector_typeIfLj2EEffffjfiS5_IjLj3EEiiiiiiiiiiiliiliiiiil
; %bb.0:
	s_clause 0x1
	s_load_b128 s[20:23], s[0:1], 0x5c
	s_load_b64 s[28:29], s[0:1], 0x80
	s_lshr_b32 s5, ttmp7, 16
	s_load_b64 s[36:37], s[0:1], 0xb8
	s_mov_b32 s35, 0
	s_mov_b64 s[30:31], 0
	s_wait_kmcnt 0x0
	s_ashr_i32 s2, s23, 31
	s_delay_alu instid0(SALU_CYCLE_1) | instskip(NEXT) | instid1(SALU_CYCLE_1)
	s_lshr_b32 s2, s2, 29
	s_add_co_i32 s2, s23, s2
	s_delay_alu instid0(SALU_CYCLE_1) | instskip(NEXT) | instid1(SALU_CYCLE_1)
	s_ashr_i32 s2, s2, 3
	s_cvt_f32_u32 s3, s2
	s_sub_co_i32 s4, 0, s2
	s_delay_alu instid0(SALU_CYCLE_2) | instskip(NEXT) | instid1(TRANS32_DEP_1)
	v_rcp_iflag_f32_e32 v1, s3
	v_readfirstlane_b32 s3, v1
	s_mul_f32 s3, s3, 0x4f7ffffe
	s_wait_alu 0xfffe
	s_delay_alu instid0(SALU_CYCLE_2) | instskip(SKIP_1) | instid1(SALU_CYCLE_2)
	s_cvt_u32_f32 s3, s3
	s_wait_alu 0xfffe
	s_mul_i32 s4, s4, s3
	s_delay_alu instid0(SALU_CYCLE_1) | instskip(NEXT) | instid1(SALU_CYCLE_1)
	s_mul_hi_u32 s4, s3, s4
	s_add_co_i32 s3, s3, s4
	s_wait_alu 0xfffe
	s_mul_hi_u32 s3, s5, s3
	s_wait_alu 0xfffe
	s_mul_i32 s4, s3, s2
	s_add_co_i32 s6, s3, 1
	s_sub_co_i32 s4, s5, s4
	s_delay_alu instid0(SALU_CYCLE_1)
	s_sub_co_i32 s7, s4, s2
	s_cmp_ge_u32 s4, s2
	s_cselect_b32 s3, s6, s3
	s_cselect_b32 s4, s7, s4
	s_wait_alu 0xfffe
	s_add_co_i32 s6, s3, 1
	s_cmp_ge_u32 s4, s2
	s_cselect_b32 s2, s6, s3
	s_abs_i32 s3, s29
	s_abs_i32 s8, s23
	s_wait_alu 0xfffe
	s_cvt_f32_u32 s4, s3
	s_sub_co_i32 s6, 0, s3
	s_lshl_b32 s5, s5, 3
	s_mul_i32 s7, s2, s23
	v_rcp_iflag_f32_e32 v1, s4
	s_sub_co_i32 s33, s5, s7
	s_xor_b32 s5, s23, s29
	s_wait_alu 0xfffe
	s_ashr_i32 s24, s5, 31
	s_delay_alu instid0(TRANS32_DEP_1) | instskip(SKIP_2) | instid1(SALU_CYCLE_2)
	v_readfirstlane_b32 s4, v1
	s_mul_f32 s4, s4, 0x4f7ffffe
	s_wait_alu 0xfffe
	s_cvt_u32_f32 s4, s4
	s_wait_alu 0xfffe
	s_delay_alu instid0(SALU_CYCLE_2) | instskip(NEXT) | instid1(SALU_CYCLE_1)
	s_mul_i32 s6, s6, s4
	s_mul_hi_u32 s6, s4, s6
	s_delay_alu instid0(SALU_CYCLE_1) | instskip(SKIP_4) | instid1(SALU_CYCLE_1)
	s_add_co_i32 s4, s4, s6
	s_wait_alu 0xfffe
	s_mul_hi_u32 s4, s8, s4
	s_wait_alu 0xfffe
	s_mul_i32 s6, s4, s3
	s_sub_co_i32 s5, s8, s6
	s_add_co_i32 s6, s4, 1
	s_wait_alu 0xfffe
	s_sub_co_i32 s7, s5, s3
	s_cmp_ge_u32 s5, s3
	s_cselect_b32 s4, s6, s4
	s_cselect_b32 s5, s7, s5
	s_wait_alu 0xfffe
	s_add_co_i32 s6, s4, 1
	s_cmp_ge_u32 s5, s3
	s_cselect_b32 s3, s6, s4
	s_load_b512 s[4:19], s[0:1], 0x0
	s_xor_b32 s3, s3, s24
	s_wait_alu 0xfffe
	s_sub_co_i32 s38, s3, s24
	s_delay_alu instid0(SALU_CYCLE_1) | instskip(NEXT) | instid1(SALU_CYCLE_1)
	s_abs_i32 s29, s38
	s_cvt_f32_u32 s3, s29
	s_wait_alu 0xfffe
	s_delay_alu instid0(SALU_CYCLE_2) | instskip(SKIP_2) | instid1(TRANS32_DEP_1)
	v_rcp_iflag_f32_e32 v1, s3
	s_wait_kmcnt 0x0
	s_cmp_eq_u64 s[10:11], 0
	v_readfirstlane_b32 s27, v1
	s_cbranch_scc1 .LBB13_2
; %bb.1:
	s_abs_i32 s3, s36
	s_wait_alu 0xfffe
	s_cvt_f32_u32 s24, s3
	s_delay_alu instid0(SALU_CYCLE_3) | instskip(NEXT) | instid1(TRANS32_DEP_1)
	v_rcp_iflag_f32_e32 v1, s24
	v_readfirstlane_b32 s24, v1
	s_mul_f32 s24, s24, 0x4f7ffffe
	s_wait_alu 0xfffe
	s_delay_alu instid0(SALU_CYCLE_2) | instskip(SKIP_2) | instid1(SALU_CYCLE_1)
	s_cvt_u32_f32 s26, s24
	s_sub_co_i32 s24, 0, s3
	s_wait_alu 0xfffe
	s_mul_i32 s24, s24, s26
	s_wait_alu 0xfffe
	s_mul_hi_u32 s30, s26, s24
	s_load_b64 s[24:25], s[0:1], 0xc8
	s_add_co_i32 s26, s26, s30
	s_delay_alu instid0(SALU_CYCLE_1) | instskip(NEXT) | instid1(SALU_CYCLE_1)
	s_mul_hi_u32 s26, s2, s26
	s_mul_i32 s26, s26, s3
	s_delay_alu instid0(SALU_CYCLE_1) | instskip(NEXT) | instid1(SALU_CYCLE_1)
	s_sub_co_i32 s26, s2, s26
	s_sub_co_i32 s30, s26, s3
	s_cmp_ge_u32 s26, s3
	s_cselect_b32 s26, s30, s26
	s_delay_alu instid0(SALU_CYCLE_1) | instskip(SKIP_2) | instid1(SALU_CYCLE_1)
	s_sub_co_i32 s30, s26, s3
	s_cmp_ge_u32 s26, s3
	s_cselect_b32 s30, s30, s26
	s_ashr_i32 s31, s30, 31
	s_wait_kmcnt 0x0
	s_mul_u64 s[24:25], s[24:25], s[30:31]
	s_wait_alu 0xfffe
	s_add_nc_u64 s[30:31], s[10:11], s[24:25]
.LBB13_2:
	v_lshrrev_b32_e32 v1, 10, v0
	s_load_b96 s[24:26], s[0:1], 0x70
	v_bfe_u32 v4, v0, 10, 10
	s_delay_alu instid0(VALU_DEP_2) | instskip(NEXT) | instid1(VALU_DEP_2)
	v_bfe_u32 v1, v1, 2, 8
	v_lshlrev_b32_e32 v3, 1, v4
	s_delay_alu instid0(VALU_DEP_2) | instskip(NEXT) | instid1(VALU_DEP_2)
	v_add_nc_u32_e32 v1, ttmp9, v1
	v_and_b32_e32 v43, 6, v3
	v_or_b32_e32 v14, 1, v3
	s_delay_alu instid0(VALU_DEP_3) | instskip(NEXT) | instid1(VALU_DEP_2)
	v_mul_hi_u32 v2, s20, v1
	v_and_b32_e32 v15, 7, v14
	s_wait_kmcnt 0x0
	s_mul_i32 s10, s33, s25
	s_mov_b32 s20, s25
	s_delay_alu instid0(VALU_DEP_2) | instskip(SKIP_1) | instid1(VALU_DEP_1)
	v_add_nc_u32_e32 v2, v1, v2
	s_ashr_i32 s11, s10, 31
	v_lshrrev_b32_e32 v2, s21, v2
	s_ashr_i32 s21, s25, 31
	s_ashr_i32 s25, s24, 31
	s_wait_alu 0xfffe
	s_lshr_b64 s[40:41], s[24:25], 2
	v_mul_lo_u32 v2, v2, s22
	s_lshr_b32 s3, s25, 2
	s_delay_alu instid0(VALU_DEP_1) | instskip(NEXT) | instid1(VALU_DEP_1)
	v_sub_nc_u32_e32 v2, v1, v2
	v_mad_co_u64_u32 v[5:6], null, s40, v2, 0
	s_lshr_b64 s[40:41], s[20:21], 2
	s_mul_i32 s20, s2, s26
	s_wait_alu 0xfffe
	v_mad_co_u64_u32 v[7:8], null, s40, v43, 0
	v_mad_co_u64_u32 v[9:10], null, s40, v15, 0
	v_dual_mov_b32 v3, v6 :: v_dual_and_b32 v0, 0x3ff, v0
	s_delay_alu instid0(VALU_DEP_1) | instskip(NEXT) | instid1(VALU_DEP_4)
	v_mad_co_u64_u32 v[11:12], null, s3, v2, v[3:4]
	v_mov_b32_e32 v3, v8
	s_lshr_b32 s3, s21, 2
	s_delay_alu instid0(VALU_DEP_4)
	v_mov_b32_e32 v8, v10
	s_ashr_i32 s21, s20, 31
	s_cmp_eq_u64 s[14:15], 0
	s_wait_alu 0xfffe
	v_mad_co_u64_u32 v[12:13], null, s3, v43, v[3:4]
	v_mov_b32_e32 v6, v11
	s_add_nc_u64 s[4:5], s[4:5], s[20:21]
	v_mad_co_u64_u32 v[10:11], null, s3, v15, v[8:9]
	s_wait_alu 0xfffe
	s_add_nc_u64 s[4:5], s[4:5], s[10:11]
	v_lshlrev_b64_e32 v[5:6], 2, v[5:6]
	s_delay_alu instid0(VALU_DEP_4) | instskip(SKIP_1) | instid1(VALU_DEP_2)
	v_dual_mov_b32 v8, v12 :: v_dual_lshlrev_b32 v3, 3, v0
	s_load_b32 s3, s[0:1], 0x40
	v_add_co_u32 v11, vcc_lo, s4, v5
	s_delay_alu instid0(VALU_DEP_1) | instskip(NEXT) | instid1(VALU_DEP_3)
	v_add_co_ci_u32_e64 v12, null, s5, v6, vcc_lo
	v_lshlrev_b64_e32 v[5:6], 2, v[7:8]
	s_delay_alu instid0(VALU_DEP_3) | instskip(SKIP_3) | instid1(VALU_DEP_3)
	v_add_co_u32 v3, vcc_lo, v11, v3
	v_lshlrev_b64_e32 v[7:8], 2, v[9:10]
	s_wait_alu 0xfffd
	v_add_co_ci_u32_e64 v11, null, 0, v12, vcc_lo
	v_add_co_u32 v5, vcc_lo, v3, v5
	v_lshl_or_b32 v9, v0, 2, 0x5000
	s_wait_alu 0xfffd
	s_delay_alu instid0(VALU_DEP_3)
	v_add_co_ci_u32_e64 v6, null, v11, v6, vcc_lo
	v_add_co_u32 v7, vcc_lo, v3, v7
	s_wait_alu 0xfffd
	v_add_co_ci_u32_e64 v8, null, v11, v8, vcc_lo
	s_clause 0x1
	global_load_b64 v[5:6], v[5:6], off
	global_load_b64 v[7:8], v[7:8], off
	v_lshlrev_b32_e32 v3, 8, v4
	s_delay_alu instid0(VALU_DEP_1)
	v_add_nc_u32_e32 v10, v9, v3
	v_lshl_add_u32 v9, v14, 7, v9
	s_wait_loadcnt 0x1
	s_wait_kmcnt 0x0
	v_fma_mixlo_f16 v6, s3, v6, 0
	v_fma_mixlo_f16 v5, s3, v5, 0
	s_wait_loadcnt 0x0
	v_fma_mixlo_f16 v8, s3, v8, 0
	v_fma_mixlo_f16 v7, s3, v7, 0
	v_lshlrev_b32_e32 v6, 16, v6
	v_and_b32_e32 v5, 0xffff, v5
	s_delay_alu instid0(VALU_DEP_4) | instskip(NEXT) | instid1(VALU_DEP_4)
	v_lshlrev_b32_e32 v8, 16, v8
	v_and_b32_e32 v7, 0xffff, v7
	s_delay_alu instid0(VALU_DEP_3) | instskip(NEXT) | instid1(VALU_DEP_2)
	v_or_b32_e32 v5, v6, v5
	v_or_b32_e32 v6, v8, v7
	ds_store_b32 v10, v5
	ds_store_b32 v9, v6
	s_wait_dscnt 0x0
	s_barrier_signal -1
	s_barrier_wait -1
	global_inv scope:SCOPE_SE
	s_cbranch_scc1 .LBB13_4
; %bb.3:
	s_load_b32 s3, s[0:1], 0xd0
	s_mov_b32 s5, 0
	s_wait_kmcnt 0x0
	s_mul_i32 s3, s3, s2
	s_wait_alu 0xfffe
	s_add_co_i32 s4, s3, ttmp9
	s_wait_alu 0xfffe
	s_lshl_b64 s[4:5], s[4:5], 2
	s_wait_alu 0xfffe
	s_add_nc_u64 s[4:5], s[14:15], s[4:5]
	s_load_b32 s28, s[4:5], 0x0
.LBB13_4:
	s_and_b32 s4, ttmp7, 0xffff
	v_mbcnt_lo_u32_b32 v44, -1, 0
	s_wait_alu 0xfffe
	s_lshl_b32 s10, s4, 7
	s_wait_kmcnt 0x0
	s_cmp_lt_i32 s10, s28
	s_cbranch_scc1 .LBB13_7
; %bb.5:
	v_mbcnt_lo_u32_b32 v5, -1, 0
	v_mov_b32_e32 v46, 32
	s_delay_alu instid0(VALU_DEP_2)
	v_xor_b32_e32 v53, 16, v5
	v_xor_b32_e32 v52, 8, v5
	;; [unrolled: 1-line block ×5, first 2 shown]
	s_mov_b32 s3, 0
	s_cbranch_execz .LBB13_8
; %bb.6:
	v_dual_mov_b32 v91, 0 :: v_dual_mov_b32 v64, 0
	v_dual_mov_b32 v36, 0xfeffffff :: v_dual_mov_b32 v35, 0xfeffffff
	;; [unrolled: 1-line block ×3, first 2 shown]
	s_branch .LBB13_11
.LBB13_7:
                                        ; implicit-def: $vgpr5
                                        ; implicit-def: $vgpr46
                                        ; implicit-def: $vgpr53
                                        ; implicit-def: $vgpr52
                                        ; implicit-def: $vgpr51
                                        ; implicit-def: $vgpr50
                                        ; implicit-def: $vgpr48
	s_mov_b32 s3, 0
.LBB13_8:
	s_mul_f32 s5, s27, 0x4f7ffffe
	s_clause 0x1
	s_load_b128 s[24:27], s[0:1], 0x98
	s_load_b64 s[20:21], s[0:1], 0x8c
	s_sub_co_i32 s11, 0, s29
	s_abs_i32 s34, s33
	s_cvt_u32_f32 s5, s5
	s_mov_b32 s15, s35
	s_ashr_i32 s36, s33, 31
	s_ashr_i32 s40, s38, 31
	s_wait_alu 0xfffe
	s_mul_i32 s11, s11, s5
	s_load_b64 s[38:39], s[0:1], 0xa8
	s_mul_hi_u32 s11, s5, s11
	v_lshrrev_b32_e32 v5, 3, v0
	s_add_co_i32 s14, s5, s11
	s_ashr_i32 s5, s37, 1
	s_mul_u64 s[14:15], s[34:35], s[14:15]
	s_xor_b32 s11, s36, s40
	s_mul_i32 s35, s15, s29
	s_add_co_i32 s36, s15, 1
	v_lshl_add_u32 v20, v4, 2, v5
	v_dual_mov_b32 v90, 0 :: v_dual_lshlrev_b32 v45, 2, v0
	s_wait_kmcnt 0x0
	s_ashr_i32 s14, s26, 2
	s_sub_co_i32 s26, s34, s35
	s_ashr_i32 s20, s20, 2
	s_sub_co_i32 s34, s26, s29
	s_cmp_ge_u32 s26, s29
	s_wait_alu 0xfffe
	v_mul_lo_u32 v5, s20, v20
	s_cselect_b32 s15, s36, s15
	s_cselect_b32 s26, s34, s26
	s_add_co_i32 s34, s15, 1
	s_cmp_ge_u32 s26, s29
	s_mul_u64 s[24:25], s[24:25], s[2:3]
	s_cselect_b32 s15, s34, s15
	v_mul_lo_u32 v19, s14, v20
	s_xor_b32 s15, s15, s11
	s_wait_alu 0xfffe
	s_add_nc_u64 s[6:7], s[6:7], s[24:25]
	s_sub_co_i32 s11, s15, s11
	s_lshl_b32 s15, s20, 4
	s_mul_i32 s24, s11, s21
	s_wait_alu 0xfffe
	v_dual_mov_b32 v46, 32 :: v_dual_add_nc_u32 v7, s15, v5
	s_ashr_i32 s25, s24, 31
	v_dual_mov_b32 v35, 0xfeffffff :: v_dual_and_b32 v38, 28, v45
	s_wait_alu 0xfffe
	s_add_nc_u64 s[6:7], s[6:7], s[24:25]
	s_mul_u64 s[24:25], s[38:39], s[2:3]
	s_lshl_b32 s3, s14, 4
	v_add_nc_u32_e32 v9, s15, v7
	s_wait_alu 0xfffe
	v_dual_mov_b32 v64, 0 :: v_dual_add_nc_u32 v21, s3, v19
	v_dual_mov_b32 v91, 0 :: v_dual_lshlrev_b32 v22, 2, v38
	s_delay_alu instid0(VALU_DEP_3) | instskip(NEXT) | instid1(VALU_DEP_3)
	v_add_nc_u32_e32 v11, s15, v9
	v_add_nc_u32_e32 v23, s3, v21
	v_ashrrev_i32_e32 v6, 31, v5
	s_delay_alu instid0(VALU_DEP_4)
	v_mad_u32_u24 v47, 0x90, v20, v22
	v_ashrrev_i32_e32 v8, 31, v7
	v_add_nc_u32_e32 v13, s15, v11
	v_add_nc_u32_e32 v27, s3, v23
	v_ashrrev_i32_e32 v10, 31, v9
	v_ashrrev_i32_e32 v12, 31, v11
	v_lshl_or_b32 v62, v20, 7, v22
	v_add_nc_u32_e32 v15, s15, v13
	v_add_nc_u32_e32 v29, s3, v27
	v_ashrrev_i32_e32 v14, 31, v13
	v_ashrrev_i32_e32 v20, 31, v19
	v_ashrrev_i32_e32 v22, 31, v21
	v_add_nc_u32_e32 v17, s15, v15
	v_add_nc_u32_e32 v31, s3, v29
	v_ashrrev_i32_e32 v16, 31, v15
	v_ashrrev_i32_e32 v24, 31, v23
	v_ashrrev_i32_e32 v28, 31, v27
	;; [unrolled: 5-line block ×3, first 2 shown]
	v_ashrrev_i32_e32 v26, 31, v25
	v_add_nc_u32_e32 v36, s3, v33
	v_ashrrev_i32_e32 v34, 31, v33
	v_lshl_add_u32 v63, v4, 9, 0x4800
	v_add_nc_u32_e32 v60, 0x5000, v3
	v_mad_co_u64_u32 v[2:3], null, v2, s5, v[0:1]
	v_ashrrev_i32_e32 v37, 31, v36
	s_mul_i32 s26, s11, s27
	v_lshlrev_b64_e32 v[3:4], 2, v[5:6]
	v_lshlrev_b64_e32 v[5:6], 2, v[7:8]
	;; [unrolled: 1-line block ×16, first 2 shown]
	v_add_nc_u32_e32 v49, 0x900, v47
	v_dual_mov_b32 v89, 0 :: v_dual_add_nc_u32 v54, 0x1200, v47
	v_add_nc_u32_e32 v55, 0x1b00, v47
	v_add_nc_u32_e32 v56, 0x2400, v47
	;; [unrolled: 1-line block ×5, first 2 shown]
	v_mul_u32_u24_e32 v61, 0x90, v0
	v_add_nc_u32_e32 v65, 0x800, v62
	v_add_nc_u32_e32 v66, 0x1000, v62
	;; [unrolled: 1-line block ×7, first 2 shown]
	v_lshlrev_b32_e32 v72, 2, v38
	v_xor_b32_e32 v53, 16, v44
	v_xor_b32_e32 v52, 8, v44
	;; [unrolled: 1-line block ×5, first 2 shown]
	v_add_nc_u32_e32 v73, v63, v45
	v_add_nc_u32_e32 v74, 0x400, v45
	;; [unrolled: 1-line block ×16, first 2 shown]
	v_mov_b32_e32 v36, 0xfeffffff
	s_add_nc_u64 s[8:9], s[8:9], s[24:25]
	s_ashr_i32 s27, s26, 31
	s_ashr_i32 s21, s20, 31
	s_add_nc_u64 s[8:9], s[8:9], s[26:27]
	s_ashr_i32 s15, s14, 31
	s_add_nc_u64 s[24:25], s[0:1], 0xd0
.LBB13_9:                               ; =>This Inner Loop Header: Depth=1
	s_ashr_i32 s11, s10, 31
	v_mov_b32_e32 v39, v35
	s_wait_alu 0xfffe
	s_mul_u64 s[26:27], s[10:11], s[20:21]
	v_dual_mov_b32 v38, v89 :: v_dual_mov_b32 v37, v36
	s_wait_alu 0xfffe
	s_lshl_b64 s[26:27], s[26:27], 2
	v_mov_b32_e32 v89, 0
	s_wait_alu 0xfffe
	s_add_nc_u64 s[26:27], s[6:7], s[26:27]
	v_dual_mov_b32 v41, 0 :: v_dual_mov_b32 v42, 0
	s_wait_alu 0xfffe
	v_add_co_u32 v35, vcc_lo, s26, v3
	s_wait_alu 0xfffd
	v_add_co_ci_u32_e64 v36, null, s27, v4, vcc_lo
	v_mov_b32_e32 v40, 0
	s_delay_alu instid0(VALU_DEP_3) | instskip(SKIP_1) | instid1(VALU_DEP_3)
	v_add_co_u32 v35, vcc_lo, v35, v72
	s_wait_alu 0xfffd
	v_add_co_ci_u32_e64 v36, null, 0, v36, vcc_lo
	global_load_b128 v[92:95], v[35:36], off
	v_add_co_u32 v35, vcc_lo, s26, v5
	s_wait_alu 0xfffd
	v_add_co_ci_u32_e64 v36, null, s27, v6, vcc_lo
	s_delay_alu instid0(VALU_DEP_2) | instskip(SKIP_1) | instid1(VALU_DEP_2)
	v_add_co_u32 v35, vcc_lo, v35, v72
	s_wait_alu 0xfffd
	v_add_co_ci_u32_e64 v36, null, 0, v36, vcc_lo
	s_wait_loadcnt 0x0
	ds_store_b128 v47, v[92:95]
	global_load_b128 v[92:95], v[35:36], off
	v_add_co_u32 v35, vcc_lo, s26, v7
	s_wait_alu 0xfffd
	v_add_co_ci_u32_e64 v36, null, s27, v8, vcc_lo
	s_delay_alu instid0(VALU_DEP_2) | instskip(SKIP_1) | instid1(VALU_DEP_2)
	v_add_co_u32 v35, vcc_lo, v35, v72
	s_wait_alu 0xfffd
	v_add_co_ci_u32_e64 v36, null, 0, v36, vcc_lo
	s_wait_loadcnt 0x0
	ds_store_b128 v49, v[92:95]
	;; [unrolled: 10-line block ×6, first 2 shown]
	global_load_b128 v[92:95], v[35:36], off
	v_add_co_u32 v35, vcc_lo, s26, v17
	s_wait_alu 0xfffd
	v_add_co_ci_u32_e64 v36, null, s27, v18, vcc_lo
	s_mul_u64 s[26:27], s[10:11], s[14:15]
	v_add_co_u32 v35, vcc_lo, v35, v72
	s_wait_alu 0xfffd
	v_add_co_ci_u32_e64 v36, null, 0, v36, vcc_lo
	v_cmp_gt_i32_e32 vcc_lo, 32, v53
	s_wait_alu 0xfffe
	s_lshl_b64 s[26:27], s[26:27], 2
	s_wait_alu 0xfffe
	s_add_nc_u64 s[26:27], s[8:9], s[26:27]
	s_wait_loadcnt 0x0
	ds_store_b128 v58, v[92:95]
	global_load_b128 v[92:95], v[35:36], off
	v_dual_mov_b32 v35, 0 :: v_dual_mov_b32 v36, 0
	s_wait_loadcnt 0x0
	ds_store_b128 v59, v[92:95]
	s_wait_dscnt 0x0
	s_barrier_signal -1
	s_barrier_wait -1
	global_inv scope:SCOPE_SE
	ds_load_b128 v[92:95], v61
	ds_load_b128 v[96:99], v61 offset:4608
	ds_load_b128 v[100:103], v61 offset:9216
	;; [unrolled: 1-line block ×3, first 2 shown]
	ds_load_b128 v[108:111], v60
	ds_load_b128 v[112:115], v60 offset:128
	s_wait_dscnt 0x1
	;;#ASMSTART
	v_dot2_f32_f16 v35, v92, v108, v35
	;;#ASMEND
	;;#ASMSTART
	v_dot2_f32_f16 v35, v93, v109, v35
	;;#ASMEND
	;; [unrolled: 3-line block ×4, first 2 shown]
	s_wait_dscnt 0x0
	;;#ASMSTART
	v_dot2_f32_f16 v36, v92, v112, v36
	;;#ASMEND
	;;#ASMSTART
	v_dot2_f32_f16 v36, v93, v113, v36
	;;#ASMEND
	;; [unrolled: 3-line block ×4, first 2 shown]
	v_mov_b32_e32 v92, 0
	;;#ASMSTART
	v_dot2_f32_f16 v89, v96, v108, v89
	;;#ASMEND
	;;#ASMSTART
	v_dot2_f32_f16 v89, v97, v109, v89
	;;#ASMEND
	;; [unrolled: 3-line block ×15, first 2 shown]
	v_mov_b32_e32 v93, 0
	;;#ASMSTART
	v_dot2_f32_f16 v41, v103, v115, v41
	;;#ASMEND
	;;#ASMSTART
	v_dot2_f32_f16 v93, v104, v108, v93
	;;#ASMEND
	;; [unrolled: 3-line block ×9, first 2 shown]
	ds_load_b128 v[94:97], v61 offset:16
	ds_load_b128 v[98:101], v61 offset:4624
	;; [unrolled: 1-line block ×6, first 2 shown]
	s_wait_dscnt 0x1
	;;#ASMSTART
	v_dot2_f32_f16 v35, v94, v110, v35
	;;#ASMEND
	;;#ASMSTART
	v_dot2_f32_f16 v35, v95, v111, v35
	;;#ASMEND
	;; [unrolled: 3-line block ×4, first 2 shown]
	s_wait_dscnt 0x0
	;;#ASMSTART
	v_dot2_f32_f16 v36, v94, v114, v36
	;;#ASMEND
	;;#ASMSTART
	v_dot2_f32_f16 v36, v95, v115, v36
	;;#ASMEND
	;; [unrolled: 3-line block ×28, first 2 shown]
	ds_load_b128 v[94:97], v61 offset:32
	ds_load_b128 v[98:101], v61 offset:4640
	;; [unrolled: 1-line block ×6, first 2 shown]
	s_wait_dscnt 0x1
	;;#ASMSTART
	v_dot2_f32_f16 v35, v94, v110, v35
	;;#ASMEND
	;;#ASMSTART
	v_dot2_f32_f16 v35, v95, v111, v35
	;;#ASMEND
	;; [unrolled: 3-line block ×4, first 2 shown]
	s_wait_dscnt 0x0
	;;#ASMSTART
	v_dot2_f32_f16 v36, v94, v114, v36
	;;#ASMEND
	;;#ASMSTART
	v_dot2_f32_f16 v36, v95, v115, v36
	;;#ASMEND
	;; [unrolled: 3-line block ×28, first 2 shown]
	ds_load_b128 v[94:97], v61 offset:48
	ds_load_b128 v[98:101], v61 offset:4656
	;; [unrolled: 1-line block ×6, first 2 shown]
	s_wait_dscnt 0x1
	;;#ASMSTART
	v_dot2_f32_f16 v35, v94, v110, v35
	;;#ASMEND
	;;#ASMSTART
	v_dot2_f32_f16 v35, v95, v111, v35
	;;#ASMEND
	;; [unrolled: 3-line block ×4, first 2 shown]
	s_wait_dscnt 0x0
	;;#ASMSTART
	v_dot2_f32_f16 v36, v94, v114, v36
	;;#ASMEND
	;;#ASMSTART
	v_dot2_f32_f16 v36, v95, v115, v36
	;;#ASMEND
	;; [unrolled: 3-line block ×28, first 2 shown]
	ds_load_b128 v[94:97], v61 offset:64
	ds_load_b128 v[98:101], v61 offset:4672
	ds_load_b128 v[102:105], v61 offset:9280
	ds_load_b128 v[106:109], v61 offset:13888
	ds_load_b128 v[110:113], v60 offset:64
	ds_load_b128 v[114:117], v60 offset:192
	s_wait_dscnt 0x1
	;;#ASMSTART
	v_dot2_f32_f16 v35, v94, v110, v35
	;;#ASMEND
	;;#ASMSTART
	v_dot2_f32_f16 v35, v95, v111, v35
	;;#ASMEND
	;; [unrolled: 3-line block ×4, first 2 shown]
	s_wait_dscnt 0x0
	;;#ASMSTART
	v_dot2_f32_f16 v36, v94, v114, v36
	;;#ASMEND
	;;#ASMSTART
	v_dot2_f32_f16 v36, v95, v115, v36
	;;#ASMEND
	;; [unrolled: 3-line block ×28, first 2 shown]
	ds_load_b128 v[94:97], v61 offset:80
	ds_load_b128 v[98:101], v61 offset:4688
	;; [unrolled: 1-line block ×6, first 2 shown]
	s_wait_dscnt 0x1
	;;#ASMSTART
	v_dot2_f32_f16 v35, v94, v110, v35
	;;#ASMEND
	;;#ASMSTART
	v_dot2_f32_f16 v35, v95, v111, v35
	;;#ASMEND
	;; [unrolled: 3-line block ×4, first 2 shown]
	s_wait_dscnt 0x0
	;;#ASMSTART
	v_dot2_f32_f16 v36, v94, v114, v36
	;;#ASMEND
	;;#ASMSTART
	v_dot2_f32_f16 v36, v95, v115, v36
	;;#ASMEND
	;; [unrolled: 3-line block ×28, first 2 shown]
	ds_load_b128 v[94:97], v61 offset:96
	ds_load_b128 v[98:101], v61 offset:4704
	;; [unrolled: 1-line block ×6, first 2 shown]
	s_wait_dscnt 0x1
	;;#ASMSTART
	v_dot2_f32_f16 v35, v94, v110, v35
	;;#ASMEND
	;;#ASMSTART
	v_dot2_f32_f16 v35, v95, v111, v35
	;;#ASMEND
	;; [unrolled: 3-line block ×4, first 2 shown]
	s_wait_dscnt 0x0
	;;#ASMSTART
	v_dot2_f32_f16 v36, v94, v114, v36
	;;#ASMEND
	;;#ASMSTART
	v_dot2_f32_f16 v36, v95, v115, v36
	;;#ASMEND
	;; [unrolled: 3-line block ×28, first 2 shown]
	ds_load_b128 v[94:97], v61 offset:112
	ds_load_b128 v[98:101], v61 offset:4720
	;; [unrolled: 1-line block ×6, first 2 shown]
	s_wait_dscnt 0x1
	;;#ASMSTART
	v_dot2_f32_f16 v35, v94, v110, v35
	;;#ASMEND
	;;#ASMSTART
	v_dot2_f32_f16 v35, v95, v111, v35
	;;#ASMEND
	;; [unrolled: 3-line block ×4, first 2 shown]
	s_wait_dscnt 0x0
	;;#ASMSTART
	v_dot2_f32_f16 v36, v94, v114, v36
	;;#ASMEND
	;;#ASMSTART
	v_dot2_f32_f16 v36, v95, v115, v36
	;;#ASMEND
	;; [unrolled: 3-line block ×28, first 2 shown]
	s_wait_alu 0xfffd
	v_cndmask_b32_e32 v95, v44, v53, vcc_lo
	v_cmp_gt_i32_e32 vcc_lo, 32, v52
	v_add_nc_u32_e32 v94, s10, v2
	s_wait_alu 0xfffd
	s_delay_alu instid0(VALU_DEP_3) | instskip(SKIP_1) | instid1(VALU_DEP_2)
	v_dual_cndmask_b32 v95, v44, v52 :: v_dual_lshlrev_b32 v96, 2, v95
	v_cmp_gt_i32_e32 vcc_lo, 32, v51
	v_lshlrev_b32_e32 v97, 2, v95
	s_wait_alu 0xfffd
	v_cndmask_b32_e32 v95, v44, v51, vcc_lo
	v_cmp_gt_i32_e32 vcc_lo, 32, v50
	s_wait_alu 0xfffd
	s_delay_alu instid0(VALU_DEP_2) | instskip(SKIP_1) | instid1(VALU_DEP_2)
	v_dual_cndmask_b32 v95, v44, v50 :: v_dual_lshlrev_b32 v98, 2, v95
	v_cmp_gt_i32_e32 vcc_lo, 32, v48
	v_lshlrev_b32_e32 v99, 2, v95
	s_wait_alu 0xfffd
	v_cndmask_b32_e32 v95, v44, v48, vcc_lo
	s_delay_alu instid0(VALU_DEP_1) | instskip(SKIP_1) | instid1(VALU_DEP_1)
	v_lshlrev_b32_e32 v100, 2, v95
	v_ashrrev_i32_e32 v95, 31, v94
	v_lshlrev_b64_e32 v[94:95], 1, v[94:95]
	s_delay_alu instid0(VALU_DEP_1) | instskip(SKIP_1) | instid1(VALU_DEP_2)
	v_add_co_u32 v94, vcc_lo, s30, v94
	s_wait_alu 0xfffd
	v_add_co_ci_u32_e64 v95, null, s31, v95, vcc_lo
	s_clause 0x1
	global_load_u16 v101, v[94:95], off
	global_load_u16 v103, v[94:95], off offset:64
	s_wait_loadcnt 0x1
	v_cvt_f32_f16_e32 v101, v101
	s_wait_loadcnt 0x0
	v_cvt_f32_f16_e32 v103, v103
	s_delay_alu instid0(VALU_DEP_1) | instskip(NEXT) | instid1(VALU_DEP_1)
	v_dual_add_f32 v102, v35, v101 :: v_dual_add_f32 v89, v89, v103
	v_dual_add_f32 v35, 0x40051340, v102 :: v_dual_add_f32 v104, 0x40051340, v89
	s_delay_alu instid0(VALU_DEP_1)
	v_max3_num_f32 v35, v39, v35, v104
	s_clause 0x1
	global_load_u16 v104, v[94:95], off offset:128
	global_load_u16 v94, v[94:95], off offset:192
	s_wait_loadcnt 0x0
	s_barrier_signal -1
	s_barrier_wait -1
	global_inv scope:SCOPE_SE
	v_cvt_f32_f16_e32 v104, v104
	v_cvt_f32_f16_e32 v94, v94
	s_delay_alu instid0(VALU_DEP_1) | instskip(SKIP_1) | instid1(VALU_DEP_2)
	v_dual_add_f32 v92, v92, v104 :: v_dual_add_f32 v93, v93, v94
	v_dual_add_f32 v42, v42, v94 :: v_dual_add_f32 v41, v41, v104
	v_add_f32_e32 v105, 0x40051340, v92
	s_delay_alu instid0(VALU_DEP_2) | instskip(NEXT) | instid1(VALU_DEP_1)
	v_dual_add_f32 v95, 0x40051340, v93 :: v_dual_add_f32 v94, 0x40051340, v42
	v_max3_num_f32 v35, v35, v105, v95
	ds_bpermute_b32 v95, v96, v35
	s_wait_dscnt 0x0
	v_max_num_f32_e32 v95, v95, v95
	s_delay_alu instid0(VALU_DEP_1) | instskip(SKIP_3) | instid1(VALU_DEP_1)
	v_max_num_f32_e32 v35, v35, v95
	ds_bpermute_b32 v95, v97, v35
	s_wait_dscnt 0x0
	v_max_num_f32_e32 v95, v95, v95
	v_max_num_f32_e32 v35, v35, v95
	ds_bpermute_b32 v95, v98, v35
	s_wait_dscnt 0x0
	v_max_num_f32_e32 v95, v95, v95
	s_delay_alu instid0(VALU_DEP_1) | instskip(SKIP_3) | instid1(VALU_DEP_1)
	v_max_num_f32_e32 v35, v35, v95
	ds_bpermute_b32 v95, v99, v35
	s_wait_dscnt 0x0
	v_max_num_f32_e32 v95, v95, v95
	v_max_num_f32_e32 v35, v35, v95
	ds_bpermute_b32 v95, v100, v35
	s_wait_dscnt 0x0
	v_max_num_f32_e32 v95, v95, v95
	s_delay_alu instid0(VALU_DEP_1) | instskip(SKIP_2) | instid1(VALU_DEP_2)
	v_max_num_f32_e32 v35, v35, v95
	v_add_f32_e32 v95, v36, v101
	v_add_f32_e32 v101, v40, v103
	;; [unrolled: 1-line block ×3, first 2 shown]
	s_delay_alu instid0(VALU_DEP_2) | instskip(NEXT) | instid1(VALU_DEP_1)
	v_add_f32_e32 v40, 0x40051340, v101
	v_max3_num_f32 v36, v37, v36, v40
	v_add_f32_e32 v40, 0x40051340, v41
	s_delay_alu instid0(VALU_DEP_1)
	v_max3_num_f32 v36, v36, v40, v94
	v_sub_f32_e32 v94, v39, v35
	v_sub_f32_e32 v39, v102, v35
	ds_bpermute_b32 v40, v96, v36
	s_wait_dscnt 0x0
	v_max_num_f32_e32 v40, v40, v40
	s_delay_alu instid0(VALU_DEP_1) | instskip(SKIP_3) | instid1(VALU_DEP_1)
	v_max_num_f32_e32 v36, v36, v40
	ds_bpermute_b32 v40, v97, v36
	s_wait_dscnt 0x0
	v_max_num_f32_e32 v40, v40, v40
	v_max_num_f32_e32 v36, v36, v40
	ds_bpermute_b32 v40, v98, v36
	s_wait_dscnt 0x0
	v_max_num_f32_e32 v40, v40, v40
	s_delay_alu instid0(VALU_DEP_1) | instskip(SKIP_3) | instid1(VALU_DEP_1)
	v_max_num_f32_e32 v36, v36, v40
	ds_bpermute_b32 v40, v99, v36
	s_wait_dscnt 0x0
	v_max_num_f32_e32 v40, v40, v40
	v_max_num_f32_e32 v36, v36, v40
	ds_bpermute_b32 v40, v100, v36
	s_wait_dscnt 0x0
	v_max_num_f32_e32 v40, v40, v40
	s_delay_alu instid0(VALU_DEP_1) | instskip(NEXT) | instid1(VALU_DEP_1)
	v_max_num_f32_e32 v36, v36, v40
	v_dual_mul_f32 v40, 0x3fb8aa3b, v39 :: v_dual_sub_f32 v37, v37, v36
	s_delay_alu instid0(VALU_DEP_1) | instskip(SKIP_2) | instid1(VALU_DEP_3)
	v_fma_f32 v96, 0x3fb8aa3b, v39, -v40
	v_rndne_f32_e32 v97, v40
	v_sub_f32_e32 v42, v42, v36
	v_dual_sub_f32 v41, v41, v36 :: v_dual_fmac_f32 v96, 0x32a5705f, v39
	s_delay_alu instid0(VALU_DEP_3) | instskip(NEXT) | instid1(VALU_DEP_1)
	v_sub_f32_e32 v40, v40, v97
	v_add_f32_e32 v40, v40, v96
	v_cvt_i32_f32_e32 v96, v97
	v_cmp_ngt_f32_e32 vcc_lo, 0xc2ce8ed0, v39
	s_delay_alu instid0(VALU_DEP_3) | instskip(NEXT) | instid1(TRANS32_DEP_1)
	v_exp_f32_e32 v40, v40
	v_ldexp_f32 v40, v40, v96
	s_wait_alu 0xfffd
	s_delay_alu instid0(VALU_DEP_1) | instskip(SKIP_2) | instid1(VALU_DEP_2)
	v_cndmask_b32_e32 v40, 0, v40, vcc_lo
	v_cmp_nlt_f32_e32 vcc_lo, 0x42b17218, v39
	s_wait_alu 0xfffd
	v_dual_cndmask_b32 v39, 0x7f800000, v40 :: v_dual_sub_f32 v40, v89, v35
	s_delay_alu instid0(VALU_DEP_1) | instskip(NEXT) | instid1(VALU_DEP_2)
	v_cvt_f16_f32_e32 v96, v39
	v_mul_f32_e32 v89, 0x3fb8aa3b, v40
	v_cmp_ngt_f32_e32 vcc_lo, 0xc2ce8ed0, v40
	s_delay_alu instid0(VALU_DEP_2) | instskip(SKIP_1) | instid1(VALU_DEP_2)
	v_fma_f32 v97, 0x3fb8aa3b, v40, -v89
	v_rndne_f32_e32 v98, v89
	v_fmac_f32_e32 v97, 0x32a5705f, v40
	s_delay_alu instid0(VALU_DEP_2) | instskip(NEXT) | instid1(VALU_DEP_1)
	v_sub_f32_e32 v89, v89, v98
	v_add_f32_e32 v89, v89, v97
	v_cvt_i32_f32_e32 v97, v98
	s_delay_alu instid0(VALU_DEP_2) | instskip(NEXT) | instid1(TRANS32_DEP_1)
	v_exp_f32_e32 v89, v89
	v_ldexp_f32 v89, v89, v97
	s_wait_alu 0xfffd
	s_delay_alu instid0(VALU_DEP_1) | instskip(SKIP_2) | instid1(VALU_DEP_2)
	v_cndmask_b32_e32 v89, 0, v89, vcc_lo
	v_cmp_nlt_f32_e32 vcc_lo, 0x42b17218, v40
	s_wait_alu 0xfffd
	v_cndmask_b32_e32 v40, 0x7f800000, v89, vcc_lo
	s_delay_alu instid0(VALU_DEP_1) | instskip(SKIP_2) | instid1(VALU_DEP_1)
	v_add_f32_e32 v39, v39, v40
	v_cvt_f16_f32_e32 v97, v40
	v_sub_f32_e32 v40, v92, v35
	v_mul_f32_e32 v89, 0x3fb8aa3b, v40
	v_cmp_ngt_f32_e32 vcc_lo, 0xc2ce8ed0, v40
	s_delay_alu instid0(VALU_DEP_2) | instskip(SKIP_1) | instid1(VALU_DEP_1)
	v_fma_f32 v92, 0x3fb8aa3b, v40, -v89
	v_rndne_f32_e32 v98, v89
	v_dual_fmac_f32 v92, 0x32a5705f, v40 :: v_dual_sub_f32 v89, v89, v98
	s_delay_alu instid0(VALU_DEP_1) | instskip(SKIP_1) | instid1(VALU_DEP_2)
	v_add_f32_e32 v89, v89, v92
	v_cvt_i32_f32_e32 v92, v98
	v_exp_f32_e32 v89, v89
	s_delay_alu instid0(TRANS32_DEP_1) | instskip(SKIP_1) | instid1(VALU_DEP_1)
	v_ldexp_f32 v89, v89, v92
	s_wait_alu 0xfffd
	v_cndmask_b32_e32 v89, 0, v89, vcc_lo
	v_cmp_nlt_f32_e32 vcc_lo, 0x42b17218, v40
	s_wait_alu 0xfffd
	s_delay_alu instid0(VALU_DEP_2) | instskip(NEXT) | instid1(VALU_DEP_1)
	v_cndmask_b32_e32 v40, 0x7f800000, v89, vcc_lo
	v_add_f32_e32 v89, v40, v39
	v_cvt_f16_f32_e32 v39, v40
	v_sub_f32_e32 v40, v93, v35
	s_delay_alu instid0(VALU_DEP_1) | instskip(SKIP_1) | instid1(VALU_DEP_2)
	v_mul_f32_e32 v92, 0x3fb8aa3b, v40
	v_cmp_ngt_f32_e32 vcc_lo, 0xc2ce8ed0, v40
	v_fma_f32 v93, 0x3fb8aa3b, v40, -v92
	v_rndne_f32_e32 v98, v92
	s_delay_alu instid0(VALU_DEP_1) | instskip(NEXT) | instid1(VALU_DEP_1)
	v_dual_fmac_f32 v93, 0x32a5705f, v40 :: v_dual_sub_f32 v92, v92, v98
	v_add_f32_e32 v92, v92, v93
	v_cvt_i32_f32_e32 v93, v98
	s_delay_alu instid0(VALU_DEP_2) | instskip(NEXT) | instid1(TRANS32_DEP_1)
	v_exp_f32_e32 v92, v92
	v_ldexp_f32 v92, v92, v93
	s_wait_alu 0xfffd
	s_delay_alu instid0(VALU_DEP_1) | instskip(SKIP_2) | instid1(VALU_DEP_2)
	v_cndmask_b32_e32 v92, 0, v92, vcc_lo
	v_cmp_nlt_f32_e32 vcc_lo, 0x42b17218, v40
	s_wait_alu 0xfffd
	v_cndmask_b32_e32 v40, 0x7f800000, v92, vcc_lo
	v_mul_f32_e32 v92, 0x3fb8aa3b, v94
	v_cmp_ngt_f32_e32 vcc_lo, 0xc2ce8ed0, v94
	s_delay_alu instid0(VALU_DEP_3) | instskip(NEXT) | instid1(VALU_DEP_3)
	v_add_f32_e32 v89, v40, v89
	v_fma_f32 v93, 0x3fb8aa3b, v94, -v92
	v_rndne_f32_e32 v98, v92
	v_cvt_f16_f32_e32 v40, v40
	s_delay_alu instid0(VALU_DEP_3) | instskip(NEXT) | instid1(VALU_DEP_3)
	v_fmac_f32_e32 v93, 0x32a5705f, v94
	v_sub_f32_e32 v92, v92, v98
	s_delay_alu instid0(VALU_DEP_1) | instskip(SKIP_1) | instid1(VALU_DEP_2)
	v_add_f32_e32 v92, v92, v93
	v_cvt_i32_f32_e32 v93, v98
	v_exp_f32_e32 v92, v92
	s_delay_alu instid0(TRANS32_DEP_1) | instskip(SKIP_1) | instid1(VALU_DEP_1)
	v_ldexp_f32 v92, v92, v93
	s_wait_alu 0xfffd
	v_cndmask_b32_e32 v92, 0, v92, vcc_lo
	v_cmp_nlt_f32_e32 vcc_lo, 0x42b17218, v94
	s_wait_alu 0xfffd
	s_delay_alu instid0(VALU_DEP_2) | instskip(NEXT) | instid1(VALU_DEP_1)
	v_cndmask_b32_e32 v92, 0x7f800000, v92, vcc_lo
	v_fmac_f32_e32 v89, v38, v92
	v_cvt_f16_f32_e32 v38, v92
	s_delay_alu instid0(VALU_DEP_1) | instskip(NEXT) | instid1(VALU_DEP_1)
	v_and_b32_e32 v38, 0xffff, v38
	v_mul_u32_u24_e32 v92, 0x10001, v38
	v_sub_f32_e32 v38, v95, v36
	s_delay_alu instid0(VALU_DEP_1) | instskip(NEXT) | instid1(VALU_DEP_1)
	v_mul_f32_e32 v93, 0x3fb8aa3b, v38
	v_fma_f32 v94, 0x3fb8aa3b, v38, -v93
	v_rndne_f32_e32 v95, v93
	s_delay_alu instid0(VALU_DEP_1) | instskip(NEXT) | instid1(VALU_DEP_1)
	v_dual_fmac_f32 v94, 0x32a5705f, v38 :: v_dual_sub_f32 v93, v93, v95
	v_add_f32_e32 v93, v93, v94
	v_cvt_i32_f32_e32 v94, v95
	v_cmp_ngt_f32_e32 vcc_lo, 0xc2ce8ed0, v38
	s_delay_alu instid0(VALU_DEP_3) | instskip(NEXT) | instid1(TRANS32_DEP_1)
	v_exp_f32_e32 v93, v93
	v_ldexp_f32 v93, v93, v94
	s_wait_alu 0xfffd
	s_delay_alu instid0(VALU_DEP_1) | instskip(SKIP_2) | instid1(VALU_DEP_2)
	v_cndmask_b32_e32 v93, 0, v93, vcc_lo
	v_cmp_nlt_f32_e32 vcc_lo, 0x42b17218, v38
	s_wait_alu 0xfffd
	v_dual_cndmask_b32 v38, 0x7f800000, v93 :: v_dual_sub_f32 v93, v101, v36
	s_delay_alu instid0(VALU_DEP_1) | instskip(NEXT) | instid1(VALU_DEP_2)
	v_cvt_f16_f32_e32 v94, v38
	v_mul_f32_e32 v95, 0x3fb8aa3b, v93
	v_cmp_ngt_f32_e32 vcc_lo, 0xc2ce8ed0, v93
	s_delay_alu instid0(VALU_DEP_2) | instskip(SKIP_1) | instid1(VALU_DEP_1)
	v_fma_f32 v98, 0x3fb8aa3b, v93, -v95
	v_rndne_f32_e32 v99, v95
	v_dual_fmac_f32 v98, 0x32a5705f, v93 :: v_dual_sub_f32 v95, v95, v99
	s_delay_alu instid0(VALU_DEP_1) | instskip(SKIP_1) | instid1(VALU_DEP_2)
	v_add_f32_e32 v95, v95, v98
	v_cvt_i32_f32_e32 v98, v99
	v_exp_f32_e32 v95, v95
	s_delay_alu instid0(TRANS32_DEP_1) | instskip(SKIP_1) | instid1(VALU_DEP_1)
	v_ldexp_f32 v95, v95, v98
	s_wait_alu 0xfffd
	v_cndmask_b32_e32 v95, 0, v95, vcc_lo
	v_cmp_nlt_f32_e32 vcc_lo, 0x42b17218, v93
	s_wait_alu 0xfffd
	s_delay_alu instid0(VALU_DEP_2) | instskip(SKIP_1) | instid1(VALU_DEP_2)
	v_cndmask_b32_e32 v93, 0x7f800000, v95, vcc_lo
	v_cmp_ngt_f32_e32 vcc_lo, 0xc2ce8ed0, v41
	v_add_f32_e32 v38, v38, v93
	v_cvt_f16_f32_e32 v95, v93
	v_mul_f32_e32 v93, 0x3fb8aa3b, v41
	s_delay_alu instid0(VALU_DEP_1) | instskip(SKIP_1) | instid1(VALU_DEP_1)
	v_fma_f32 v98, 0x3fb8aa3b, v41, -v93
	v_rndne_f32_e32 v99, v93
	v_dual_fmac_f32 v98, 0x32a5705f, v41 :: v_dual_sub_f32 v93, v93, v99
	s_delay_alu instid0(VALU_DEP_1) | instskip(SKIP_1) | instid1(VALU_DEP_2)
	v_add_f32_e32 v93, v93, v98
	v_cvt_i32_f32_e32 v98, v99
	v_exp_f32_e32 v93, v93
	s_delay_alu instid0(TRANS32_DEP_1) | instskip(SKIP_1) | instid1(VALU_DEP_1)
	v_ldexp_f32 v93, v93, v98
	s_wait_alu 0xfffd
	v_cndmask_b32_e32 v93, 0, v93, vcc_lo
	v_cmp_nlt_f32_e32 vcc_lo, 0x42b17218, v41
	s_wait_alu 0xfffd
	s_delay_alu instid0(VALU_DEP_2) | instskip(SKIP_2) | instid1(VALU_DEP_3)
	v_cndmask_b32_e32 v41, 0x7f800000, v93, vcc_lo
	v_mul_f32_e32 v93, 0x3fb8aa3b, v42
	v_cmp_ngt_f32_e32 vcc_lo, 0xc2ce8ed0, v42
	v_add_f32_e32 v38, v41, v38
	s_delay_alu instid0(VALU_DEP_3) | instskip(SKIP_2) | instid1(VALU_DEP_2)
	v_fma_f32 v98, 0x3fb8aa3b, v42, -v93
	v_rndne_f32_e32 v99, v93
	v_cvt_f16_f32_e32 v41, v41
	v_dual_fmac_f32 v98, 0x32a5705f, v42 :: v_dual_sub_f32 v93, v93, v99
	s_delay_alu instid0(VALU_DEP_1) | instskip(SKIP_1) | instid1(VALU_DEP_2)
	v_add_f32_e32 v93, v93, v98
	v_cvt_i32_f32_e32 v98, v99
	v_exp_f32_e32 v93, v93
	s_delay_alu instid0(TRANS32_DEP_1) | instskip(SKIP_1) | instid1(VALU_DEP_1)
	v_ldexp_f32 v93, v93, v98
	s_wait_alu 0xfffd
	v_cndmask_b32_e32 v93, 0, v93, vcc_lo
	v_cmp_nlt_f32_e32 vcc_lo, 0x42b17218, v42
	s_wait_alu 0xfffd
	s_delay_alu instid0(VALU_DEP_2) | instskip(SKIP_2) | instid1(VALU_DEP_2)
	v_cndmask_b32_e32 v42, 0x7f800000, v93, vcc_lo
	v_mul_f32_e32 v93, 0x3fb8aa3b, v37
	v_cmp_ngt_f32_e32 vcc_lo, 0xc2ce8ed0, v37
	v_fma_f32 v98, 0x3fb8aa3b, v37, -v93
	v_rndne_f32_e32 v99, v93
	s_delay_alu instid0(VALU_DEP_1) | instskip(SKIP_2) | instid1(VALU_DEP_3)
	v_dual_fmac_f32 v98, 0x32a5705f, v37 :: v_dual_sub_f32 v93, v93, v99
	v_add_f32_e32 v38, v42, v38
	v_cvt_f16_f32_e32 v42, v42
	v_add_f32_e32 v93, v93, v98
	v_cvt_i32_f32_e32 v98, v99
	s_delay_alu instid0(VALU_DEP_2) | instskip(NEXT) | instid1(TRANS32_DEP_1)
	v_exp_f32_e32 v93, v93
	v_ldexp_f32 v93, v93, v98
	s_wait_alu 0xfffd
	s_delay_alu instid0(VALU_DEP_1) | instskip(SKIP_2) | instid1(VALU_DEP_2)
	v_cndmask_b32_e32 v93, 0, v93, vcc_lo
	v_cmp_nlt_f32_e32 vcc_lo, 0x42b17218, v37
	s_wait_alu 0xfffd
	v_cndmask_b32_e32 v37, 0x7f800000, v93, vcc_lo
	v_dual_mov_b32 v93, v64 :: v_dual_mov_b32 v64, v38
	v_pack_b32_f16 v38, v97, v95
	s_delay_alu instid0(VALU_DEP_2) | instskip(SKIP_1) | instid1(VALU_DEP_1)
	v_fmac_f32_e32 v64, v93, v37
	v_cvt_f16_f32_e32 v37, v37
	v_and_b32_e32 v37, 0xffff, v37
	s_delay_alu instid0(VALU_DEP_1)
	v_mul_u32_u24_e32 v93, 0x10001, v37
	v_pack_b32_f16 v37, v96, v94
	ds_store_2addr_b32 v73, v37, v38 offset1:32
	v_pack_b32_f16 v37, v39, v41
	v_pack_b32_f16 v38, v40, v42
	ds_store_2addr_b32 v73, v37, v38 offset0:64 offset1:96
	s_wait_alu 0xfffe
	v_add_co_u32 v37, vcc_lo, s26, v19
	s_wait_alu 0xfffd
	v_add_co_ci_u32_e64 v38, null, s27, v20, vcc_lo
	s_delay_alu instid0(VALU_DEP_2) | instskip(SKIP_1) | instid1(VALU_DEP_2)
	v_add_co_u32 v94, vcc_lo, v37, v72
	s_wait_alu 0xfffd
	v_add_co_ci_u32_e64 v95, null, 0, v38, vcc_lo
	v_add_co_u32 v37, vcc_lo, s26, v21
	s_wait_alu 0xfffd
	v_add_co_ci_u32_e64 v38, null, s27, v22, vcc_lo
	global_load_b128 v[94:97], v[94:95], off
	v_add_co_u32 v98, vcc_lo, v37, v72
	s_wait_alu 0xfffd
	v_add_co_ci_u32_e64 v99, null, 0, v38, vcc_lo
	v_add_co_u32 v37, vcc_lo, s26, v23
	s_wait_alu 0xfffd
	v_add_co_ci_u32_e64 v38, null, s27, v24, vcc_lo
	s_delay_alu instid0(VALU_DEP_2) | instskip(SKIP_1) | instid1(VALU_DEP_2)
	v_add_co_u32 v100, vcc_lo, v37, v72
	s_wait_alu 0xfffd
	v_add_co_ci_u32_e64 v101, null, 0, v38, vcc_lo
	v_add_co_u32 v37, vcc_lo, s26, v25
	s_wait_alu 0xfffd
	v_add_co_ci_u32_e64 v38, null, s27, v26, vcc_lo
	s_delay_alu instid0(VALU_DEP_2) | instskip(SKIP_1) | instid1(VALU_DEP_2)
	;; [unrolled: 7-line block ×6, first 2 shown]
	v_add_co_u32 v37, vcc_lo, v37, v72
	s_wait_alu 0xfffd
	v_add_co_ci_u32_e64 v38, null, 0, v38, vcc_lo
	s_wait_loadcnt 0x0
	ds_store_b128 v62, v[94:97]
	global_load_b128 v[94:97], v[98:99], off
	s_wait_loadcnt 0x0
	ds_store_b128 v65, v[94:97]
	global_load_b128 v[94:97], v[100:101], off
	;; [unrolled: 3-line block ×4, first 2 shown]
	s_wait_loadcnt 0x0
	ds_store_b128 v68, v[94:97]
	s_clause 0x1
	global_load_b128 v[94:97], v[41:42], off
	global_load_b128 v[39:42], v[39:40], off
	s_wait_loadcnt 0x1
	ds_store_b128 v69, v[94:97]
	s_wait_loadcnt 0x0
	ds_store_b128 v70, v[39:42]
	global_load_b128 v[37:40], v[37:38], off
	s_wait_loadcnt 0x0
	ds_store_b128 v71, v[37:40]
	s_wait_dscnt 0x0
	s_barrier_signal -1
	s_barrier_wait -1
	global_inv scope:SCOPE_SE
	ds_load_2addr_b32 v[41:42], v45 offset1:32
	ds_load_b128 v[37:40], v63
	s_wait_dscnt 0x0
	v_lshrrev_b32_e32 v94, 16, v37
	v_and_b32_e32 v37, 0xffff, v37
	s_delay_alu instid0(VALU_DEP_2) | instskip(NEXT) | instid1(VALU_DEP_2)
	v_mul_u32_u24_e32 v94, 0x10001, v94
	v_mul_u32_u24_e32 v37, 0x10001, v37
	s_delay_alu instid0(VALU_DEP_1) | instskip(NEXT) | instid1(VALU_DEP_3)
	v_pk_mul_f16 v37, v41, v37
	v_pk_mul_f16 v41, v41, v94
	s_delay_alu instid0(VALU_DEP_2) | instskip(NEXT) | instid1(VALU_DEP_2)
	v_pk_fma_f16 v37, v91, v92, v37
	v_pk_fma_f16 v41, v90, v93, v41
	v_lshrrev_b32_e32 v90, 16, v38
	v_and_b32_e32 v38, 0xffff, v38
	s_delay_alu instid0(VALU_DEP_2) | instskip(NEXT) | instid1(VALU_DEP_2)
	v_mul_u32_u24_e32 v90, 0x10001, v90
	v_mul_u32_u24_e32 v38, 0x10001, v38
	s_delay_alu instid0(VALU_DEP_2) | instskip(NEXT) | instid1(VALU_DEP_2)
	v_pk_fma_f16 v41, v42, v90, v41
	v_pk_fma_f16 v91, v42, v38, v37
	ds_load_2addr_b32 v[37:38], v45 offset0:64 offset1:96
	v_lshrrev_b32_e32 v42, 16, v39
	v_and_b32_e32 v39, 0xffff, v39
	s_delay_alu instid0(VALU_DEP_2) | instskip(NEXT) | instid1(VALU_DEP_2)
	v_mul_u32_u24_e32 v42, 0x10001, v42
	v_mul_u32_u24_e32 v39, 0x10001, v39
	s_wait_dscnt 0x0
	s_delay_alu instid0(VALU_DEP_1) | instskip(NEXT) | instid1(VALU_DEP_3)
	v_pk_fma_f16 v39, v37, v39, v91
	v_pk_fma_f16 v37, v37, v42, v41
	v_lshrrev_b32_e32 v41, 16, v40
	v_and_b32_e32 v40, 0xffff, v40
	s_delay_alu instid0(VALU_DEP_2) | instskip(NEXT) | instid1(VALU_DEP_2)
	v_mul_u32_u24_e32 v41, 0x10001, v41
	v_mul_u32_u24_e32 v40, 0x10001, v40
	s_delay_alu instid0(VALU_DEP_2) | instskip(NEXT) | instid1(VALU_DEP_2)
	v_pk_fma_f16 v91, v38, v41, v37
	v_pk_fma_f16 v90, v38, v40, v39
	ds_load_2addr_b32 v[41:42], v45 offset0:128 offset1:160
	ds_load_b128 v[37:40], v63 offset:16
	s_wait_dscnt 0x0
	v_lshrrev_b32_e32 v92, 16, v37
	v_and_b32_e32 v37, 0xffff, v37
	s_delay_alu instid0(VALU_DEP_2) | instskip(NEXT) | instid1(VALU_DEP_2)
	v_mul_u32_u24_e32 v92, 0x10001, v92
	v_mul_u32_u24_e32 v37, 0x10001, v37
	s_delay_alu instid0(VALU_DEP_1) | instskip(SKIP_3) | instid1(VALU_DEP_3)
	v_pk_fma_f16 v37, v41, v37, v90
	v_lshrrev_b32_e32 v90, 16, v38
	v_and_b32_e32 v38, 0xffff, v38
	v_pk_fma_f16 v41, v41, v92, v91
	v_mul_u32_u24_e32 v90, 0x10001, v90
	s_delay_alu instid0(VALU_DEP_3) | instskip(NEXT) | instid1(VALU_DEP_2)
	v_mul_u32_u24_e32 v38, 0x10001, v38
	v_pk_fma_f16 v41, v42, v90, v41
	s_delay_alu instid0(VALU_DEP_2) | instskip(SKIP_3) | instid1(VALU_DEP_2)
	v_pk_fma_f16 v91, v42, v38, v37
	ds_load_2addr_b32 v[37:38], v45 offset0:192 offset1:224
	v_lshrrev_b32_e32 v42, 16, v39
	v_and_b32_e32 v39, 0xffff, v39
	v_mul_u32_u24_e32 v42, 0x10001, v42
	s_delay_alu instid0(VALU_DEP_2) | instskip(SKIP_1) | instid1(VALU_DEP_1)
	v_mul_u32_u24_e32 v39, 0x10001, v39
	s_wait_dscnt 0x0
	v_pk_fma_f16 v39, v37, v39, v91
	s_delay_alu instid0(VALU_DEP_3) | instskip(SKIP_2) | instid1(VALU_DEP_2)
	v_pk_fma_f16 v37, v37, v42, v41
	v_lshrrev_b32_e32 v41, 16, v40
	v_and_b32_e32 v40, 0xffff, v40
	v_mul_u32_u24_e32 v41, 0x10001, v41
	s_delay_alu instid0(VALU_DEP_2) | instskip(NEXT) | instid1(VALU_DEP_2)
	v_mul_u32_u24_e32 v40, 0x10001, v40
	v_pk_fma_f16 v91, v38, v41, v37
	s_delay_alu instid0(VALU_DEP_2)
	v_pk_fma_f16 v90, v38, v40, v39
	ds_load_2addr_b32 v[41:42], v74 offset1:32
	ds_load_b128 v[37:40], v63 offset:32
	s_wait_dscnt 0x0
	v_lshrrev_b32_e32 v92, 16, v37
	v_and_b32_e32 v37, 0xffff, v37
	s_delay_alu instid0(VALU_DEP_2) | instskip(NEXT) | instid1(VALU_DEP_2)
	v_mul_u32_u24_e32 v92, 0x10001, v92
	v_mul_u32_u24_e32 v37, 0x10001, v37
	s_delay_alu instid0(VALU_DEP_1) | instskip(SKIP_3) | instid1(VALU_DEP_3)
	v_pk_fma_f16 v37, v41, v37, v90
	v_lshrrev_b32_e32 v90, 16, v38
	v_and_b32_e32 v38, 0xffff, v38
	v_pk_fma_f16 v41, v41, v92, v91
	v_mul_u32_u24_e32 v90, 0x10001, v90
	s_delay_alu instid0(VALU_DEP_3) | instskip(NEXT) | instid1(VALU_DEP_2)
	v_mul_u32_u24_e32 v38, 0x10001, v38
	v_pk_fma_f16 v41, v42, v90, v41
	s_delay_alu instid0(VALU_DEP_2) | instskip(SKIP_3) | instid1(VALU_DEP_2)
	v_pk_fma_f16 v91, v42, v38, v37
	ds_load_2addr_b32 v[37:38], v74 offset0:64 offset1:96
	v_lshrrev_b32_e32 v42, 16, v39
	v_and_b32_e32 v39, 0xffff, v39
	v_mul_u32_u24_e32 v42, 0x10001, v42
	s_delay_alu instid0(VALU_DEP_2) | instskip(SKIP_1) | instid1(VALU_DEP_1)
	v_mul_u32_u24_e32 v39, 0x10001, v39
	s_wait_dscnt 0x0
	v_pk_fma_f16 v39, v37, v39, v91
	s_delay_alu instid0(VALU_DEP_3) | instskip(SKIP_2) | instid1(VALU_DEP_2)
	v_pk_fma_f16 v37, v37, v42, v41
	v_lshrrev_b32_e32 v41, 16, v40
	v_and_b32_e32 v40, 0xffff, v40
	v_mul_u32_u24_e32 v41, 0x10001, v41
	s_delay_alu instid0(VALU_DEP_2) | instskip(NEXT) | instid1(VALU_DEP_2)
	v_mul_u32_u24_e32 v40, 0x10001, v40
	v_pk_fma_f16 v91, v38, v41, v37
	s_delay_alu instid0(VALU_DEP_2)
	v_pk_fma_f16 v90, v38, v40, v39
	ds_load_2addr_b32 v[41:42], v74 offset0:128 offset1:160
	ds_load_b128 v[37:40], v63 offset:48
	s_wait_dscnt 0x0
	v_lshrrev_b32_e32 v92, 16, v37
	v_and_b32_e32 v37, 0xffff, v37
	s_delay_alu instid0(VALU_DEP_2) | instskip(NEXT) | instid1(VALU_DEP_2)
	v_mul_u32_u24_e32 v92, 0x10001, v92
	v_mul_u32_u24_e32 v37, 0x10001, v37
	s_delay_alu instid0(VALU_DEP_1) | instskip(SKIP_3) | instid1(VALU_DEP_3)
	v_pk_fma_f16 v37, v41, v37, v90
	v_lshrrev_b32_e32 v90, 16, v38
	v_and_b32_e32 v38, 0xffff, v38
	v_pk_fma_f16 v41, v41, v92, v91
	v_mul_u32_u24_e32 v90, 0x10001, v90
	s_delay_alu instid0(VALU_DEP_3) | instskip(NEXT) | instid1(VALU_DEP_2)
	v_mul_u32_u24_e32 v38, 0x10001, v38
	v_pk_fma_f16 v41, v42, v90, v41
	s_delay_alu instid0(VALU_DEP_2) | instskip(SKIP_3) | instid1(VALU_DEP_2)
	v_pk_fma_f16 v91, v42, v38, v37
	ds_load_2addr_b32 v[37:38], v74 offset0:192 offset1:224
	v_lshrrev_b32_e32 v42, 16, v39
	v_and_b32_e32 v39, 0xffff, v39
	v_mul_u32_u24_e32 v42, 0x10001, v42
	s_delay_alu instid0(VALU_DEP_2) | instskip(SKIP_1) | instid1(VALU_DEP_1)
	v_mul_u32_u24_e32 v39, 0x10001, v39
	s_wait_dscnt 0x0
	v_pk_fma_f16 v39, v37, v39, v91
	s_delay_alu instid0(VALU_DEP_3) | instskip(SKIP_2) | instid1(VALU_DEP_2)
	v_pk_fma_f16 v37, v37, v42, v41
	v_lshrrev_b32_e32 v41, 16, v40
	v_and_b32_e32 v40, 0xffff, v40
	v_mul_u32_u24_e32 v41, 0x10001, v41
	s_delay_alu instid0(VALU_DEP_2) | instskip(NEXT) | instid1(VALU_DEP_2)
	v_mul_u32_u24_e32 v40, 0x10001, v40
	v_pk_fma_f16 v91, v38, v41, v37
	s_delay_alu instid0(VALU_DEP_2)
	v_pk_fma_f16 v90, v38, v40, v39
	ds_load_2addr_b32 v[41:42], v75 offset1:32
	ds_load_b128 v[37:40], v63 offset:64
	s_wait_dscnt 0x0
	v_lshrrev_b32_e32 v92, 16, v37
	v_and_b32_e32 v37, 0xffff, v37
	s_delay_alu instid0(VALU_DEP_2) | instskip(NEXT) | instid1(VALU_DEP_2)
	v_mul_u32_u24_e32 v92, 0x10001, v92
	v_mul_u32_u24_e32 v37, 0x10001, v37
	s_delay_alu instid0(VALU_DEP_1) | instskip(SKIP_3) | instid1(VALU_DEP_3)
	v_pk_fma_f16 v37, v41, v37, v90
	v_lshrrev_b32_e32 v90, 16, v38
	v_and_b32_e32 v38, 0xffff, v38
	v_pk_fma_f16 v41, v41, v92, v91
	v_mul_u32_u24_e32 v90, 0x10001, v90
	s_delay_alu instid0(VALU_DEP_3) | instskip(NEXT) | instid1(VALU_DEP_2)
	v_mul_u32_u24_e32 v38, 0x10001, v38
	v_pk_fma_f16 v41, v42, v90, v41
	s_delay_alu instid0(VALU_DEP_2) | instskip(SKIP_3) | instid1(VALU_DEP_2)
	v_pk_fma_f16 v91, v42, v38, v37
	ds_load_2addr_b32 v[37:38], v75 offset0:64 offset1:96
	v_lshrrev_b32_e32 v42, 16, v39
	v_and_b32_e32 v39, 0xffff, v39
	v_mul_u32_u24_e32 v42, 0x10001, v42
	s_delay_alu instid0(VALU_DEP_2) | instskip(SKIP_1) | instid1(VALU_DEP_1)
	v_mul_u32_u24_e32 v39, 0x10001, v39
	s_wait_dscnt 0x0
	v_pk_fma_f16 v39, v37, v39, v91
	s_delay_alu instid0(VALU_DEP_3) | instskip(SKIP_2) | instid1(VALU_DEP_2)
	v_pk_fma_f16 v37, v37, v42, v41
	v_lshrrev_b32_e32 v41, 16, v40
	v_and_b32_e32 v40, 0xffff, v40
	v_mul_u32_u24_e32 v41, 0x10001, v41
	s_delay_alu instid0(VALU_DEP_2) | instskip(NEXT) | instid1(VALU_DEP_2)
	v_mul_u32_u24_e32 v40, 0x10001, v40
	v_pk_fma_f16 v91, v38, v41, v37
	s_delay_alu instid0(VALU_DEP_2)
	v_pk_fma_f16 v90, v38, v40, v39
	ds_load_2addr_b32 v[41:42], v75 offset0:128 offset1:160
	ds_load_b128 v[37:40], v63 offset:80
	s_wait_dscnt 0x0
	v_lshrrev_b32_e32 v92, 16, v37
	v_and_b32_e32 v37, 0xffff, v37
	s_delay_alu instid0(VALU_DEP_2) | instskip(NEXT) | instid1(VALU_DEP_2)
	v_mul_u32_u24_e32 v92, 0x10001, v92
	v_mul_u32_u24_e32 v37, 0x10001, v37
	s_delay_alu instid0(VALU_DEP_1) | instskip(SKIP_3) | instid1(VALU_DEP_3)
	v_pk_fma_f16 v37, v41, v37, v90
	v_lshrrev_b32_e32 v90, 16, v38
	v_and_b32_e32 v38, 0xffff, v38
	v_pk_fma_f16 v41, v41, v92, v91
	v_mul_u32_u24_e32 v90, 0x10001, v90
	s_delay_alu instid0(VALU_DEP_3) | instskip(NEXT) | instid1(VALU_DEP_2)
	v_mul_u32_u24_e32 v38, 0x10001, v38
	v_pk_fma_f16 v41, v42, v90, v41
	s_delay_alu instid0(VALU_DEP_2) | instskip(SKIP_3) | instid1(VALU_DEP_2)
	v_pk_fma_f16 v91, v42, v38, v37
	ds_load_2addr_b32 v[37:38], v75 offset0:192 offset1:224
	v_lshrrev_b32_e32 v42, 16, v39
	v_and_b32_e32 v39, 0xffff, v39
	v_mul_u32_u24_e32 v42, 0x10001, v42
	s_delay_alu instid0(VALU_DEP_2) | instskip(SKIP_1) | instid1(VALU_DEP_1)
	v_mul_u32_u24_e32 v39, 0x10001, v39
	s_wait_dscnt 0x0
	v_pk_fma_f16 v39, v37, v39, v91
	s_delay_alu instid0(VALU_DEP_3) | instskip(SKIP_2) | instid1(VALU_DEP_2)
	v_pk_fma_f16 v37, v37, v42, v41
	v_lshrrev_b32_e32 v41, 16, v40
	v_and_b32_e32 v40, 0xffff, v40
	v_mul_u32_u24_e32 v41, 0x10001, v41
	s_delay_alu instid0(VALU_DEP_2) | instskip(NEXT) | instid1(VALU_DEP_2)
	v_mul_u32_u24_e32 v40, 0x10001, v40
	v_pk_fma_f16 v91, v38, v41, v37
	s_delay_alu instid0(VALU_DEP_2)
	v_pk_fma_f16 v90, v38, v40, v39
	ds_load_2addr_b32 v[41:42], v76 offset1:32
	ds_load_b128 v[37:40], v63 offset:96
	s_wait_dscnt 0x0
	v_lshrrev_b32_e32 v92, 16, v37
	v_and_b32_e32 v37, 0xffff, v37
	s_delay_alu instid0(VALU_DEP_2) | instskip(NEXT) | instid1(VALU_DEP_2)
	v_mul_u32_u24_e32 v92, 0x10001, v92
	v_mul_u32_u24_e32 v37, 0x10001, v37
	s_delay_alu instid0(VALU_DEP_1) | instskip(SKIP_3) | instid1(VALU_DEP_3)
	v_pk_fma_f16 v37, v41, v37, v90
	v_lshrrev_b32_e32 v90, 16, v38
	v_and_b32_e32 v38, 0xffff, v38
	v_pk_fma_f16 v41, v41, v92, v91
	v_mul_u32_u24_e32 v90, 0x10001, v90
	s_delay_alu instid0(VALU_DEP_3) | instskip(NEXT) | instid1(VALU_DEP_2)
	v_mul_u32_u24_e32 v38, 0x10001, v38
	v_pk_fma_f16 v41, v42, v90, v41
	s_delay_alu instid0(VALU_DEP_2) | instskip(SKIP_3) | instid1(VALU_DEP_2)
	v_pk_fma_f16 v91, v42, v38, v37
	ds_load_2addr_b32 v[37:38], v76 offset0:64 offset1:96
	v_lshrrev_b32_e32 v42, 16, v39
	v_and_b32_e32 v39, 0xffff, v39
	v_mul_u32_u24_e32 v42, 0x10001, v42
	s_delay_alu instid0(VALU_DEP_2) | instskip(SKIP_1) | instid1(VALU_DEP_1)
	v_mul_u32_u24_e32 v39, 0x10001, v39
	s_wait_dscnt 0x0
	v_pk_fma_f16 v39, v37, v39, v91
	s_delay_alu instid0(VALU_DEP_3) | instskip(SKIP_2) | instid1(VALU_DEP_2)
	v_pk_fma_f16 v37, v37, v42, v41
	v_lshrrev_b32_e32 v41, 16, v40
	v_and_b32_e32 v40, 0xffff, v40
	v_mul_u32_u24_e32 v41, 0x10001, v41
	s_delay_alu instid0(VALU_DEP_2) | instskip(NEXT) | instid1(VALU_DEP_2)
	v_mul_u32_u24_e32 v40, 0x10001, v40
	v_pk_fma_f16 v91, v38, v41, v37
	s_delay_alu instid0(VALU_DEP_2)
	v_pk_fma_f16 v90, v38, v40, v39
	ds_load_2addr_b32 v[41:42], v76 offset0:128 offset1:160
	ds_load_b128 v[37:40], v63 offset:112
	s_wait_dscnt 0x0
	v_lshrrev_b32_e32 v92, 16, v37
	v_and_b32_e32 v37, 0xffff, v37
	s_delay_alu instid0(VALU_DEP_2) | instskip(NEXT) | instid1(VALU_DEP_2)
	v_mul_u32_u24_e32 v92, 0x10001, v92
	v_mul_u32_u24_e32 v37, 0x10001, v37
	s_delay_alu instid0(VALU_DEP_1) | instskip(SKIP_3) | instid1(VALU_DEP_3)
	v_pk_fma_f16 v37, v41, v37, v90
	v_lshrrev_b32_e32 v90, 16, v38
	v_and_b32_e32 v38, 0xffff, v38
	v_pk_fma_f16 v41, v41, v92, v91
	v_mul_u32_u24_e32 v90, 0x10001, v90
	s_delay_alu instid0(VALU_DEP_3) | instskip(NEXT) | instid1(VALU_DEP_2)
	v_mul_u32_u24_e32 v38, 0x10001, v38
	v_pk_fma_f16 v41, v42, v90, v41
	s_delay_alu instid0(VALU_DEP_2) | instskip(SKIP_3) | instid1(VALU_DEP_2)
	v_pk_fma_f16 v91, v42, v38, v37
	ds_load_2addr_b32 v[37:38], v76 offset0:192 offset1:224
	v_lshrrev_b32_e32 v42, 16, v39
	v_and_b32_e32 v39, 0xffff, v39
	v_mul_u32_u24_e32 v42, 0x10001, v42
	s_delay_alu instid0(VALU_DEP_2) | instskip(SKIP_1) | instid1(VALU_DEP_1)
	v_mul_u32_u24_e32 v39, 0x10001, v39
	s_wait_dscnt 0x0
	v_pk_fma_f16 v39, v37, v39, v91
	s_delay_alu instid0(VALU_DEP_3) | instskip(SKIP_2) | instid1(VALU_DEP_2)
	v_pk_fma_f16 v37, v37, v42, v41
	v_lshrrev_b32_e32 v41, 16, v40
	v_and_b32_e32 v40, 0xffff, v40
	v_mul_u32_u24_e32 v41, 0x10001, v41
	s_delay_alu instid0(VALU_DEP_2) | instskip(NEXT) | instid1(VALU_DEP_2)
	v_mul_u32_u24_e32 v40, 0x10001, v40
	v_pk_fma_f16 v91, v38, v41, v37
	s_delay_alu instid0(VALU_DEP_2)
	v_pk_fma_f16 v90, v38, v40, v39
	ds_load_2addr_b32 v[41:42], v77 offset1:32
	ds_load_b128 v[37:40], v63 offset:128
	s_wait_dscnt 0x0
	v_lshrrev_b32_e32 v92, 16, v37
	v_and_b32_e32 v37, 0xffff, v37
	s_delay_alu instid0(VALU_DEP_2) | instskip(NEXT) | instid1(VALU_DEP_2)
	v_mul_u32_u24_e32 v92, 0x10001, v92
	v_mul_u32_u24_e32 v37, 0x10001, v37
	s_delay_alu instid0(VALU_DEP_1) | instskip(SKIP_3) | instid1(VALU_DEP_3)
	v_pk_fma_f16 v37, v41, v37, v90
	v_lshrrev_b32_e32 v90, 16, v38
	v_and_b32_e32 v38, 0xffff, v38
	v_pk_fma_f16 v41, v41, v92, v91
	v_mul_u32_u24_e32 v90, 0x10001, v90
	s_delay_alu instid0(VALU_DEP_3) | instskip(NEXT) | instid1(VALU_DEP_2)
	v_mul_u32_u24_e32 v38, 0x10001, v38
	v_pk_fma_f16 v41, v42, v90, v41
	s_delay_alu instid0(VALU_DEP_2) | instskip(SKIP_3) | instid1(VALU_DEP_2)
	v_pk_fma_f16 v91, v42, v38, v37
	ds_load_2addr_b32 v[37:38], v77 offset0:64 offset1:96
	v_lshrrev_b32_e32 v42, 16, v39
	v_and_b32_e32 v39, 0xffff, v39
	v_mul_u32_u24_e32 v42, 0x10001, v42
	s_delay_alu instid0(VALU_DEP_2) | instskip(SKIP_1) | instid1(VALU_DEP_1)
	v_mul_u32_u24_e32 v39, 0x10001, v39
	s_wait_dscnt 0x0
	v_pk_fma_f16 v39, v37, v39, v91
	s_delay_alu instid0(VALU_DEP_3) | instskip(SKIP_2) | instid1(VALU_DEP_2)
	v_pk_fma_f16 v37, v37, v42, v41
	v_lshrrev_b32_e32 v41, 16, v40
	v_and_b32_e32 v40, 0xffff, v40
	v_mul_u32_u24_e32 v41, 0x10001, v41
	s_delay_alu instid0(VALU_DEP_2) | instskip(NEXT) | instid1(VALU_DEP_2)
	v_mul_u32_u24_e32 v40, 0x10001, v40
	v_pk_fma_f16 v91, v38, v41, v37
	s_delay_alu instid0(VALU_DEP_2)
	v_pk_fma_f16 v90, v38, v40, v39
	ds_load_2addr_b32 v[41:42], v77 offset0:128 offset1:160
	ds_load_b128 v[37:40], v63 offset:144
	s_wait_dscnt 0x0
	v_lshrrev_b32_e32 v92, 16, v37
	v_and_b32_e32 v37, 0xffff, v37
	s_delay_alu instid0(VALU_DEP_2) | instskip(NEXT) | instid1(VALU_DEP_2)
	v_mul_u32_u24_e32 v92, 0x10001, v92
	v_mul_u32_u24_e32 v37, 0x10001, v37
	s_delay_alu instid0(VALU_DEP_1) | instskip(SKIP_3) | instid1(VALU_DEP_3)
	v_pk_fma_f16 v37, v41, v37, v90
	v_lshrrev_b32_e32 v90, 16, v38
	v_and_b32_e32 v38, 0xffff, v38
	v_pk_fma_f16 v41, v41, v92, v91
	v_mul_u32_u24_e32 v90, 0x10001, v90
	s_delay_alu instid0(VALU_DEP_3) | instskip(NEXT) | instid1(VALU_DEP_2)
	v_mul_u32_u24_e32 v38, 0x10001, v38
	v_pk_fma_f16 v41, v42, v90, v41
	s_delay_alu instid0(VALU_DEP_2) | instskip(SKIP_3) | instid1(VALU_DEP_2)
	v_pk_fma_f16 v91, v42, v38, v37
	ds_load_2addr_b32 v[37:38], v77 offset0:192 offset1:224
	v_lshrrev_b32_e32 v42, 16, v39
	v_and_b32_e32 v39, 0xffff, v39
	v_mul_u32_u24_e32 v42, 0x10001, v42
	s_delay_alu instid0(VALU_DEP_2) | instskip(SKIP_1) | instid1(VALU_DEP_1)
	v_mul_u32_u24_e32 v39, 0x10001, v39
	s_wait_dscnt 0x0
	v_pk_fma_f16 v39, v37, v39, v91
	s_delay_alu instid0(VALU_DEP_3) | instskip(SKIP_2) | instid1(VALU_DEP_2)
	v_pk_fma_f16 v37, v37, v42, v41
	v_lshrrev_b32_e32 v41, 16, v40
	v_and_b32_e32 v40, 0xffff, v40
	v_mul_u32_u24_e32 v41, 0x10001, v41
	s_delay_alu instid0(VALU_DEP_2) | instskip(NEXT) | instid1(VALU_DEP_2)
	v_mul_u32_u24_e32 v40, 0x10001, v40
	v_pk_fma_f16 v91, v38, v41, v37
	s_delay_alu instid0(VALU_DEP_2)
	v_pk_fma_f16 v90, v38, v40, v39
	ds_load_2addr_b32 v[41:42], v78 offset1:32
	ds_load_b128 v[37:40], v63 offset:160
	s_wait_dscnt 0x0
	v_lshrrev_b32_e32 v92, 16, v37
	v_and_b32_e32 v37, 0xffff, v37
	s_delay_alu instid0(VALU_DEP_2) | instskip(NEXT) | instid1(VALU_DEP_2)
	v_mul_u32_u24_e32 v92, 0x10001, v92
	v_mul_u32_u24_e32 v37, 0x10001, v37
	s_delay_alu instid0(VALU_DEP_1) | instskip(SKIP_3) | instid1(VALU_DEP_3)
	v_pk_fma_f16 v37, v41, v37, v90
	v_lshrrev_b32_e32 v90, 16, v38
	v_and_b32_e32 v38, 0xffff, v38
	v_pk_fma_f16 v41, v41, v92, v91
	v_mul_u32_u24_e32 v90, 0x10001, v90
	s_delay_alu instid0(VALU_DEP_3) | instskip(NEXT) | instid1(VALU_DEP_2)
	v_mul_u32_u24_e32 v38, 0x10001, v38
	v_pk_fma_f16 v41, v42, v90, v41
	s_delay_alu instid0(VALU_DEP_2) | instskip(SKIP_3) | instid1(VALU_DEP_2)
	v_pk_fma_f16 v91, v42, v38, v37
	ds_load_2addr_b32 v[37:38], v78 offset0:64 offset1:96
	v_lshrrev_b32_e32 v42, 16, v39
	v_and_b32_e32 v39, 0xffff, v39
	v_mul_u32_u24_e32 v42, 0x10001, v42
	s_delay_alu instid0(VALU_DEP_2) | instskip(SKIP_1) | instid1(VALU_DEP_1)
	v_mul_u32_u24_e32 v39, 0x10001, v39
	s_wait_dscnt 0x0
	v_pk_fma_f16 v39, v37, v39, v91
	s_delay_alu instid0(VALU_DEP_3) | instskip(SKIP_2) | instid1(VALU_DEP_2)
	v_pk_fma_f16 v37, v37, v42, v41
	v_lshrrev_b32_e32 v41, 16, v40
	v_and_b32_e32 v40, 0xffff, v40
	v_mul_u32_u24_e32 v41, 0x10001, v41
	s_delay_alu instid0(VALU_DEP_2) | instskip(NEXT) | instid1(VALU_DEP_2)
	v_mul_u32_u24_e32 v40, 0x10001, v40
	v_pk_fma_f16 v91, v38, v41, v37
	s_delay_alu instid0(VALU_DEP_2)
	v_pk_fma_f16 v90, v38, v40, v39
	ds_load_2addr_b32 v[41:42], v78 offset0:128 offset1:160
	ds_load_b128 v[37:40], v63 offset:176
	s_wait_dscnt 0x0
	v_lshrrev_b32_e32 v92, 16, v37
	v_and_b32_e32 v37, 0xffff, v37
	s_delay_alu instid0(VALU_DEP_2) | instskip(NEXT) | instid1(VALU_DEP_2)
	v_mul_u32_u24_e32 v92, 0x10001, v92
	v_mul_u32_u24_e32 v37, 0x10001, v37
	s_delay_alu instid0(VALU_DEP_1) | instskip(SKIP_3) | instid1(VALU_DEP_3)
	v_pk_fma_f16 v37, v41, v37, v90
	v_lshrrev_b32_e32 v90, 16, v38
	v_and_b32_e32 v38, 0xffff, v38
	v_pk_fma_f16 v41, v41, v92, v91
	v_mul_u32_u24_e32 v90, 0x10001, v90
	s_delay_alu instid0(VALU_DEP_3) | instskip(NEXT) | instid1(VALU_DEP_2)
	v_mul_u32_u24_e32 v38, 0x10001, v38
	v_pk_fma_f16 v41, v42, v90, v41
	s_delay_alu instid0(VALU_DEP_2) | instskip(SKIP_3) | instid1(VALU_DEP_2)
	v_pk_fma_f16 v91, v42, v38, v37
	ds_load_2addr_b32 v[37:38], v78 offset0:192 offset1:224
	v_lshrrev_b32_e32 v42, 16, v39
	v_and_b32_e32 v39, 0xffff, v39
	v_mul_u32_u24_e32 v42, 0x10001, v42
	s_delay_alu instid0(VALU_DEP_2) | instskip(SKIP_1) | instid1(VALU_DEP_1)
	v_mul_u32_u24_e32 v39, 0x10001, v39
	s_wait_dscnt 0x0
	v_pk_fma_f16 v39, v37, v39, v91
	s_delay_alu instid0(VALU_DEP_3) | instskip(SKIP_2) | instid1(VALU_DEP_2)
	v_pk_fma_f16 v37, v37, v42, v41
	v_lshrrev_b32_e32 v41, 16, v40
	v_and_b32_e32 v40, 0xffff, v40
	v_mul_u32_u24_e32 v41, 0x10001, v41
	s_delay_alu instid0(VALU_DEP_2) | instskip(NEXT) | instid1(VALU_DEP_2)
	v_mul_u32_u24_e32 v40, 0x10001, v40
	v_pk_fma_f16 v91, v38, v41, v37
	s_delay_alu instid0(VALU_DEP_2)
	v_pk_fma_f16 v90, v38, v40, v39
	ds_load_2addr_b32 v[41:42], v79 offset1:32
	ds_load_b128 v[37:40], v63 offset:192
	s_wait_dscnt 0x0
	v_lshrrev_b32_e32 v92, 16, v37
	v_and_b32_e32 v37, 0xffff, v37
	s_delay_alu instid0(VALU_DEP_2) | instskip(NEXT) | instid1(VALU_DEP_2)
	v_mul_u32_u24_e32 v92, 0x10001, v92
	v_mul_u32_u24_e32 v37, 0x10001, v37
	s_delay_alu instid0(VALU_DEP_1) | instskip(SKIP_3) | instid1(VALU_DEP_3)
	v_pk_fma_f16 v37, v41, v37, v90
	v_lshrrev_b32_e32 v90, 16, v38
	v_and_b32_e32 v38, 0xffff, v38
	v_pk_fma_f16 v41, v41, v92, v91
	v_mul_u32_u24_e32 v90, 0x10001, v90
	s_delay_alu instid0(VALU_DEP_3) | instskip(NEXT) | instid1(VALU_DEP_2)
	v_mul_u32_u24_e32 v38, 0x10001, v38
	v_pk_fma_f16 v41, v42, v90, v41
	s_delay_alu instid0(VALU_DEP_2) | instskip(SKIP_3) | instid1(VALU_DEP_2)
	v_pk_fma_f16 v91, v42, v38, v37
	ds_load_2addr_b32 v[37:38], v79 offset0:64 offset1:96
	v_lshrrev_b32_e32 v42, 16, v39
	v_and_b32_e32 v39, 0xffff, v39
	v_mul_u32_u24_e32 v42, 0x10001, v42
	s_delay_alu instid0(VALU_DEP_2) | instskip(SKIP_1) | instid1(VALU_DEP_1)
	v_mul_u32_u24_e32 v39, 0x10001, v39
	s_wait_dscnt 0x0
	v_pk_fma_f16 v39, v37, v39, v91
	s_delay_alu instid0(VALU_DEP_3) | instskip(SKIP_2) | instid1(VALU_DEP_2)
	v_pk_fma_f16 v37, v37, v42, v41
	v_lshrrev_b32_e32 v41, 16, v40
	v_and_b32_e32 v40, 0xffff, v40
	v_mul_u32_u24_e32 v41, 0x10001, v41
	s_delay_alu instid0(VALU_DEP_2) | instskip(NEXT) | instid1(VALU_DEP_2)
	v_mul_u32_u24_e32 v40, 0x10001, v40
	v_pk_fma_f16 v91, v38, v41, v37
	s_delay_alu instid0(VALU_DEP_2)
	v_pk_fma_f16 v90, v38, v40, v39
	ds_load_2addr_b32 v[41:42], v79 offset0:128 offset1:160
	ds_load_b128 v[37:40], v63 offset:208
	s_wait_dscnt 0x0
	v_lshrrev_b32_e32 v92, 16, v37
	v_and_b32_e32 v37, 0xffff, v37
	s_delay_alu instid0(VALU_DEP_2) | instskip(NEXT) | instid1(VALU_DEP_2)
	v_mul_u32_u24_e32 v92, 0x10001, v92
	v_mul_u32_u24_e32 v37, 0x10001, v37
	s_delay_alu instid0(VALU_DEP_1) | instskip(SKIP_3) | instid1(VALU_DEP_3)
	v_pk_fma_f16 v37, v41, v37, v90
	v_lshrrev_b32_e32 v90, 16, v38
	v_and_b32_e32 v38, 0xffff, v38
	v_pk_fma_f16 v41, v41, v92, v91
	v_mul_u32_u24_e32 v90, 0x10001, v90
	s_delay_alu instid0(VALU_DEP_3) | instskip(NEXT) | instid1(VALU_DEP_2)
	v_mul_u32_u24_e32 v38, 0x10001, v38
	v_pk_fma_f16 v41, v42, v90, v41
	s_delay_alu instid0(VALU_DEP_2) | instskip(SKIP_3) | instid1(VALU_DEP_2)
	v_pk_fma_f16 v91, v42, v38, v37
	ds_load_2addr_b32 v[37:38], v79 offset0:192 offset1:224
	v_lshrrev_b32_e32 v42, 16, v39
	v_and_b32_e32 v39, 0xffff, v39
	v_mul_u32_u24_e32 v42, 0x10001, v42
	s_delay_alu instid0(VALU_DEP_2) | instskip(SKIP_1) | instid1(VALU_DEP_1)
	v_mul_u32_u24_e32 v39, 0x10001, v39
	s_wait_dscnt 0x0
	v_pk_fma_f16 v39, v37, v39, v91
	s_delay_alu instid0(VALU_DEP_3) | instskip(SKIP_2) | instid1(VALU_DEP_2)
	v_pk_fma_f16 v37, v37, v42, v41
	v_lshrrev_b32_e32 v41, 16, v40
	v_and_b32_e32 v40, 0xffff, v40
	v_mul_u32_u24_e32 v41, 0x10001, v41
	s_delay_alu instid0(VALU_DEP_2) | instskip(NEXT) | instid1(VALU_DEP_2)
	v_mul_u32_u24_e32 v40, 0x10001, v40
	v_pk_fma_f16 v91, v38, v41, v37
	s_delay_alu instid0(VALU_DEP_2)
	v_pk_fma_f16 v90, v38, v40, v39
	ds_load_2addr_b32 v[41:42], v80 offset1:32
	ds_load_b128 v[37:40], v63 offset:224
	s_wait_dscnt 0x0
	v_lshrrev_b32_e32 v92, 16, v37
	v_and_b32_e32 v37, 0xffff, v37
	s_delay_alu instid0(VALU_DEP_2) | instskip(NEXT) | instid1(VALU_DEP_2)
	v_mul_u32_u24_e32 v92, 0x10001, v92
	v_mul_u32_u24_e32 v37, 0x10001, v37
	s_delay_alu instid0(VALU_DEP_1) | instskip(SKIP_3) | instid1(VALU_DEP_3)
	v_pk_fma_f16 v37, v41, v37, v90
	v_lshrrev_b32_e32 v90, 16, v38
	v_and_b32_e32 v38, 0xffff, v38
	v_pk_fma_f16 v41, v41, v92, v91
	v_mul_u32_u24_e32 v90, 0x10001, v90
	s_delay_alu instid0(VALU_DEP_3) | instskip(NEXT) | instid1(VALU_DEP_2)
	v_mul_u32_u24_e32 v38, 0x10001, v38
	v_pk_fma_f16 v41, v42, v90, v41
	s_delay_alu instid0(VALU_DEP_2) | instskip(SKIP_3) | instid1(VALU_DEP_2)
	v_pk_fma_f16 v91, v42, v38, v37
	ds_load_2addr_b32 v[37:38], v80 offset0:64 offset1:96
	v_lshrrev_b32_e32 v42, 16, v39
	v_and_b32_e32 v39, 0xffff, v39
	v_mul_u32_u24_e32 v42, 0x10001, v42
	s_delay_alu instid0(VALU_DEP_2) | instskip(SKIP_1) | instid1(VALU_DEP_1)
	v_mul_u32_u24_e32 v39, 0x10001, v39
	s_wait_dscnt 0x0
	v_pk_fma_f16 v39, v37, v39, v91
	s_delay_alu instid0(VALU_DEP_3) | instskip(SKIP_2) | instid1(VALU_DEP_2)
	v_pk_fma_f16 v37, v37, v42, v41
	v_lshrrev_b32_e32 v41, 16, v40
	v_and_b32_e32 v40, 0xffff, v40
	v_mul_u32_u24_e32 v41, 0x10001, v41
	s_delay_alu instid0(VALU_DEP_2) | instskip(NEXT) | instid1(VALU_DEP_2)
	v_mul_u32_u24_e32 v40, 0x10001, v40
	v_pk_fma_f16 v91, v38, v41, v37
	s_delay_alu instid0(VALU_DEP_2)
	v_pk_fma_f16 v90, v38, v40, v39
	ds_load_2addr_b32 v[41:42], v80 offset0:128 offset1:160
	ds_load_b128 v[37:40], v63 offset:240
	s_wait_dscnt 0x0
	v_lshrrev_b32_e32 v92, 16, v37
	v_and_b32_e32 v37, 0xffff, v37
	s_delay_alu instid0(VALU_DEP_2) | instskip(NEXT) | instid1(VALU_DEP_2)
	v_mul_u32_u24_e32 v92, 0x10001, v92
	v_mul_u32_u24_e32 v37, 0x10001, v37
	s_delay_alu instid0(VALU_DEP_1) | instskip(SKIP_3) | instid1(VALU_DEP_3)
	v_pk_fma_f16 v37, v41, v37, v90
	v_lshrrev_b32_e32 v90, 16, v38
	v_and_b32_e32 v38, 0xffff, v38
	v_pk_fma_f16 v41, v41, v92, v91
	v_mul_u32_u24_e32 v90, 0x10001, v90
	s_delay_alu instid0(VALU_DEP_3) | instskip(NEXT) | instid1(VALU_DEP_2)
	v_mul_u32_u24_e32 v38, 0x10001, v38
	v_pk_fma_f16 v41, v42, v90, v41
	s_delay_alu instid0(VALU_DEP_2) | instskip(SKIP_3) | instid1(VALU_DEP_2)
	v_pk_fma_f16 v91, v42, v38, v37
	ds_load_2addr_b32 v[37:38], v80 offset0:192 offset1:224
	v_lshrrev_b32_e32 v42, 16, v39
	v_and_b32_e32 v39, 0xffff, v39
	v_mul_u32_u24_e32 v42, 0x10001, v42
	s_delay_alu instid0(VALU_DEP_2) | instskip(SKIP_1) | instid1(VALU_DEP_1)
	v_mul_u32_u24_e32 v39, 0x10001, v39
	s_wait_dscnt 0x0
	v_pk_fma_f16 v39, v37, v39, v91
	s_delay_alu instid0(VALU_DEP_3) | instskip(SKIP_2) | instid1(VALU_DEP_2)
	v_pk_fma_f16 v37, v37, v42, v41
	v_lshrrev_b32_e32 v41, 16, v40
	v_and_b32_e32 v40, 0xffff, v40
	v_mul_u32_u24_e32 v41, 0x10001, v41
	s_delay_alu instid0(VALU_DEP_2) | instskip(NEXT) | instid1(VALU_DEP_2)
	v_mul_u32_u24_e32 v40, 0x10001, v40
	v_pk_fma_f16 v91, v38, v41, v37
	s_delay_alu instid0(VALU_DEP_2)
	v_pk_fma_f16 v90, v38, v40, v39
	ds_load_2addr_b32 v[41:42], v81 offset1:32
	ds_load_b128 v[37:40], v63 offset:256
	s_wait_dscnt 0x0
	v_lshrrev_b32_e32 v92, 16, v37
	v_and_b32_e32 v37, 0xffff, v37
	s_delay_alu instid0(VALU_DEP_2) | instskip(NEXT) | instid1(VALU_DEP_2)
	v_mul_u32_u24_e32 v92, 0x10001, v92
	v_mul_u32_u24_e32 v37, 0x10001, v37
	s_delay_alu instid0(VALU_DEP_1) | instskip(SKIP_3) | instid1(VALU_DEP_3)
	v_pk_fma_f16 v37, v41, v37, v90
	v_lshrrev_b32_e32 v90, 16, v38
	v_and_b32_e32 v38, 0xffff, v38
	v_pk_fma_f16 v41, v41, v92, v91
	v_mul_u32_u24_e32 v90, 0x10001, v90
	s_delay_alu instid0(VALU_DEP_3) | instskip(NEXT) | instid1(VALU_DEP_2)
	v_mul_u32_u24_e32 v38, 0x10001, v38
	v_pk_fma_f16 v41, v42, v90, v41
	s_delay_alu instid0(VALU_DEP_2) | instskip(SKIP_3) | instid1(VALU_DEP_2)
	v_pk_fma_f16 v91, v42, v38, v37
	ds_load_2addr_b32 v[37:38], v81 offset0:64 offset1:96
	v_lshrrev_b32_e32 v42, 16, v39
	v_and_b32_e32 v39, 0xffff, v39
	v_mul_u32_u24_e32 v42, 0x10001, v42
	s_delay_alu instid0(VALU_DEP_2) | instskip(SKIP_1) | instid1(VALU_DEP_1)
	v_mul_u32_u24_e32 v39, 0x10001, v39
	s_wait_dscnt 0x0
	v_pk_fma_f16 v39, v37, v39, v91
	s_delay_alu instid0(VALU_DEP_3) | instskip(SKIP_2) | instid1(VALU_DEP_2)
	v_pk_fma_f16 v37, v37, v42, v41
	v_lshrrev_b32_e32 v41, 16, v40
	v_and_b32_e32 v40, 0xffff, v40
	v_mul_u32_u24_e32 v41, 0x10001, v41
	s_delay_alu instid0(VALU_DEP_2) | instskip(NEXT) | instid1(VALU_DEP_2)
	v_mul_u32_u24_e32 v40, 0x10001, v40
	v_pk_fma_f16 v91, v38, v41, v37
	s_delay_alu instid0(VALU_DEP_2)
	v_pk_fma_f16 v90, v38, v40, v39
	ds_load_2addr_b32 v[41:42], v81 offset0:128 offset1:160
	ds_load_b128 v[37:40], v63 offset:272
	s_wait_dscnt 0x0
	v_lshrrev_b32_e32 v92, 16, v37
	v_and_b32_e32 v37, 0xffff, v37
	s_delay_alu instid0(VALU_DEP_2) | instskip(NEXT) | instid1(VALU_DEP_2)
	v_mul_u32_u24_e32 v92, 0x10001, v92
	v_mul_u32_u24_e32 v37, 0x10001, v37
	s_delay_alu instid0(VALU_DEP_1) | instskip(SKIP_3) | instid1(VALU_DEP_3)
	v_pk_fma_f16 v37, v41, v37, v90
	v_lshrrev_b32_e32 v90, 16, v38
	v_and_b32_e32 v38, 0xffff, v38
	v_pk_fma_f16 v41, v41, v92, v91
	v_mul_u32_u24_e32 v90, 0x10001, v90
	s_delay_alu instid0(VALU_DEP_3) | instskip(NEXT) | instid1(VALU_DEP_2)
	v_mul_u32_u24_e32 v38, 0x10001, v38
	v_pk_fma_f16 v41, v42, v90, v41
	s_delay_alu instid0(VALU_DEP_2) | instskip(SKIP_3) | instid1(VALU_DEP_2)
	v_pk_fma_f16 v91, v42, v38, v37
	ds_load_2addr_b32 v[37:38], v81 offset0:192 offset1:224
	v_lshrrev_b32_e32 v42, 16, v39
	v_and_b32_e32 v39, 0xffff, v39
	v_mul_u32_u24_e32 v42, 0x10001, v42
	s_delay_alu instid0(VALU_DEP_2) | instskip(SKIP_1) | instid1(VALU_DEP_1)
	v_mul_u32_u24_e32 v39, 0x10001, v39
	s_wait_dscnt 0x0
	v_pk_fma_f16 v39, v37, v39, v91
	s_delay_alu instid0(VALU_DEP_3) | instskip(SKIP_2) | instid1(VALU_DEP_2)
	v_pk_fma_f16 v37, v37, v42, v41
	v_lshrrev_b32_e32 v41, 16, v40
	v_and_b32_e32 v40, 0xffff, v40
	v_mul_u32_u24_e32 v41, 0x10001, v41
	s_delay_alu instid0(VALU_DEP_2) | instskip(NEXT) | instid1(VALU_DEP_2)
	v_mul_u32_u24_e32 v40, 0x10001, v40
	v_pk_fma_f16 v91, v38, v41, v37
	s_delay_alu instid0(VALU_DEP_2)
	v_pk_fma_f16 v90, v38, v40, v39
	ds_load_2addr_b32 v[41:42], v82 offset1:32
	ds_load_b128 v[37:40], v63 offset:288
	s_wait_dscnt 0x0
	v_lshrrev_b32_e32 v92, 16, v37
	v_and_b32_e32 v37, 0xffff, v37
	s_delay_alu instid0(VALU_DEP_2) | instskip(NEXT) | instid1(VALU_DEP_2)
	v_mul_u32_u24_e32 v92, 0x10001, v92
	v_mul_u32_u24_e32 v37, 0x10001, v37
	s_delay_alu instid0(VALU_DEP_1) | instskip(SKIP_3) | instid1(VALU_DEP_3)
	v_pk_fma_f16 v37, v41, v37, v90
	v_lshrrev_b32_e32 v90, 16, v38
	v_and_b32_e32 v38, 0xffff, v38
	v_pk_fma_f16 v41, v41, v92, v91
	v_mul_u32_u24_e32 v90, 0x10001, v90
	s_delay_alu instid0(VALU_DEP_3) | instskip(NEXT) | instid1(VALU_DEP_2)
	v_mul_u32_u24_e32 v38, 0x10001, v38
	v_pk_fma_f16 v41, v42, v90, v41
	s_delay_alu instid0(VALU_DEP_2) | instskip(SKIP_3) | instid1(VALU_DEP_2)
	v_pk_fma_f16 v91, v42, v38, v37
	ds_load_2addr_b32 v[37:38], v82 offset0:64 offset1:96
	v_lshrrev_b32_e32 v42, 16, v39
	v_and_b32_e32 v39, 0xffff, v39
	v_mul_u32_u24_e32 v42, 0x10001, v42
	s_delay_alu instid0(VALU_DEP_2) | instskip(SKIP_1) | instid1(VALU_DEP_1)
	v_mul_u32_u24_e32 v39, 0x10001, v39
	s_wait_dscnt 0x0
	v_pk_fma_f16 v39, v37, v39, v91
	s_delay_alu instid0(VALU_DEP_3) | instskip(SKIP_2) | instid1(VALU_DEP_2)
	v_pk_fma_f16 v37, v37, v42, v41
	v_lshrrev_b32_e32 v41, 16, v40
	v_and_b32_e32 v40, 0xffff, v40
	v_mul_u32_u24_e32 v41, 0x10001, v41
	s_delay_alu instid0(VALU_DEP_2) | instskip(NEXT) | instid1(VALU_DEP_2)
	v_mul_u32_u24_e32 v40, 0x10001, v40
	v_pk_fma_f16 v91, v38, v41, v37
	s_delay_alu instid0(VALU_DEP_2)
	v_pk_fma_f16 v90, v38, v40, v39
	ds_load_2addr_b32 v[41:42], v82 offset0:128 offset1:160
	ds_load_b128 v[37:40], v63 offset:304
	s_wait_dscnt 0x0
	v_lshrrev_b32_e32 v92, 16, v37
	v_and_b32_e32 v37, 0xffff, v37
	s_delay_alu instid0(VALU_DEP_2) | instskip(NEXT) | instid1(VALU_DEP_2)
	v_mul_u32_u24_e32 v92, 0x10001, v92
	v_mul_u32_u24_e32 v37, 0x10001, v37
	s_delay_alu instid0(VALU_DEP_1) | instskip(SKIP_3) | instid1(VALU_DEP_3)
	v_pk_fma_f16 v37, v41, v37, v90
	v_lshrrev_b32_e32 v90, 16, v38
	v_and_b32_e32 v38, 0xffff, v38
	v_pk_fma_f16 v41, v41, v92, v91
	v_mul_u32_u24_e32 v90, 0x10001, v90
	s_delay_alu instid0(VALU_DEP_3) | instskip(NEXT) | instid1(VALU_DEP_2)
	v_mul_u32_u24_e32 v38, 0x10001, v38
	v_pk_fma_f16 v41, v42, v90, v41
	s_delay_alu instid0(VALU_DEP_2) | instskip(SKIP_3) | instid1(VALU_DEP_2)
	v_pk_fma_f16 v91, v42, v38, v37
	ds_load_2addr_b32 v[37:38], v82 offset0:192 offset1:224
	v_lshrrev_b32_e32 v42, 16, v39
	v_and_b32_e32 v39, 0xffff, v39
	v_mul_u32_u24_e32 v42, 0x10001, v42
	s_delay_alu instid0(VALU_DEP_2) | instskip(SKIP_1) | instid1(VALU_DEP_1)
	v_mul_u32_u24_e32 v39, 0x10001, v39
	s_wait_dscnt 0x0
	v_pk_fma_f16 v39, v37, v39, v91
	s_delay_alu instid0(VALU_DEP_3) | instskip(SKIP_2) | instid1(VALU_DEP_2)
	v_pk_fma_f16 v37, v37, v42, v41
	v_lshrrev_b32_e32 v41, 16, v40
	v_and_b32_e32 v40, 0xffff, v40
	v_mul_u32_u24_e32 v41, 0x10001, v41
	s_delay_alu instid0(VALU_DEP_2) | instskip(NEXT) | instid1(VALU_DEP_2)
	v_mul_u32_u24_e32 v40, 0x10001, v40
	v_pk_fma_f16 v91, v38, v41, v37
	s_delay_alu instid0(VALU_DEP_2)
	v_pk_fma_f16 v90, v38, v40, v39
	ds_load_2addr_b32 v[41:42], v83 offset1:32
	ds_load_b128 v[37:40], v63 offset:320
	s_wait_dscnt 0x0
	v_lshrrev_b32_e32 v92, 16, v37
	v_and_b32_e32 v37, 0xffff, v37
	s_delay_alu instid0(VALU_DEP_2) | instskip(NEXT) | instid1(VALU_DEP_2)
	v_mul_u32_u24_e32 v92, 0x10001, v92
	v_mul_u32_u24_e32 v37, 0x10001, v37
	s_delay_alu instid0(VALU_DEP_1) | instskip(SKIP_3) | instid1(VALU_DEP_3)
	v_pk_fma_f16 v37, v41, v37, v90
	v_lshrrev_b32_e32 v90, 16, v38
	v_and_b32_e32 v38, 0xffff, v38
	v_pk_fma_f16 v41, v41, v92, v91
	v_mul_u32_u24_e32 v90, 0x10001, v90
	s_delay_alu instid0(VALU_DEP_3) | instskip(NEXT) | instid1(VALU_DEP_2)
	v_mul_u32_u24_e32 v38, 0x10001, v38
	v_pk_fma_f16 v41, v42, v90, v41
	s_delay_alu instid0(VALU_DEP_2) | instskip(SKIP_3) | instid1(VALU_DEP_2)
	v_pk_fma_f16 v91, v42, v38, v37
	ds_load_2addr_b32 v[37:38], v83 offset0:64 offset1:96
	v_lshrrev_b32_e32 v42, 16, v39
	v_and_b32_e32 v39, 0xffff, v39
	v_mul_u32_u24_e32 v42, 0x10001, v42
	s_delay_alu instid0(VALU_DEP_2) | instskip(SKIP_1) | instid1(VALU_DEP_1)
	v_mul_u32_u24_e32 v39, 0x10001, v39
	s_wait_dscnt 0x0
	v_pk_fma_f16 v39, v37, v39, v91
	s_delay_alu instid0(VALU_DEP_3) | instskip(SKIP_2) | instid1(VALU_DEP_2)
	v_pk_fma_f16 v37, v37, v42, v41
	v_lshrrev_b32_e32 v41, 16, v40
	v_and_b32_e32 v40, 0xffff, v40
	v_mul_u32_u24_e32 v41, 0x10001, v41
	s_delay_alu instid0(VALU_DEP_2) | instskip(NEXT) | instid1(VALU_DEP_2)
	v_mul_u32_u24_e32 v40, 0x10001, v40
	v_pk_fma_f16 v91, v38, v41, v37
	s_delay_alu instid0(VALU_DEP_2)
	v_pk_fma_f16 v90, v38, v40, v39
	ds_load_2addr_b32 v[41:42], v83 offset0:128 offset1:160
	ds_load_b128 v[37:40], v63 offset:336
	s_wait_dscnt 0x0
	v_lshrrev_b32_e32 v92, 16, v37
	v_and_b32_e32 v37, 0xffff, v37
	s_delay_alu instid0(VALU_DEP_2) | instskip(NEXT) | instid1(VALU_DEP_2)
	v_mul_u32_u24_e32 v92, 0x10001, v92
	v_mul_u32_u24_e32 v37, 0x10001, v37
	s_delay_alu instid0(VALU_DEP_1) | instskip(SKIP_3) | instid1(VALU_DEP_3)
	v_pk_fma_f16 v37, v41, v37, v90
	v_lshrrev_b32_e32 v90, 16, v38
	v_and_b32_e32 v38, 0xffff, v38
	v_pk_fma_f16 v41, v41, v92, v91
	v_mul_u32_u24_e32 v90, 0x10001, v90
	s_delay_alu instid0(VALU_DEP_3) | instskip(NEXT) | instid1(VALU_DEP_2)
	v_mul_u32_u24_e32 v38, 0x10001, v38
	v_pk_fma_f16 v41, v42, v90, v41
	s_delay_alu instid0(VALU_DEP_2) | instskip(SKIP_3) | instid1(VALU_DEP_2)
	v_pk_fma_f16 v91, v42, v38, v37
	ds_load_2addr_b32 v[37:38], v83 offset0:192 offset1:224
	v_lshrrev_b32_e32 v42, 16, v39
	v_and_b32_e32 v39, 0xffff, v39
	v_mul_u32_u24_e32 v42, 0x10001, v42
	s_delay_alu instid0(VALU_DEP_2) | instskip(SKIP_1) | instid1(VALU_DEP_1)
	v_mul_u32_u24_e32 v39, 0x10001, v39
	s_wait_dscnt 0x0
	v_pk_fma_f16 v39, v37, v39, v91
	s_delay_alu instid0(VALU_DEP_3) | instskip(SKIP_2) | instid1(VALU_DEP_2)
	v_pk_fma_f16 v37, v37, v42, v41
	v_lshrrev_b32_e32 v41, 16, v40
	v_and_b32_e32 v40, 0xffff, v40
	v_mul_u32_u24_e32 v41, 0x10001, v41
	s_delay_alu instid0(VALU_DEP_2) | instskip(NEXT) | instid1(VALU_DEP_2)
	v_mul_u32_u24_e32 v40, 0x10001, v40
	v_pk_fma_f16 v91, v38, v41, v37
	s_delay_alu instid0(VALU_DEP_2)
	v_pk_fma_f16 v90, v38, v40, v39
	ds_load_2addr_b32 v[41:42], v84 offset1:32
	ds_load_b128 v[37:40], v63 offset:352
	s_wait_dscnt 0x0
	v_lshrrev_b32_e32 v92, 16, v37
	v_and_b32_e32 v37, 0xffff, v37
	s_delay_alu instid0(VALU_DEP_2) | instskip(NEXT) | instid1(VALU_DEP_2)
	v_mul_u32_u24_e32 v92, 0x10001, v92
	v_mul_u32_u24_e32 v37, 0x10001, v37
	s_delay_alu instid0(VALU_DEP_1) | instskip(SKIP_3) | instid1(VALU_DEP_3)
	v_pk_fma_f16 v37, v41, v37, v90
	v_lshrrev_b32_e32 v90, 16, v38
	v_and_b32_e32 v38, 0xffff, v38
	v_pk_fma_f16 v41, v41, v92, v91
	v_mul_u32_u24_e32 v90, 0x10001, v90
	s_delay_alu instid0(VALU_DEP_3) | instskip(NEXT) | instid1(VALU_DEP_2)
	v_mul_u32_u24_e32 v38, 0x10001, v38
	v_pk_fma_f16 v41, v42, v90, v41
	s_delay_alu instid0(VALU_DEP_2) | instskip(SKIP_3) | instid1(VALU_DEP_2)
	v_pk_fma_f16 v91, v42, v38, v37
	ds_load_2addr_b32 v[37:38], v84 offset0:64 offset1:96
	v_lshrrev_b32_e32 v42, 16, v39
	v_and_b32_e32 v39, 0xffff, v39
	v_mul_u32_u24_e32 v42, 0x10001, v42
	s_delay_alu instid0(VALU_DEP_2) | instskip(SKIP_1) | instid1(VALU_DEP_1)
	v_mul_u32_u24_e32 v39, 0x10001, v39
	s_wait_dscnt 0x0
	v_pk_fma_f16 v39, v37, v39, v91
	s_delay_alu instid0(VALU_DEP_3) | instskip(SKIP_2) | instid1(VALU_DEP_2)
	v_pk_fma_f16 v37, v37, v42, v41
	v_lshrrev_b32_e32 v41, 16, v40
	v_and_b32_e32 v40, 0xffff, v40
	v_mul_u32_u24_e32 v41, 0x10001, v41
	s_delay_alu instid0(VALU_DEP_2) | instskip(NEXT) | instid1(VALU_DEP_2)
	v_mul_u32_u24_e32 v40, 0x10001, v40
	v_pk_fma_f16 v91, v38, v41, v37
	s_delay_alu instid0(VALU_DEP_2)
	v_pk_fma_f16 v90, v38, v40, v39
	ds_load_2addr_b32 v[41:42], v84 offset0:128 offset1:160
	ds_load_b128 v[37:40], v63 offset:368
	s_wait_dscnt 0x0
	v_lshrrev_b32_e32 v92, 16, v37
	v_and_b32_e32 v37, 0xffff, v37
	s_delay_alu instid0(VALU_DEP_2) | instskip(NEXT) | instid1(VALU_DEP_2)
	v_mul_u32_u24_e32 v92, 0x10001, v92
	v_mul_u32_u24_e32 v37, 0x10001, v37
	s_delay_alu instid0(VALU_DEP_1) | instskip(SKIP_3) | instid1(VALU_DEP_3)
	v_pk_fma_f16 v37, v41, v37, v90
	v_lshrrev_b32_e32 v90, 16, v38
	v_and_b32_e32 v38, 0xffff, v38
	v_pk_fma_f16 v41, v41, v92, v91
	v_mul_u32_u24_e32 v90, 0x10001, v90
	s_delay_alu instid0(VALU_DEP_3) | instskip(NEXT) | instid1(VALU_DEP_2)
	v_mul_u32_u24_e32 v38, 0x10001, v38
	v_pk_fma_f16 v41, v42, v90, v41
	s_delay_alu instid0(VALU_DEP_2) | instskip(SKIP_3) | instid1(VALU_DEP_2)
	v_pk_fma_f16 v91, v42, v38, v37
	ds_load_2addr_b32 v[37:38], v84 offset0:192 offset1:224
	v_lshrrev_b32_e32 v42, 16, v39
	v_and_b32_e32 v39, 0xffff, v39
	v_mul_u32_u24_e32 v42, 0x10001, v42
	s_delay_alu instid0(VALU_DEP_2) | instskip(SKIP_1) | instid1(VALU_DEP_1)
	v_mul_u32_u24_e32 v39, 0x10001, v39
	s_wait_dscnt 0x0
	v_pk_fma_f16 v39, v37, v39, v91
	s_delay_alu instid0(VALU_DEP_3) | instskip(SKIP_2) | instid1(VALU_DEP_2)
	v_pk_fma_f16 v37, v37, v42, v41
	v_lshrrev_b32_e32 v41, 16, v40
	v_and_b32_e32 v40, 0xffff, v40
	v_mul_u32_u24_e32 v41, 0x10001, v41
	s_delay_alu instid0(VALU_DEP_2) | instskip(NEXT) | instid1(VALU_DEP_2)
	v_mul_u32_u24_e32 v40, 0x10001, v40
	v_pk_fma_f16 v91, v38, v41, v37
	s_delay_alu instid0(VALU_DEP_2)
	v_pk_fma_f16 v90, v38, v40, v39
	ds_load_2addr_b32 v[41:42], v85 offset1:32
	ds_load_b128 v[37:40], v63 offset:384
	s_wait_dscnt 0x0
	v_lshrrev_b32_e32 v92, 16, v37
	v_and_b32_e32 v37, 0xffff, v37
	s_delay_alu instid0(VALU_DEP_2) | instskip(NEXT) | instid1(VALU_DEP_2)
	v_mul_u32_u24_e32 v92, 0x10001, v92
	v_mul_u32_u24_e32 v37, 0x10001, v37
	s_delay_alu instid0(VALU_DEP_1) | instskip(SKIP_3) | instid1(VALU_DEP_3)
	v_pk_fma_f16 v37, v41, v37, v90
	v_lshrrev_b32_e32 v90, 16, v38
	v_and_b32_e32 v38, 0xffff, v38
	v_pk_fma_f16 v41, v41, v92, v91
	v_mul_u32_u24_e32 v90, 0x10001, v90
	s_delay_alu instid0(VALU_DEP_3) | instskip(NEXT) | instid1(VALU_DEP_2)
	v_mul_u32_u24_e32 v38, 0x10001, v38
	v_pk_fma_f16 v41, v42, v90, v41
	s_delay_alu instid0(VALU_DEP_2) | instskip(SKIP_3) | instid1(VALU_DEP_2)
	v_pk_fma_f16 v91, v42, v38, v37
	ds_load_2addr_b32 v[37:38], v85 offset0:64 offset1:96
	v_lshrrev_b32_e32 v42, 16, v39
	v_and_b32_e32 v39, 0xffff, v39
	v_mul_u32_u24_e32 v42, 0x10001, v42
	s_delay_alu instid0(VALU_DEP_2) | instskip(SKIP_1) | instid1(VALU_DEP_1)
	v_mul_u32_u24_e32 v39, 0x10001, v39
	s_wait_dscnt 0x0
	v_pk_fma_f16 v39, v37, v39, v91
	s_delay_alu instid0(VALU_DEP_3) | instskip(SKIP_2) | instid1(VALU_DEP_2)
	v_pk_fma_f16 v37, v37, v42, v41
	v_lshrrev_b32_e32 v41, 16, v40
	v_and_b32_e32 v40, 0xffff, v40
	v_mul_u32_u24_e32 v41, 0x10001, v41
	s_delay_alu instid0(VALU_DEP_2) | instskip(NEXT) | instid1(VALU_DEP_2)
	v_mul_u32_u24_e32 v40, 0x10001, v40
	v_pk_fma_f16 v91, v38, v41, v37
	s_delay_alu instid0(VALU_DEP_2)
	v_pk_fma_f16 v90, v38, v40, v39
	ds_load_2addr_b32 v[41:42], v85 offset0:128 offset1:160
	ds_load_b128 v[37:40], v63 offset:400
	s_wait_dscnt 0x0
	v_lshrrev_b32_e32 v92, 16, v37
	v_and_b32_e32 v37, 0xffff, v37
	s_delay_alu instid0(VALU_DEP_2) | instskip(NEXT) | instid1(VALU_DEP_2)
	v_mul_u32_u24_e32 v92, 0x10001, v92
	v_mul_u32_u24_e32 v37, 0x10001, v37
	s_delay_alu instid0(VALU_DEP_1) | instskip(SKIP_3) | instid1(VALU_DEP_3)
	v_pk_fma_f16 v37, v41, v37, v90
	v_lshrrev_b32_e32 v90, 16, v38
	v_and_b32_e32 v38, 0xffff, v38
	v_pk_fma_f16 v41, v41, v92, v91
	v_mul_u32_u24_e32 v90, 0x10001, v90
	s_delay_alu instid0(VALU_DEP_3) | instskip(NEXT) | instid1(VALU_DEP_2)
	v_mul_u32_u24_e32 v38, 0x10001, v38
	v_pk_fma_f16 v41, v42, v90, v41
	s_delay_alu instid0(VALU_DEP_2) | instskip(SKIP_3) | instid1(VALU_DEP_2)
	v_pk_fma_f16 v91, v42, v38, v37
	ds_load_2addr_b32 v[37:38], v85 offset0:192 offset1:224
	v_lshrrev_b32_e32 v42, 16, v39
	v_and_b32_e32 v39, 0xffff, v39
	v_mul_u32_u24_e32 v42, 0x10001, v42
	s_delay_alu instid0(VALU_DEP_2) | instskip(SKIP_1) | instid1(VALU_DEP_1)
	v_mul_u32_u24_e32 v39, 0x10001, v39
	s_wait_dscnt 0x0
	v_pk_fma_f16 v39, v37, v39, v91
	s_delay_alu instid0(VALU_DEP_3) | instskip(SKIP_2) | instid1(VALU_DEP_2)
	v_pk_fma_f16 v37, v37, v42, v41
	v_lshrrev_b32_e32 v41, 16, v40
	v_and_b32_e32 v40, 0xffff, v40
	v_mul_u32_u24_e32 v41, 0x10001, v41
	s_delay_alu instid0(VALU_DEP_2) | instskip(NEXT) | instid1(VALU_DEP_2)
	v_mul_u32_u24_e32 v40, 0x10001, v40
	v_pk_fma_f16 v91, v38, v41, v37
	s_delay_alu instid0(VALU_DEP_2)
	v_pk_fma_f16 v90, v38, v40, v39
	ds_load_2addr_b32 v[41:42], v86 offset1:32
	ds_load_b128 v[37:40], v63 offset:416
	s_wait_dscnt 0x0
	v_lshrrev_b32_e32 v92, 16, v37
	v_and_b32_e32 v37, 0xffff, v37
	s_delay_alu instid0(VALU_DEP_2) | instskip(NEXT) | instid1(VALU_DEP_2)
	v_mul_u32_u24_e32 v92, 0x10001, v92
	v_mul_u32_u24_e32 v37, 0x10001, v37
	s_delay_alu instid0(VALU_DEP_1) | instskip(SKIP_3) | instid1(VALU_DEP_3)
	v_pk_fma_f16 v37, v41, v37, v90
	v_lshrrev_b32_e32 v90, 16, v38
	v_and_b32_e32 v38, 0xffff, v38
	v_pk_fma_f16 v41, v41, v92, v91
	v_mul_u32_u24_e32 v90, 0x10001, v90
	s_delay_alu instid0(VALU_DEP_3) | instskip(NEXT) | instid1(VALU_DEP_2)
	v_mul_u32_u24_e32 v38, 0x10001, v38
	v_pk_fma_f16 v41, v42, v90, v41
	s_delay_alu instid0(VALU_DEP_2) | instskip(SKIP_3) | instid1(VALU_DEP_2)
	v_pk_fma_f16 v91, v42, v38, v37
	ds_load_2addr_b32 v[37:38], v86 offset0:64 offset1:96
	v_lshrrev_b32_e32 v42, 16, v39
	v_and_b32_e32 v39, 0xffff, v39
	v_mul_u32_u24_e32 v42, 0x10001, v42
	s_delay_alu instid0(VALU_DEP_2) | instskip(SKIP_1) | instid1(VALU_DEP_1)
	v_mul_u32_u24_e32 v39, 0x10001, v39
	s_wait_dscnt 0x0
	v_pk_fma_f16 v39, v37, v39, v91
	s_delay_alu instid0(VALU_DEP_3) | instskip(SKIP_2) | instid1(VALU_DEP_2)
	v_pk_fma_f16 v37, v37, v42, v41
	v_lshrrev_b32_e32 v41, 16, v40
	v_and_b32_e32 v40, 0xffff, v40
	v_mul_u32_u24_e32 v41, 0x10001, v41
	s_delay_alu instid0(VALU_DEP_2) | instskip(NEXT) | instid1(VALU_DEP_2)
	v_mul_u32_u24_e32 v40, 0x10001, v40
	v_pk_fma_f16 v91, v38, v41, v37
	s_delay_alu instid0(VALU_DEP_2)
	v_pk_fma_f16 v90, v38, v40, v39
	ds_load_2addr_b32 v[41:42], v86 offset0:128 offset1:160
	ds_load_b128 v[37:40], v63 offset:432
	s_wait_dscnt 0x0
	v_lshrrev_b32_e32 v92, 16, v37
	v_and_b32_e32 v37, 0xffff, v37
	s_delay_alu instid0(VALU_DEP_2) | instskip(NEXT) | instid1(VALU_DEP_2)
	v_mul_u32_u24_e32 v92, 0x10001, v92
	v_mul_u32_u24_e32 v37, 0x10001, v37
	s_delay_alu instid0(VALU_DEP_1) | instskip(SKIP_3) | instid1(VALU_DEP_3)
	v_pk_fma_f16 v37, v41, v37, v90
	v_lshrrev_b32_e32 v90, 16, v38
	v_and_b32_e32 v38, 0xffff, v38
	v_pk_fma_f16 v41, v41, v92, v91
	v_mul_u32_u24_e32 v90, 0x10001, v90
	s_delay_alu instid0(VALU_DEP_3) | instskip(NEXT) | instid1(VALU_DEP_2)
	v_mul_u32_u24_e32 v38, 0x10001, v38
	v_pk_fma_f16 v41, v42, v90, v41
	s_delay_alu instid0(VALU_DEP_2) | instskip(SKIP_3) | instid1(VALU_DEP_2)
	v_pk_fma_f16 v91, v42, v38, v37
	ds_load_2addr_b32 v[37:38], v86 offset0:192 offset1:224
	v_lshrrev_b32_e32 v42, 16, v39
	v_and_b32_e32 v39, 0xffff, v39
	v_mul_u32_u24_e32 v42, 0x10001, v42
	s_delay_alu instid0(VALU_DEP_2) | instskip(SKIP_1) | instid1(VALU_DEP_1)
	v_mul_u32_u24_e32 v39, 0x10001, v39
	s_wait_dscnt 0x0
	v_pk_fma_f16 v39, v37, v39, v91
	s_delay_alu instid0(VALU_DEP_3) | instskip(SKIP_2) | instid1(VALU_DEP_2)
	v_pk_fma_f16 v37, v37, v42, v41
	v_lshrrev_b32_e32 v41, 16, v40
	v_and_b32_e32 v40, 0xffff, v40
	v_mul_u32_u24_e32 v41, 0x10001, v41
	s_delay_alu instid0(VALU_DEP_2) | instskip(NEXT) | instid1(VALU_DEP_2)
	v_mul_u32_u24_e32 v40, 0x10001, v40
	v_pk_fma_f16 v91, v38, v41, v37
	s_delay_alu instid0(VALU_DEP_2)
	v_pk_fma_f16 v90, v38, v40, v39
	ds_load_2addr_b32 v[41:42], v87 offset1:32
	ds_load_b128 v[37:40], v63 offset:448
	s_wait_dscnt 0x0
	v_lshrrev_b32_e32 v92, 16, v37
	v_and_b32_e32 v37, 0xffff, v37
	s_delay_alu instid0(VALU_DEP_2) | instskip(NEXT) | instid1(VALU_DEP_2)
	v_mul_u32_u24_e32 v92, 0x10001, v92
	v_mul_u32_u24_e32 v37, 0x10001, v37
	s_delay_alu instid0(VALU_DEP_1) | instskip(SKIP_3) | instid1(VALU_DEP_3)
	v_pk_fma_f16 v37, v41, v37, v90
	v_lshrrev_b32_e32 v90, 16, v38
	v_and_b32_e32 v38, 0xffff, v38
	v_pk_fma_f16 v41, v41, v92, v91
	v_mul_u32_u24_e32 v90, 0x10001, v90
	s_delay_alu instid0(VALU_DEP_3) | instskip(NEXT) | instid1(VALU_DEP_2)
	v_mul_u32_u24_e32 v38, 0x10001, v38
	v_pk_fma_f16 v41, v42, v90, v41
	s_delay_alu instid0(VALU_DEP_2) | instskip(SKIP_3) | instid1(VALU_DEP_2)
	v_pk_fma_f16 v91, v42, v38, v37
	ds_load_2addr_b32 v[37:38], v87 offset0:64 offset1:96
	v_lshrrev_b32_e32 v42, 16, v39
	v_and_b32_e32 v39, 0xffff, v39
	v_mul_u32_u24_e32 v42, 0x10001, v42
	s_delay_alu instid0(VALU_DEP_2) | instskip(SKIP_1) | instid1(VALU_DEP_1)
	v_mul_u32_u24_e32 v39, 0x10001, v39
	s_wait_dscnt 0x0
	v_pk_fma_f16 v39, v37, v39, v91
	s_delay_alu instid0(VALU_DEP_3) | instskip(SKIP_2) | instid1(VALU_DEP_2)
	v_pk_fma_f16 v37, v37, v42, v41
	v_lshrrev_b32_e32 v41, 16, v40
	v_and_b32_e32 v40, 0xffff, v40
	v_mul_u32_u24_e32 v41, 0x10001, v41
	s_delay_alu instid0(VALU_DEP_2) | instskip(NEXT) | instid1(VALU_DEP_2)
	v_mul_u32_u24_e32 v40, 0x10001, v40
	v_pk_fma_f16 v91, v38, v41, v37
	s_delay_alu instid0(VALU_DEP_2)
	v_pk_fma_f16 v90, v38, v40, v39
	ds_load_2addr_b32 v[41:42], v87 offset0:128 offset1:160
	ds_load_b128 v[37:40], v63 offset:464
	s_wait_dscnt 0x0
	v_lshrrev_b32_e32 v92, 16, v37
	v_and_b32_e32 v37, 0xffff, v37
	s_delay_alu instid0(VALU_DEP_2) | instskip(NEXT) | instid1(VALU_DEP_2)
	v_mul_u32_u24_e32 v92, 0x10001, v92
	v_mul_u32_u24_e32 v37, 0x10001, v37
	s_delay_alu instid0(VALU_DEP_1) | instskip(SKIP_3) | instid1(VALU_DEP_3)
	v_pk_fma_f16 v37, v41, v37, v90
	v_lshrrev_b32_e32 v90, 16, v38
	v_and_b32_e32 v38, 0xffff, v38
	v_pk_fma_f16 v41, v41, v92, v91
	v_mul_u32_u24_e32 v90, 0x10001, v90
	s_delay_alu instid0(VALU_DEP_3) | instskip(NEXT) | instid1(VALU_DEP_2)
	v_mul_u32_u24_e32 v38, 0x10001, v38
	v_pk_fma_f16 v41, v42, v90, v41
	s_delay_alu instid0(VALU_DEP_2) | instskip(SKIP_3) | instid1(VALU_DEP_2)
	v_pk_fma_f16 v91, v42, v38, v37
	ds_load_2addr_b32 v[37:38], v87 offset0:192 offset1:224
	v_lshrrev_b32_e32 v42, 16, v39
	v_and_b32_e32 v39, 0xffff, v39
	v_mul_u32_u24_e32 v42, 0x10001, v42
	s_delay_alu instid0(VALU_DEP_2) | instskip(SKIP_1) | instid1(VALU_DEP_1)
	v_mul_u32_u24_e32 v39, 0x10001, v39
	s_wait_dscnt 0x0
	v_pk_fma_f16 v39, v37, v39, v91
	s_delay_alu instid0(VALU_DEP_3) | instskip(SKIP_2) | instid1(VALU_DEP_2)
	v_pk_fma_f16 v37, v37, v42, v41
	v_lshrrev_b32_e32 v41, 16, v40
	v_and_b32_e32 v40, 0xffff, v40
	v_mul_u32_u24_e32 v41, 0x10001, v41
	s_delay_alu instid0(VALU_DEP_2) | instskip(NEXT) | instid1(VALU_DEP_2)
	v_mul_u32_u24_e32 v40, 0x10001, v40
	v_pk_fma_f16 v91, v38, v41, v37
	s_delay_alu instid0(VALU_DEP_2)
	v_pk_fma_f16 v90, v38, v40, v39
	ds_load_2addr_b32 v[41:42], v88 offset1:32
	ds_load_b128 v[37:40], v63 offset:480
	s_wait_dscnt 0x0
	v_lshrrev_b32_e32 v92, 16, v37
	v_and_b32_e32 v37, 0xffff, v37
	s_delay_alu instid0(VALU_DEP_2) | instskip(NEXT) | instid1(VALU_DEP_2)
	v_mul_u32_u24_e32 v92, 0x10001, v92
	v_mul_u32_u24_e32 v37, 0x10001, v37
	s_delay_alu instid0(VALU_DEP_1) | instskip(SKIP_3) | instid1(VALU_DEP_3)
	v_pk_fma_f16 v37, v41, v37, v90
	v_lshrrev_b32_e32 v90, 16, v38
	v_and_b32_e32 v38, 0xffff, v38
	v_pk_fma_f16 v41, v41, v92, v91
	v_mul_u32_u24_e32 v90, 0x10001, v90
	s_delay_alu instid0(VALU_DEP_3) | instskip(NEXT) | instid1(VALU_DEP_2)
	v_mul_u32_u24_e32 v38, 0x10001, v38
	v_pk_fma_f16 v41, v42, v90, v41
	s_delay_alu instid0(VALU_DEP_2) | instskip(SKIP_3) | instid1(VALU_DEP_2)
	v_pk_fma_f16 v91, v42, v38, v37
	ds_load_2addr_b32 v[37:38], v88 offset0:64 offset1:96
	v_lshrrev_b32_e32 v42, 16, v39
	v_and_b32_e32 v39, 0xffff, v39
	v_mul_u32_u24_e32 v42, 0x10001, v42
	s_delay_alu instid0(VALU_DEP_2) | instskip(SKIP_1) | instid1(VALU_DEP_1)
	v_mul_u32_u24_e32 v39, 0x10001, v39
	s_wait_dscnt 0x0
	v_pk_fma_f16 v39, v37, v39, v91
	s_delay_alu instid0(VALU_DEP_3) | instskip(SKIP_2) | instid1(VALU_DEP_2)
	v_pk_fma_f16 v37, v37, v42, v41
	v_lshrrev_b32_e32 v41, 16, v40
	v_and_b32_e32 v40, 0xffff, v40
	v_mul_u32_u24_e32 v41, 0x10001, v41
	s_delay_alu instid0(VALU_DEP_2) | instskip(NEXT) | instid1(VALU_DEP_2)
	v_mul_u32_u24_e32 v40, 0x10001, v40
	v_pk_fma_f16 v37, v38, v41, v37
	s_delay_alu instid0(VALU_DEP_2)
	v_pk_fma_f16 v42, v38, v40, v39
	ds_load_2addr_b32 v[90:91], v88 offset0:128 offset1:160
	ds_load_b128 v[38:41], v63 offset:496
	s_wait_dscnt 0x0
	v_lshrrev_b32_e32 v92, 16, v38
	v_and_b32_e32 v38, 0xffff, v38
	s_delay_alu instid0(VALU_DEP_2) | instskip(NEXT) | instid1(VALU_DEP_2)
	v_mul_u32_u24_e32 v92, 0x10001, v92
	v_mul_u32_u24_e32 v38, 0x10001, v38
	s_delay_alu instid0(VALU_DEP_2) | instskip(NEXT) | instid1(VALU_DEP_2)
	v_pk_fma_f16 v37, v90, v92, v37
	v_pk_fma_f16 v38, v90, v38, v42
	v_lshrrev_b32_e32 v42, 16, v39
	v_and_b32_e32 v39, 0xffff, v39
	v_lshrrev_b32_e32 v90, 16, v40
	v_and_b32_e32 v40, 0xffff, v40
	s_delay_alu instid0(VALU_DEP_4) | instskip(NEXT) | instid1(VALU_DEP_4)
	v_mul_u32_u24_e32 v42, 0x10001, v42
	v_mul_u32_u24_e32 v39, 0x10001, v39
	s_delay_alu instid0(VALU_DEP_4) | instskip(NEXT) | instid1(VALU_DEP_4)
	v_mul_u32_u24_e32 v90, 0x10001, v90
	v_mul_u32_u24_e32 v40, 0x10001, v40
	s_delay_alu instid0(VALU_DEP_4) | instskip(NEXT) | instid1(VALU_DEP_4)
	v_pk_fma_f16 v42, v91, v42, v37
	v_pk_fma_f16 v39, v91, v39, v38
	ds_load_2addr_b32 v[37:38], v88 offset0:192 offset1:224
	s_wait_loadcnt_dscnt 0x0
	s_barrier_signal -1
	s_barrier_wait -1
	global_inv scope:SCOPE_SE
	s_load_b32 s3, s[24:25], 0x4
	v_pk_fma_f16 v39, v37, v40, v39
	v_lshrrev_b32_e32 v40, 16, v41
	v_and_b32_e32 v41, 0xffff, v41
	v_pk_fma_f16 v37, v37, v90, v42
	s_wait_kmcnt 0x0
	s_lshl_b32 s3, s3, 7
	v_mul_u32_u24_e32 v40, 0x10001, v40
	v_mul_u32_u24_e32 v41, 0x10001, v41
	s_wait_alu 0xfffe
	s_add_co_i32 s10, s3, s10
	s_wait_alu 0xfffe
	s_cmp_ge_i32 s10, s28
	v_pk_fma_f16 v90, v38, v40, v37
	v_pk_fma_f16 v91, v38, v41, v39
	s_cbranch_scc0 .LBB13_9
; %bb.10:
	v_mov_b32_e32 v5, v44
.LBB13_11:
	v_lshlrev_b32_e32 v7, 1, v0
	v_cmp_lt_i32_e32 vcc_lo, v53, v46
	s_cmp_lg_u64 s[12:13], 0
	s_cselect_b32 s3, -1, 0
	s_cmp_eq_u32 s4, 0
	s_wait_alu 0xfffd
	v_cndmask_b32_e32 v2, v5, v53, vcc_lo
	v_cmp_lt_i32_e32 vcc_lo, v52, v46
	s_cselect_b32 s5, -1, 0
	s_wait_alu 0xfffe
	s_and_b32 s3, s5, s3
	v_lshlrev_b32_e32 v2, 2, v2
	s_wait_alu 0xfffd
	v_cndmask_b32_e32 v4, v5, v52, vcc_lo
	v_cmp_lt_i32_e32 vcc_lo, v51, v46
	ds_bpermute_b32 v3, v2, v89
	v_lshlrev_b32_e32 v4, 2, v4
	s_wait_alu 0xfffd
	v_cndmask_b32_e32 v8, v5, v51, vcc_lo
	v_cmp_lt_i32_e32 vcc_lo, v50, v46
	s_wait_dscnt 0x0
	s_delay_alu instid0(VALU_DEP_2)
	v_dual_add_f32 v3, v89, v3 :: v_dual_lshlrev_b32 v8, 2, v8
	ds_bpermute_b32 v2, v2, v64
	ds_bpermute_b32 v6, v4, v3
	s_wait_dscnt 0x0
	v_add_f32_e32 v3, v3, v6
	v_add_f32_e32 v2, v64, v2
	ds_bpermute_b32 v4, v4, v2
	s_wait_dscnt 0x0
	v_add_f32_e32 v2, v2, v4
	ds_bpermute_b32 v4, v8, v3
	ds_bpermute_b32 v6, v8, v2
	s_wait_alu 0xfffd
	v_cndmask_b32_e32 v8, v5, v50, vcc_lo
	v_cmp_lt_i32_e32 vcc_lo, v48, v46
	s_delay_alu instid0(VALU_DEP_2)
	v_lshlrev_b32_e32 v8, 2, v8
	s_wait_alu 0xfffd
	v_cndmask_b32_e32 v5, v5, v48, vcc_lo
	s_wait_alu 0xfffe
	s_and_b32 vcc_lo, exec_lo, s3
	s_mov_b32 s3, 0
	s_delay_alu instid0(VALU_DEP_1)
	v_lshlrev_b32_e32 v5, 2, v5
	s_wait_dscnt 0x0
	v_dual_add_f32 v3, v3, v4 :: v_dual_add_f32 v2, v2, v6
	ds_bpermute_b32 v4, v8, v3
	ds_bpermute_b32 v6, v8, v2
	s_wait_dscnt 0x0
	v_dual_add_f32 v3, v3, v4 :: v_dual_add_f32 v4, v2, v6
	ds_bpermute_b32 v2, v5, v3
	ds_bpermute_b32 v5, v5, v4
	s_wait_dscnt 0x0
	v_dual_add_f32 v2, v3, v2 :: v_dual_add_f32 v3, v4, v5
	v_add_nc_u32_e32 v4, s33, v43
	s_wait_alu 0xfffe
	s_cbranch_vccnz .LBB13_14
; %bb.12:
	s_delay_alu instid0(VALU_DEP_2)
	v_mov_b32_e32 v6, v3
	v_dual_mov_b32 v5, v2 :: v_dual_add_nc_u32 v8, s33, v43
	s_and_not1_b32 vcc_lo, exec_lo, s3
	s_wait_alu 0xfffe
	s_cbranch_vccz .LBB13_15
; %bb.13:
	s_delay_alu instid0(VALU_DEP_1)
	v_mov_b32_e32 v4, v8
	s_branch .LBB13_16
.LBB13_14:
                                        ; implicit-def: $vgpr8
                                        ; implicit-def: $vgpr5_vgpr6
.LBB13_15:
	s_delay_alu instid0(VALU_DEP_1) | instskip(NEXT) | instid1(VALU_DEP_1)
	v_ashrrev_i32_e32 v5, 31, v4
	v_lshlrev_b64_e32 v[5:6], 2, v[4:5]
	s_delay_alu instid0(VALU_DEP_1) | instskip(SKIP_1) | instid1(VALU_DEP_2)
	v_add_co_u32 v5, vcc_lo, s12, v5
	s_wait_alu 0xfffd
	v_add_co_ci_u32_e64 v6, null, s13, v6, vcc_lo
	global_load_b64 v[5:6], v[5:6], off
	v_max_num_f32_e32 v8, v35, v35
	s_wait_loadcnt 0x0
	v_dual_max_num_f32 v10, v36, v36 :: v_dual_max_num_f32 v11, v6, v6
	v_max_num_f32_e32 v9, v5, v5
	s_delay_alu instid0(VALU_DEP_1) | instskip(NEXT) | instid1(VALU_DEP_1)
	v_dual_max_num_f32 v8, v8, v9 :: v_dual_max_num_f32 v9, v10, v11
	v_dual_sub_f32 v10, v35, v8 :: v_dual_sub_f32 v11, v36, v9
	v_dual_sub_f32 v5, v5, v8 :: v_dual_sub_f32 v6, v6, v9
	v_mov_b32_e32 v36, v9
	s_delay_alu instid0(VALU_DEP_3) | instskip(NEXT) | instid1(VALU_DEP_3)
	v_mul_f32_e32 v12, 0x3fb8aa3b, v10
	v_dual_mul_f32 v14, 0x3fb8aa3b, v11 :: v_dual_mul_f32 v13, 0x3fb8aa3b, v5
	s_delay_alu instid0(VALU_DEP_4) | instskip(SKIP_1) | instid1(VALU_DEP_4)
	v_mul_f32_e32 v15, 0x3fb8aa3b, v6
	v_cmp_ngt_f32_e32 vcc_lo, 0xc2ce8ed0, v10
	v_fma_f32 v16, 0x3fb8aa3b, v10, -v12
	v_rndne_f32_e32 v17, v12
	v_fma_f32 v18, 0x3fb8aa3b, v5, -v13
	v_rndne_f32_e32 v20, v14
	v_rndne_f32_e32 v21, v13
	v_fma_f32 v22, 0x3fb8aa3b, v6, -v15
	v_rndne_f32_e32 v23, v15
	v_fma_f32 v19, 0x3fb8aa3b, v11, -v14
	v_fmac_f32_e32 v16, 0x32a5705f, v10
	v_sub_f32_e32 v12, v12, v17
	v_dual_sub_f32 v14, v14, v20 :: v_dual_sub_f32 v13, v13, v21
	v_dual_fmac_f32 v22, 0x32a5705f, v6 :: v_dual_mov_b32 v35, v8
	v_dual_sub_f32 v15, v15, v23 :: v_dual_fmac_f32 v18, 0x32a5705f, v5
	v_fmac_f32_e32 v19, 0x32a5705f, v11
	s_delay_alu instid0(VALU_DEP_2) | instskip(NEXT) | instid1(VALU_DEP_3)
	v_dual_add_f32 v15, v15, v22 :: v_dual_add_f32 v12, v12, v16
	v_add_f32_e32 v13, v13, v18
	v_cvt_i32_f32_e32 v18, v21
	v_cvt_i32_f32_e32 v16, v17
	;; [unrolled: 1-line block ×3, first 2 shown]
	v_exp_f32_e32 v12, v12
	v_exp_f32_e32 v13, v13
	v_exp_f32_e32 v15, v15
	s_delay_alu instid0(TRANS32_DEP_3) | instskip(NEXT) | instid1(TRANS32_DEP_2)
	v_ldexp_f32 v12, v12, v16
	v_ldexp_f32 v13, v13, v18
	v_add_f32_e32 v14, v14, v19
	v_cvt_i32_f32_e32 v16, v23
	s_wait_alu 0xfffd
	v_cndmask_b32_e32 v12, 0, v12, vcc_lo
	v_cmp_ngt_f32_e32 vcc_lo, 0xc2ce8ed0, v11
	v_exp_f32_e32 v14, v14
	s_delay_alu instid0(TRANS32_DEP_1) | instskip(SKIP_1) | instid1(VALU_DEP_1)
	v_ldexp_f32 v14, v14, v17
	s_wait_alu 0xfffd
	v_cndmask_b32_e32 v14, 0, v14, vcc_lo
	v_cmp_nlt_f32_e32 vcc_lo, 0x42b17218, v10
	s_wait_alu 0xfffd
	v_cndmask_b32_e32 v10, 0x7f800000, v12, vcc_lo
	v_cmp_nlt_f32_e32 vcc_lo, 0x42b17218, v11
	v_ldexp_f32 v12, v15, v16
	s_wait_alu 0xfffd
	v_cndmask_b32_e32 v11, 0x7f800000, v14, vcc_lo
	v_cmp_ngt_f32_e32 vcc_lo, 0xc2ce8ed0, v5
	v_cvt_f16_f32_e32 v14, v10
	s_wait_alu 0xfffd
	v_cndmask_b32_e32 v13, 0, v13, vcc_lo
	v_cmp_ngt_f32_e32 vcc_lo, 0xc2ce8ed0, v6
	s_wait_alu 0xfffd
	v_cndmask_b32_e32 v12, 0, v12, vcc_lo
	v_cmp_nlt_f32_e32 vcc_lo, 0x42b17218, v5
	s_wait_alu 0xfffd
	v_cndmask_b32_e32 v5, 0x7f800000, v13, vcc_lo
	v_cmp_nlt_f32_e32 vcc_lo, 0x42b17218, v6
	v_and_b32_e32 v13, 0xffff, v14
	s_wait_alu 0xfffd
	s_delay_alu instid0(VALU_DEP_3) | instskip(NEXT) | instid1(VALU_DEP_2)
	v_dual_fmac_f32 v5, v2, v10 :: v_dual_cndmask_b32 v6, 0x7f800000, v12
	v_mul_u32_u24_e32 v10, 0x10001, v13
	s_delay_alu instid0(VALU_DEP_2) | instskip(SKIP_1) | instid1(VALU_DEP_4)
	v_mov_b32_e32 v2, v5
	v_cvt_f16_f32_e32 v15, v11
	v_fmac_f32_e32 v6, v3, v11
	s_delay_alu instid0(VALU_DEP_4) | instskip(NEXT) | instid1(VALU_DEP_2)
	v_pk_mul_f16 v91, v91, v10
	v_dual_mov_b32 v3, v6 :: v_dual_and_b32 v14, 0xffff, v15
	s_delay_alu instid0(VALU_DEP_1) | instskip(NEXT) | instid1(VALU_DEP_1)
	v_mul_u32_u24_e32 v12, 0x10001, v14
	v_pk_mul_f16 v90, v90, v12
.LBB13_16:
	s_load_b32 s1, s[0:1], 0xd4
	v_mov_b32_e32 v8, 1.0
	s_wait_kmcnt 0x0
	s_cmp_lg_u32 s1, 1
	s_cselect_b32 s5, -1, 0
	s_cmp_eq_u32 s1, 1
	s_cselect_b32 s3, -1, 0
	s_wait_alu 0xfffe
	s_and_b32 vcc_lo, exec_lo, s5
	s_wait_alu 0xfffe
	s_cbranch_vccnz .LBB13_18
; %bb.17:
	v_div_scale_f32 v8, null, v2, v2, 1.0
	s_delay_alu instid0(VALU_DEP_1) | instskip(NEXT) | instid1(TRANS32_DEP_1)
	v_rcp_f32_e32 v9, v8
	v_fma_f32 v10, -v8, v9, 1.0
	s_delay_alu instid0(VALU_DEP_1) | instskip(SKIP_1) | instid1(VALU_DEP_1)
	v_fmac_f32_e32 v9, v10, v9
	v_div_scale_f32 v10, vcc_lo, 1.0, v2, 1.0
	v_mul_f32_e32 v11, v10, v9
	s_delay_alu instid0(VALU_DEP_1) | instskip(NEXT) | instid1(VALU_DEP_1)
	v_fma_f32 v12, -v8, v11, v10
	v_fmac_f32_e32 v11, v12, v9
	s_delay_alu instid0(VALU_DEP_1) | instskip(SKIP_1) | instid1(VALU_DEP_1)
	v_fma_f32 v8, -v8, v11, v10
	s_wait_alu 0xfffd
	v_div_fmas_f32 v8, v8, v9, v11
	s_delay_alu instid0(VALU_DEP_1)
	v_div_fixup_f32 v8, v8, v2, 1.0
.LBB13_18:
	v_mad_co_u64_u32 v[1:2], null, s2, s22, v[1:2]
	v_cmp_eq_u32_e32 vcc_lo, 0, v0
	s_delay_alu instid0(VALU_DEP_2) | instskip(SKIP_1) | instid1(VALU_DEP_1)
	v_mad_co_u64_u32 v[1:2], null, v1, s23, v[4:5]
	v_cvt_f32_f16_e32 v4, v91
	v_dual_mov_b32 v10, 0 :: v_dual_mul_f32 v11, v8, v4
	s_delay_alu instid0(VALU_DEP_3) | instskip(SKIP_1) | instid1(VALU_DEP_1)
	v_mad_co_u64_u32 v[1:2], null, s1, v1, s[4:5]
	v_lshrrev_b32_e32 v2, 16, v91
	v_cvt_f32_f16_e32 v2, v2
	s_delay_alu instid0(VALU_DEP_3) | instskip(NEXT) | instid1(VALU_DEP_2)
	v_lshl_add_u32 v9, v1, 6, v7
	v_mul_f32_e32 v12, v8, v2
	s_delay_alu instid0(VALU_DEP_2) | instskip(NEXT) | instid1(VALU_DEP_1)
	v_lshlrev_b64_e32 v[9:10], 2, v[9:10]
	v_add_co_u32 v8, s0, s16, v9
	s_wait_alu 0xf1ff
	s_delay_alu instid0(VALU_DEP_2)
	v_add_co_ci_u32_e64 v9, null, s17, v10, s0
	s_and_b32 s0, vcc_lo, s5
	global_store_b64 v[8:9], v[11:12], off
	s_wait_alu 0xfffe
	s_and_saveexec_b32 s2, s0
	s_cbranch_execz .LBB13_20
; %bb.19:
	v_ashrrev_i32_e32 v2, 31, v1
	v_mov_b32_e32 v4, v35
	s_delay_alu instid0(VALU_DEP_2) | instskip(NEXT) | instid1(VALU_DEP_1)
	v_lshlrev_b64_e32 v[8:9], 3, v[1:2]
	v_add_co_u32 v8, vcc_lo, s18, v8
	s_wait_alu 0xfffd
	s_delay_alu instid0(VALU_DEP_2)
	v_add_co_ci_u32_e64 v9, null, s19, v9, vcc_lo
	global_store_b64 v[8:9], v[4:5], off
.LBB13_20:
	s_wait_alu 0xfffe
	s_or_b32 exec_lo, exec_lo, s2
	v_mov_b32_e32 v2, 1.0
	s_and_not1_b32 vcc_lo, exec_lo, s3
	s_wait_alu 0xfffe
	s_cbranch_vccnz .LBB13_22
; %bb.21:
	v_div_scale_f32 v0, null, v3, v3, 1.0
	s_delay_alu instid0(VALU_DEP_1) | instskip(NEXT) | instid1(TRANS32_DEP_1)
	v_rcp_f32_e32 v2, v0
	v_fma_f32 v4, -v0, v2, 1.0
	s_delay_alu instid0(VALU_DEP_1) | instskip(SKIP_1) | instid1(VALU_DEP_1)
	v_fmac_f32_e32 v2, v4, v2
	v_div_scale_f32 v4, vcc_lo, 1.0, v3, 1.0
	v_mul_f32_e32 v5, v4, v2
	s_delay_alu instid0(VALU_DEP_1) | instskip(NEXT) | instid1(VALU_DEP_1)
	v_fma_f32 v8, -v0, v5, v4
	v_fmac_f32_e32 v5, v8, v2
	s_delay_alu instid0(VALU_DEP_1) | instskip(SKIP_1) | instid1(VALU_DEP_1)
	v_fma_f32 v0, -v0, v5, v4
	s_wait_alu 0xfffd
	v_div_fmas_f32 v0, v0, v2, v5
	s_delay_alu instid0(VALU_DEP_1)
	v_div_fixup_f32 v2, v0, v3, 1.0
.LBB13_22:
	v_add_nc_u32_e32 v0, s1, v1
	v_lshrrev_b32_e32 v1, 16, v90
	v_cvt_f32_f16_e32 v5, v90
	v_mov_b32_e32 v4, 0
	s_delay_alu instid0(VALU_DEP_4) | instskip(NEXT) | instid1(VALU_DEP_4)
	v_lshl_add_u32 v3, v0, 6, v7
	v_cvt_f32_f16_e32 v7, v1
	s_delay_alu instid0(VALU_DEP_4) | instskip(NEXT) | instid1(VALU_DEP_3)
	v_mul_f32_e32 v1, v2, v5
	v_lshlrev_b64_e32 v[3:4], 2, v[3:4]
	s_delay_alu instid0(VALU_DEP_3) | instskip(NEXT) | instid1(VALU_DEP_2)
	v_mul_f32_e32 v2, v2, v7
	v_add_co_u32 v3, vcc_lo, s16, v3
	s_wait_alu 0xfffd
	s_delay_alu instid0(VALU_DEP_3)
	v_add_co_ci_u32_e64 v4, null, s17, v4, vcc_lo
	global_store_b64 v[3:4], v[1:2], off
	s_and_saveexec_b32 s1, s0
	s_cbranch_execz .LBB13_24
; %bb.23:
	v_ashrrev_i32_e32 v1, 31, v0
	v_mov_b32_e32 v5, v36
	s_delay_alu instid0(VALU_DEP_2) | instskip(NEXT) | instid1(VALU_DEP_1)
	v_lshlrev_b64_e32 v[0:1], 3, v[0:1]
	v_add_co_u32 v0, vcc_lo, s18, v0
	s_wait_alu 0xfffd
	s_delay_alu instid0(VALU_DEP_2)
	v_add_co_ci_u32_e64 v1, null, s19, v1, vcc_lo
	global_store_b64 v[0:1], v[5:6], off
.LBB13_24:
	s_nop 0
	s_sendmsg sendmsg(MSG_DEALLOC_VGPRS)
	s_endpgm
	.section	.rodata,"a",@progbits
	.p2align	6, 0x0
	.amdhsa_kernel _ZL15flash_attn_tileILi64ELi64ELi1ELi8ELb0EEvPKcS1_S1_S1_S1_PKiPfP15HIP_vector_typeIfLj2EEffffjfiS5_IjLj3EEiiiiiiiiiiiliiliiiiil
		.amdhsa_group_segment_fixed_size 21504
		.amdhsa_private_segment_fixed_size 0
		.amdhsa_kernarg_size 464
		.amdhsa_user_sgpr_count 2
		.amdhsa_user_sgpr_dispatch_ptr 0
		.amdhsa_user_sgpr_queue_ptr 0
		.amdhsa_user_sgpr_kernarg_segment_ptr 1
		.amdhsa_user_sgpr_dispatch_id 0
		.amdhsa_user_sgpr_private_segment_size 0
		.amdhsa_wavefront_size32 1
		.amdhsa_uses_dynamic_stack 0
		.amdhsa_enable_private_segment 0
		.amdhsa_system_sgpr_workgroup_id_x 1
		.amdhsa_system_sgpr_workgroup_id_y 1
		.amdhsa_system_sgpr_workgroup_id_z 1
		.amdhsa_system_sgpr_workgroup_info 0
		.amdhsa_system_vgpr_workitem_id 1
		.amdhsa_next_free_vgpr 217
		.amdhsa_next_free_sgpr 42
		.amdhsa_reserve_vcc 1
		.amdhsa_float_round_mode_32 0
		.amdhsa_float_round_mode_16_64 0
		.amdhsa_float_denorm_mode_32 3
		.amdhsa_float_denorm_mode_16_64 3
		.amdhsa_fp16_overflow 0
		.amdhsa_workgroup_processor_mode 1
		.amdhsa_memory_ordered 1
		.amdhsa_forward_progress 1
		.amdhsa_inst_pref_size 117
		.amdhsa_round_robin_scheduling 0
		.amdhsa_exception_fp_ieee_invalid_op 0
		.amdhsa_exception_fp_denorm_src 0
		.amdhsa_exception_fp_ieee_div_zero 0
		.amdhsa_exception_fp_ieee_overflow 0
		.amdhsa_exception_fp_ieee_underflow 0
		.amdhsa_exception_fp_ieee_inexact 0
		.amdhsa_exception_int_div_zero 0
	.end_amdhsa_kernel
	.section	.text._ZL15flash_attn_tileILi64ELi64ELi1ELi8ELb0EEvPKcS1_S1_S1_S1_PKiPfP15HIP_vector_typeIfLj2EEffffjfiS5_IjLj3EEiiiiiiiiiiiliiliiiiil,"axG",@progbits,_ZL15flash_attn_tileILi64ELi64ELi1ELi8ELb0EEvPKcS1_S1_S1_S1_PKiPfP15HIP_vector_typeIfLj2EEffffjfiS5_IjLj3EEiiiiiiiiiiiliiliiiiil,comdat
.Lfunc_end13:
	.size	_ZL15flash_attn_tileILi64ELi64ELi1ELi8ELb0EEvPKcS1_S1_S1_S1_PKiPfP15HIP_vector_typeIfLj2EEffffjfiS5_IjLj3EEiiiiiiiiiiiliiliiiiil, .Lfunc_end13-_ZL15flash_attn_tileILi64ELi64ELi1ELi8ELb0EEvPKcS1_S1_S1_S1_PKiPfP15HIP_vector_typeIfLj2EEffffjfiS5_IjLj3EEiiiiiiiiiiiliiliiiiil
                                        ; -- End function
	.set _ZL15flash_attn_tileILi64ELi64ELi1ELi8ELb0EEvPKcS1_S1_S1_S1_PKiPfP15HIP_vector_typeIfLj2EEffffjfiS5_IjLj3EEiiiiiiiiiiiliiliiiiil.num_vgpr, 118
	.set _ZL15flash_attn_tileILi64ELi64ELi1ELi8ELb0EEvPKcS1_S1_S1_S1_PKiPfP15HIP_vector_typeIfLj2EEffffjfiS5_IjLj3EEiiiiiiiiiiiliiliiiiil.num_agpr, 0
	.set _ZL15flash_attn_tileILi64ELi64ELi1ELi8ELb0EEvPKcS1_S1_S1_S1_PKiPfP15HIP_vector_typeIfLj2EEffffjfiS5_IjLj3EEiiiiiiiiiiiliiliiiiil.numbered_sgpr, 42
	.set _ZL15flash_attn_tileILi64ELi64ELi1ELi8ELb0EEvPKcS1_S1_S1_S1_PKiPfP15HIP_vector_typeIfLj2EEffffjfiS5_IjLj3EEiiiiiiiiiiiliiliiiiil.num_named_barrier, 0
	.set _ZL15flash_attn_tileILi64ELi64ELi1ELi8ELb0EEvPKcS1_S1_S1_S1_PKiPfP15HIP_vector_typeIfLj2EEffffjfiS5_IjLj3EEiiiiiiiiiiiliiliiiiil.private_seg_size, 0
	.set _ZL15flash_attn_tileILi64ELi64ELi1ELi8ELb0EEvPKcS1_S1_S1_S1_PKiPfP15HIP_vector_typeIfLj2EEffffjfiS5_IjLj3EEiiiiiiiiiiiliiliiiiil.uses_vcc, 1
	.set _ZL15flash_attn_tileILi64ELi64ELi1ELi8ELb0EEvPKcS1_S1_S1_S1_PKiPfP15HIP_vector_typeIfLj2EEffffjfiS5_IjLj3EEiiiiiiiiiiiliiliiiiil.uses_flat_scratch, 0
	.set _ZL15flash_attn_tileILi64ELi64ELi1ELi8ELb0EEvPKcS1_S1_S1_S1_PKiPfP15HIP_vector_typeIfLj2EEffffjfiS5_IjLj3EEiiiiiiiiiiiliiliiiiil.has_dyn_sized_stack, 0
	.set _ZL15flash_attn_tileILi64ELi64ELi1ELi8ELb0EEvPKcS1_S1_S1_S1_PKiPfP15HIP_vector_typeIfLj2EEffffjfiS5_IjLj3EEiiiiiiiiiiiliiliiiiil.has_recursion, 0
	.set _ZL15flash_attn_tileILi64ELi64ELi1ELi8ELb0EEvPKcS1_S1_S1_S1_PKiPfP15HIP_vector_typeIfLj2EEffffjfiS5_IjLj3EEiiiiiiiiiiiliiliiiiil.has_indirect_call, 0
	.section	.AMDGPU.csdata,"",@progbits
; Kernel info:
; codeLenInByte = 14936
; TotalNumSgprs: 44
; NumVgprs: 118
; ScratchSize: 0
; MemoryBound: 0
; FloatMode: 240
; IeeeMode: 1
; LDSByteSize: 21504 bytes/workgroup (compile time only)
; SGPRBlocks: 0
; VGPRBlocks: 27
; NumSGPRsForWavesPerEU: 44
; NumVGPRsForWavesPerEU: 217
; Occupancy: 6
; WaveLimiterHint : 1
; COMPUTE_PGM_RSRC2:SCRATCH_EN: 0
; COMPUTE_PGM_RSRC2:USER_SGPR: 2
; COMPUTE_PGM_RSRC2:TRAP_HANDLER: 0
; COMPUTE_PGM_RSRC2:TGID_X_EN: 1
; COMPUTE_PGM_RSRC2:TGID_Y_EN: 1
; COMPUTE_PGM_RSRC2:TGID_Z_EN: 1
; COMPUTE_PGM_RSRC2:TIDIG_COMP_CNT: 1
	.section	.text._ZL25flash_attn_mask_to_KV_maxILi1EEvPK7__half2Piiii,"axG",@progbits,_ZL25flash_attn_mask_to_KV_maxILi1EEvPK7__half2Piiii,comdat
	.globl	_ZL25flash_attn_mask_to_KV_maxILi1EEvPK7__half2Piiii ; -- Begin function _ZL25flash_attn_mask_to_KV_maxILi1EEvPK7__half2Piiii
	.p2align	8
	.type	_ZL25flash_attn_mask_to_KV_maxILi1EEvPK7__half2Piiii,@function
_ZL25flash_attn_mask_to_KV_maxILi1EEvPK7__half2Piiii: ; @_ZL25flash_attn_mask_to_KV_maxILi1EEvPK7__half2Piiii
; %bb.0:
	s_load_b64 s[4:5], s[0:1], 0x0
	s_mov_b32 s2, exec_lo
	v_cmpx_gt_u32_e32 32, v0
; %bb.1:
	v_dual_mov_b32 v2, 1 :: v_dual_lshlrev_b32 v1, 2, v0
	ds_store_b32 v1, v2
; %bb.2:
	s_or_b32 exec_lo, exec_lo, s2
	s_clause 0x2
	s_load_b96 s[8:10], s[0:1], 0x10
	s_load_b64 s[2:3], s[0:1], 0x8
	s_load_b32 s1, s[0:1], 0x20
	v_dual_mov_b32 v2, 0 :: v_dual_and_b32 v1, 31, v0
	v_lshrrev_b32_e32 v3, 3, v0
	s_wait_dscnt 0x0
	s_barrier_signal -1
	s_delay_alu instid0(VALU_DEP_2)
	v_lshlrev_b32_e32 v4, 2, v1
	s_barrier_wait -1
	global_inv scope:SCOPE_SE
	s_wait_kmcnt 0x0
	s_mul_i32 s0, s10, ttmp7
	s_mul_i32 s6, s9, ttmp9
	s_delay_alu instid0(SALU_CYCLE_1) | instskip(SKIP_2) | instid1(SALU_CYCLE_1)
	s_add_co_i32 s6, s0, s6
	v_cmp_eq_u32_e64 s0, 0, v1
	s_ashr_i32 s7, s6, 31
	s_lshl_b64 s[6:7], s[6:7], 2
	s_delay_alu instid0(SALU_CYCLE_1)
	s_add_nc_u64 s[4:5], s[4:5], s[6:7]
	s_lshl_b32 s7, s8, 8
	s_branch .LBB14_4
.LBB14_3:                               ;   in Loop: Header=BB14_4 Depth=1
	s_wait_alu 0xfffe
	s_or_b32 exec_lo, exec_lo, s9
	s_wait_dscnt 0x0
	s_barrier_signal -1
	s_barrier_wait -1
	global_inv scope:SCOPE_SE
	ds_load_b32 v1, v4
	s_wait_loadcnt_dscnt 0x0
	s_barrier_signal -1
	s_barrier_wait -1
	global_inv scope:SCOPE_SE
	v_cmp_ne_u32_e32 vcc_lo, 0, v1
	s_cmp_lg_u32 vcc_lo, exec_lo
	s_cselect_b32 s8, -1, 0
	s_wait_alu 0xfffe
	s_and_b32 vcc_lo, exec_lo, s8
	s_wait_alu 0xfffe
	s_cbranch_vccnz .LBB14_8
.LBB14_4:                               ; =>This Inner Loop Header: Depth=1
	s_mov_b32 s6, s7
	s_addk_co_i32 s7, 0xff00
	s_delay_alu instid0(SALU_CYCLE_1)
	s_cmp_lt_i32 s7, 0
	s_cbranch_scc1 .LBB14_7
; %bb.5:                                ;   in Loop: Header=BB14_4 Depth=1
	s_lshr_b32 s9, s7, 1
	s_mov_b32 s8, exec_lo
	s_wait_alu 0xfffe
	v_add_nc_u32_e32 v1, s9, v0
	s_delay_alu instid0(VALU_DEP_1) | instskip(NEXT) | instid1(VALU_DEP_1)
	v_lshlrev_b64_e32 v[5:6], 2, v[1:2]
	v_add_co_u32 v5, vcc_lo, s4, v5
	s_wait_alu 0xfffd
	s_delay_alu instid0(VALU_DEP_2) | instskip(SKIP_4) | instid1(VALU_DEP_2)
	v_add_co_ci_u32_e64 v6, null, s5, v6, vcc_lo
	global_load_b32 v1, v[5:6], off
	s_wait_loadcnt 0x0
	v_lshrrev_b32_e32 v5, 16, v1
	v_cmp_class_f16_e64 s9, v1, 0x204
	v_cmp_class_f16_e64 s10, v5, 0x204
	s_and_b32 s9, s9, s10
	s_wait_alu 0xfffe
	v_cndmask_b32_e64 v1, 0, 1, s9
	s_delay_alu instid0(VALU_DEP_1)
	v_cmp_ne_u32_e32 vcc_lo, 0, v1
	s_and_saveexec_b32 s9, s0
	s_cbranch_execz .LBB14_3
; %bb.6:                                ;   in Loop: Header=BB14_4 Depth=1
	s_cmp_eq_u32 vcc_lo, s8
	s_cselect_b32 s8, -1, 0
	s_wait_alu 0xfffe
	v_cndmask_b32_e64 v1, 0, 1, s8
	ds_store_b32 v3, v1
	s_branch .LBB14_3
.LBB14_7:                               ;   in Loop: Header=BB14_4 Depth=1
	s_cbranch_execz .LBB14_4
.LBB14_8:
	s_mov_b32 s0, exec_lo
	v_cmpx_eq_u32_e32 0, v0
	s_cbranch_execz .LBB14_10
; %bb.9:
	s_mul_i32 s0, s1, ttmp7
	v_dual_mov_b32 v0, 0 :: v_dual_mov_b32 v1, s6
	s_add_co_i32 s0, s0, ttmp9
	s_delay_alu instid0(SALU_CYCLE_1) | instskip(NEXT) | instid1(SALU_CYCLE_1)
	s_ashr_i32 s1, s0, 31
	s_lshl_b64 s[0:1], s[0:1], 2
	s_delay_alu instid0(SALU_CYCLE_1)
	s_add_nc_u64 s[0:1], s[2:3], s[0:1]
	global_store_b32 v0, v1, s[0:1]
.LBB14_10:
	s_endpgm
	.section	.rodata,"a",@progbits
	.p2align	6, 0x0
	.amdhsa_kernel _ZL25flash_attn_mask_to_KV_maxILi1EEvPK7__half2Piiii
		.amdhsa_group_segment_fixed_size 128
		.amdhsa_private_segment_fixed_size 0
		.amdhsa_kernarg_size 288
		.amdhsa_user_sgpr_count 2
		.amdhsa_user_sgpr_dispatch_ptr 0
		.amdhsa_user_sgpr_queue_ptr 0
		.amdhsa_user_sgpr_kernarg_segment_ptr 1
		.amdhsa_user_sgpr_dispatch_id 0
		.amdhsa_user_sgpr_private_segment_size 0
		.amdhsa_wavefront_size32 1
		.amdhsa_uses_dynamic_stack 0
		.amdhsa_enable_private_segment 0
		.amdhsa_system_sgpr_workgroup_id_x 1
		.amdhsa_system_sgpr_workgroup_id_y 1
		.amdhsa_system_sgpr_workgroup_id_z 0
		.amdhsa_system_sgpr_workgroup_info 0
		.amdhsa_system_vgpr_workitem_id 0
		.amdhsa_next_free_vgpr 7
		.amdhsa_next_free_sgpr 11
		.amdhsa_reserve_vcc 1
		.amdhsa_float_round_mode_32 0
		.amdhsa_float_round_mode_16_64 0
		.amdhsa_float_denorm_mode_32 3
		.amdhsa_float_denorm_mode_16_64 3
		.amdhsa_fp16_overflow 0
		.amdhsa_workgroup_processor_mode 1
		.amdhsa_memory_ordered 1
		.amdhsa_forward_progress 1
		.amdhsa_inst_pref_size 4
		.amdhsa_round_robin_scheduling 0
		.amdhsa_exception_fp_ieee_invalid_op 0
		.amdhsa_exception_fp_denorm_src 0
		.amdhsa_exception_fp_ieee_div_zero 0
		.amdhsa_exception_fp_ieee_overflow 0
		.amdhsa_exception_fp_ieee_underflow 0
		.amdhsa_exception_fp_ieee_inexact 0
		.amdhsa_exception_int_div_zero 0
	.end_amdhsa_kernel
	.section	.text._ZL25flash_attn_mask_to_KV_maxILi1EEvPK7__half2Piiii,"axG",@progbits,_ZL25flash_attn_mask_to_KV_maxILi1EEvPK7__half2Piiii,comdat
.Lfunc_end14:
	.size	_ZL25flash_attn_mask_to_KV_maxILi1EEvPK7__half2Piiii, .Lfunc_end14-_ZL25flash_attn_mask_to_KV_maxILi1EEvPK7__half2Piiii
                                        ; -- End function
	.set _ZL25flash_attn_mask_to_KV_maxILi1EEvPK7__half2Piiii.num_vgpr, 7
	.set _ZL25flash_attn_mask_to_KV_maxILi1EEvPK7__half2Piiii.num_agpr, 0
	.set _ZL25flash_attn_mask_to_KV_maxILi1EEvPK7__half2Piiii.numbered_sgpr, 11
	.set _ZL25flash_attn_mask_to_KV_maxILi1EEvPK7__half2Piiii.num_named_barrier, 0
	.set _ZL25flash_attn_mask_to_KV_maxILi1EEvPK7__half2Piiii.private_seg_size, 0
	.set _ZL25flash_attn_mask_to_KV_maxILi1EEvPK7__half2Piiii.uses_vcc, 1
	.set _ZL25flash_attn_mask_to_KV_maxILi1EEvPK7__half2Piiii.uses_flat_scratch, 0
	.set _ZL25flash_attn_mask_to_KV_maxILi1EEvPK7__half2Piiii.has_dyn_sized_stack, 0
	.set _ZL25flash_attn_mask_to_KV_maxILi1EEvPK7__half2Piiii.has_recursion, 0
	.set _ZL25flash_attn_mask_to_KV_maxILi1EEvPK7__half2Piiii.has_indirect_call, 0
	.section	.AMDGPU.csdata,"",@progbits
; Kernel info:
; codeLenInByte = 496
; TotalNumSgprs: 13
; NumVgprs: 7
; ScratchSize: 0
; MemoryBound: 0
; FloatMode: 240
; IeeeMode: 1
; LDSByteSize: 128 bytes/workgroup (compile time only)
; SGPRBlocks: 0
; VGPRBlocks: 0
; NumSGPRsForWavesPerEU: 13
; NumVGPRsForWavesPerEU: 7
; Occupancy: 16
; WaveLimiterHint : 0
; COMPUTE_PGM_RSRC2:SCRATCH_EN: 0
; COMPUTE_PGM_RSRC2:USER_SGPR: 2
; COMPUTE_PGM_RSRC2:TRAP_HANDLER: 0
; COMPUTE_PGM_RSRC2:TGID_X_EN: 1
; COMPUTE_PGM_RSRC2:TGID_Y_EN: 1
; COMPUTE_PGM_RSRC2:TGID_Z_EN: 0
; COMPUTE_PGM_RSRC2:TIDIG_COMP_CNT: 0
	.section	.text._ZL33flash_attn_stream_k_fixup_uniformILi64ELi1ELi8EEvPfPK15HIP_vector_typeIfLj2EEiiiiiiS1_IjLj3EES5_S5_,"axG",@progbits,_ZL33flash_attn_stream_k_fixup_uniformILi64ELi1ELi8EEvPfPK15HIP_vector_typeIfLj2EEiiiiiiS1_IjLj3EES5_S5_,comdat
	.globl	_ZL33flash_attn_stream_k_fixup_uniformILi64ELi1ELi8EEvPfPK15HIP_vector_typeIfLj2EEiiiiiiS1_IjLj3EES5_S5_ ; -- Begin function _ZL33flash_attn_stream_k_fixup_uniformILi64ELi1ELi8EEvPfPK15HIP_vector_typeIfLj2EEiiiiiiS1_IjLj3EES5_S5_
	.p2align	8
	.type	_ZL33flash_attn_stream_k_fixup_uniformILi64ELi1ELi8EEvPfPK15HIP_vector_typeIfLj2EEiiiiiiS1_IjLj3EES5_S5_,@function
_ZL33flash_attn_stream_k_fixup_uniformILi64ELi1ELi8EEvPfPK15HIP_vector_typeIfLj2EEiiiiiiS1_IjLj3EES5_S5_: ; @_ZL33flash_attn_stream_k_fixup_uniformILi64ELi1ELi8EEvPfPK15HIP_vector_typeIfLj2EEiiiiiiS1_IjLj3EES5_S5_
; %bb.0:
	s_clause 0x1
	s_load_b256 s[4:11], s[0:1], 0x1c
	s_load_b128 s[16:19], s[0:1], 0x3c
	s_wait_kmcnt 0x0
	s_mul_hi_u32 s2, s7, ttmp9
	s_delay_alu instid0(SALU_CYCLE_1) | instskip(NEXT) | instid1(SALU_CYCLE_1)
	s_add_co_i32 s2, ttmp9, s2
	s_lshr_b32 s12, s2, s8
	s_delay_alu instid0(SALU_CYCLE_1) | instskip(SKIP_2) | instid1(SALU_CYCLE_1)
	s_mul_i32 s2, s12, s9
	s_load_b64 s[8:9], s[0:1], 0x10
	s_sub_co_i32 s2, ttmp9, s2
	s_mul_hi_u32 s3, s2, s10
	s_and_b32 s10, ttmp7, 0xffff
	s_add_co_i32 s3, s2, s3
	s_delay_alu instid0(SALU_CYCLE_1) | instskip(NEXT) | instid1(SALU_CYCLE_1)
	s_lshr_b32 s11, s3, s11
	s_mul_i32 s3, s11, s16
	s_delay_alu instid0(SALU_CYCLE_1) | instskip(NEXT) | instid1(SALU_CYCLE_1)
	s_sub_co_i32 s2, s2, s3
	s_mul_hi_u32 s3, s2, s17
	s_delay_alu instid0(SALU_CYCLE_1) | instskip(NEXT) | instid1(SALU_CYCLE_1)
	s_add_co_i32 s3, s2, s3
	s_lshr_b32 s3, s3, s18
	s_delay_alu instid0(SALU_CYCLE_1)
	s_mul_i32 s7, s3, s19
	s_lshl_b32 s14, s3, 3
	s_sub_co_i32 s13, s2, s7
	s_lshr_b32 s7, ttmp7, 16
	s_add_co_i32 s13, s13, s10
	s_wait_kmcnt 0x0
	s_cmp_lt_i32 s13, s8
	s_cselect_b32 s2, -1, 0
	s_add_co_i32 s14, s14, s7
	s_delay_alu instid0(SALU_CYCLE_1) | instskip(SKIP_1) | instid1(SALU_CYCLE_1)
	s_cmp_lt_i32 s14, s5
	s_cselect_b32 s3, -1, 0
	s_and_b32 s2, s2, s3
	s_delay_alu instid0(SALU_CYCLE_1)
	s_and_not1_b32 vcc_lo, exec_lo, s2
	s_cbranch_vccnz .LBB15_6
; %bb.1:
	s_mul_i32 s12, s12, s8
	s_mul_i32 s11, s11, s5
	s_add_co_i32 s5, s13, s12
	s_load_b128 s[0:3], s[0:1], 0x0
	s_add_co_i32 s8, s14, s11
	s_mul_i32 s5, s5, s9
	s_delay_alu instid0(SALU_CYCLE_1) | instskip(NEXT) | instid1(SALU_CYCLE_1)
	s_add_co_i32 s8, s8, s5
	v_lshl_or_b32 v1, s8, 6, v0
	s_mul_i32 s8, s6, ttmp9
	s_wait_alu 0xfffe
	s_add_co_i32 s9, s8, s6
	s_delay_alu instid0(VALU_DEP_1) | instskip(SKIP_2) | instid1(VALU_DEP_1)
	v_ashrrev_i32_e32 v2, 31, v1
	s_wait_alu 0xfffe
	s_add_co_i32 s5, s9, -2
	v_lshlrev_b64_e32 v[1:2], 2, v[1:2]
	s_wait_kmcnt 0x0
	s_delay_alu instid0(VALU_DEP_1) | instskip(NEXT) | instid1(VALU_DEP_1)
	v_add_co_u32 v1, vcc_lo, s0, v1
	v_add_co_ci_u32_e64 v2, null, s1, v2, vcc_lo
	s_add_co_i32 s0, s10, s9
	s_wait_alu 0xfffe
	s_lshl_b32 s0, s0, 3
	global_load_b32 v5, v[1:2], off
	s_wait_alu 0xfffe
	s_add_co_i32 s0, s0, s7
	s_wait_alu 0xfffe
	s_add_co_i32 s0, s0, -8
	s_wait_alu 0xfffe
	s_ashr_i32 s1, s0, 31
	s_wait_alu 0xfffe
	s_lshl_b64 s[0:1], s[0:1], 3
	s_cmp_lt_i32 s5, s8
	s_wait_alu 0xfffe
	s_add_nc_u64 s[0:1], s[2:3], s[0:1]
	s_load_b32 s11, s[0:1], 0x4
	s_cbranch_scc1 .LBB15_4
; %bb.2:
	s_load_b32 s0, s[0:1], 0x0
	s_add_co_i32 s1, ttmp9, 1
	s_lshl_b32 s5, s7, 6
	s_wait_alu 0xfffe
	s_mul_i32 s1, s6, s1
	s_lshl_b32 s6, s10, 9
	s_wait_alu 0xfffe
	s_lshl_b32 s1, s1, 9
	s_add_co_i32 s5, s5, s6
	s_lshl_b32 s12, s4, 5
	s_wait_alu 0xfffe
	s_add_co_i32 s5, s5, s1
	s_add_co_i32 s1, s10, s4
	v_or_b32_e32 v0, s5, v0
	s_wait_alu 0xfffe
	s_add_co_i32 s1, s1, s9
	s_ashr_i32 s13, s12, 31
	s_wait_alu 0xfffe
	s_lshl_b32 s1, s1, 3
	s_wait_kmcnt 0x0
	v_dual_mov_b32 v6, s11 :: v_dual_add_nc_u32 v3, 0xfffffc00, v0
	s_lshl_b64 s[4:5], s[12:13], 2
	s_wait_alu 0xfffe
	s_add_co_i32 s6, s7, s1
	s_add_nc_u64 s[4:5], s[2:3], s[4:5]
	s_add_co_i32 s1, s9, -1
	s_add_co_i32 s6, s6, -16
.LBB15_3:                               ; =>This Inner Loop Header: Depth=1
	v_ashrrev_i32_e32 v4, 31, v3
	s_ashr_i32 s7, s6, 31
	v_mov_b32_e32 v10, v6
	s_lshl_b64 s[10:11], s[6:7], 3
	s_wait_loadcnt 0x0
	v_mov_b32_e32 v9, v5
	v_lshlrev_b64_e32 v[7:8], 2, v[3:4]
	s_wait_alu 0xfffe
	s_add_nc_u64 s[10:11], s[2:3], s[10:11]
	v_max_num_f32_e64 v4, s0, s0
	s_load_b64 s[10:11], s[10:11], 0x0
	v_add_nc_u32_e32 v3, 0xfffffe00, v3
	v_add_co_u32 v7, vcc_lo, s4, v7
	s_wait_alu 0xfffd
	v_add_co_ci_u32_e64 v8, null, s5, v8, vcc_lo
	v_readfirstlane_b32 s7, v4
	global_load_b32 v0, v[7:8], off
	s_wait_kmcnt 0x0
	v_max_num_f32_e64 v4, s10, s10
	s_delay_alu instid0(VALU_DEP_1) | instskip(SKIP_1) | instid1(SALU_CYCLE_3)
	v_readfirstlane_b32 s9, v4
	s_max_num_f32 s7, s7, s9
	s_sub_f32 s0, s0, s7
	s_sub_f32 s9, s10, s7
	s_wait_alu 0xfffe
	s_delay_alu instid0(SALU_CYCLE_1) | instskip(NEXT) | instid1(SALU_CYCLE_1)
	s_mul_f32 s10, s0, 0x3fb8aa3b
	s_mul_f32 s12, s9, 0x3fb8aa3b
	s_wait_alu 0xfffe
	s_delay_alu instid0(SALU_CYCLE_1)
	s_xor_b32 s13, s10, 0x80000000
	s_rndne_f32 s14, s10
	s_fmamk_f32 s13, s0, 0x3fb8aa3b, s13
	s_cmp_nlt_f32 s0, 0xc2ce8ed0
	s_rndne_f32 s15, s12
	s_wait_alu 0xfffe
	s_sub_f32 s10, s10, s14
	s_fmamk_f32 s13, s0, 0x32a5705f, s13
	s_cvt_i32_f32 s14, s14
	s_cselect_b32 vcc_lo, -1, 0
	s_cmp_ngt_f32 s0, 0x42b17218
	s_wait_alu 0xfffe
	s_add_f32 s10, s10, s13
	s_sub_f32 s13, s12, s15
	s_wait_alu 0xfffe
	s_delay_alu instid0(SALU_CYCLE_1) | instskip(SKIP_1) | instid1(TRANS32_DEP_1)
	v_s_exp_f32 s10, s10
	s_wait_alu 0xf1ff
	v_ldexp_f32 v4, s10, s14
	s_cvt_i32_f32 s10, s15
	s_delay_alu instid0(VALU_DEP_1) | instskip(SKIP_3) | instid1(VALU_DEP_1)
	v_cndmask_b32_e32 v4, 0, v4, vcc_lo
	s_cselect_b32 vcc_lo, -1, 0
	s_cmp_ge_f32 s0, 0xc1a00000
	s_wait_alu 0xfffe
	v_cndmask_b32_e32 v4, 0x7f800000, v4, vcc_lo
	s_cselect_b32 vcc_lo, -1, 0
	s_xor_b32 s0, s12, 0x80000000
	s_cmp_nlt_f32 s9, 0xc2ce8ed0
	s_wait_alu 0xfffe
	s_fmamk_f32 s0, s9, 0x3fb8aa3b, s0
	s_wait_alu 0xfffe
	s_delay_alu instid0(SALU_CYCLE_2) | instskip(SKIP_1) | instid1(SALU_CYCLE_2)
	s_fmamk_f32 s0, s9, 0x32a5705f, s0
	s_wait_alu 0xfffe
	s_add_f32 s0, s13, s0
	s_wait_alu 0xfffe
	s_delay_alu instid0(SALU_CYCLE_2) | instskip(SKIP_1) | instid1(TRANS32_DEP_1)
	v_s_exp_f32 s0, s0
	s_wait_alu 0xf1ff
	v_ldexp_f32 v7, s0, s10
	s_cselect_b32 s0, -1, 0
	s_cmp_ngt_f32 s9, 0x42b17218
	s_wait_alu 0xfffe
	s_delay_alu instid0(VALU_DEP_1) | instskip(SKIP_3) | instid1(VALU_DEP_1)
	v_cndmask_b32_e64 v7, 0, v7, s0
	s_cselect_b32 s0, -1, 0
	s_cmp_ge_f32 s9, 0xc1a00000
	s_wait_alu 0xfffe
	v_cndmask_b32_e64 v7, 0x7f800000, v7, s0
	s_cselect_b32 s0, -1, 0
	s_add_co_i32 s1, s1, -1
	s_add_co_i32 s6, s6, -8
	s_wait_alu 0xfffe
	s_cmp_le_i32 s1, s8
	v_cndmask_b32_e64 v7, 0, v7, s0
	s_mov_b32 s0, s7
	s_wait_loadcnt 0x0
	s_delay_alu instid0(VALU_DEP_1) | instskip(NEXT) | instid1(VALU_DEP_1)
	v_dual_mul_f32 v5, v0, v7 :: v_dual_cndmask_b32 v4, 0, v4
	v_dual_mul_f32 v8, s11, v7 :: v_dual_fmac_f32 v5, v9, v4
	s_delay_alu instid0(VALU_DEP_1) | instskip(NEXT) | instid1(VALU_DEP_1)
	v_mov_b32_e32 v6, v8
	v_fmac_f32_e32 v6, v10, v4
	s_cbranch_scc0 .LBB15_3
	s_branch .LBB15_5
.LBB15_4:
	s_wait_kmcnt 0x0
	v_mov_b32_e32 v6, s11
.LBB15_5:
	s_wait_loadcnt 0x0
	s_delay_alu instid0(VALU_DEP_1) | instskip(NEXT) | instid1(VALU_DEP_1)
	v_div_scale_f32 v0, null, v6, v6, v5
	v_rcp_f32_e32 v3, v0
	s_delay_alu instid0(TRANS32_DEP_1) | instskip(NEXT) | instid1(VALU_DEP_1)
	v_fma_f32 v4, -v0, v3, 1.0
	v_fmac_f32_e32 v3, v4, v3
	v_div_scale_f32 v4, vcc_lo, v5, v6, v5
	s_delay_alu instid0(VALU_DEP_1) | instskip(NEXT) | instid1(VALU_DEP_1)
	v_mul_f32_e32 v7, v4, v3
	v_fma_f32 v8, -v0, v7, v4
	s_delay_alu instid0(VALU_DEP_1) | instskip(NEXT) | instid1(VALU_DEP_1)
	v_fmac_f32_e32 v7, v8, v3
	v_fma_f32 v0, -v0, v7, v4
	s_wait_alu 0xfffd
	s_delay_alu instid0(VALU_DEP_1) | instskip(NEXT) | instid1(VALU_DEP_1)
	v_div_fmas_f32 v0, v0, v3, v7
	v_div_fixup_f32 v0, v0, v6, v5
	global_store_b32 v[1:2], v0, off
.LBB15_6:
	s_endpgm
	.section	.rodata,"a",@progbits
	.p2align	6, 0x0
	.amdhsa_kernel _ZL33flash_attn_stream_k_fixup_uniformILi64ELi1ELi8EEvPfPK15HIP_vector_typeIfLj2EEiiiiiiS1_IjLj3EES5_S5_
		.amdhsa_group_segment_fixed_size 0
		.amdhsa_private_segment_fixed_size 0
		.amdhsa_kernarg_size 76
		.amdhsa_user_sgpr_count 2
		.amdhsa_user_sgpr_dispatch_ptr 0
		.amdhsa_user_sgpr_queue_ptr 0
		.amdhsa_user_sgpr_kernarg_segment_ptr 1
		.amdhsa_user_sgpr_dispatch_id 0
		.amdhsa_user_sgpr_private_segment_size 0
		.amdhsa_wavefront_size32 1
		.amdhsa_uses_dynamic_stack 0
		.amdhsa_enable_private_segment 0
		.amdhsa_system_sgpr_workgroup_id_x 1
		.amdhsa_system_sgpr_workgroup_id_y 1
		.amdhsa_system_sgpr_workgroup_id_z 1
		.amdhsa_system_sgpr_workgroup_info 0
		.amdhsa_system_vgpr_workitem_id 0
		.amdhsa_next_free_vgpr 11
		.amdhsa_next_free_sgpr 20
		.amdhsa_reserve_vcc 1
		.amdhsa_float_round_mode_32 0
		.amdhsa_float_round_mode_16_64 0
		.amdhsa_float_denorm_mode_32 3
		.amdhsa_float_denorm_mode_16_64 3
		.amdhsa_fp16_overflow 0
		.amdhsa_workgroup_processor_mode 1
		.amdhsa_memory_ordered 1
		.amdhsa_forward_progress 1
		.amdhsa_inst_pref_size 9
		.amdhsa_round_robin_scheduling 0
		.amdhsa_exception_fp_ieee_invalid_op 0
		.amdhsa_exception_fp_denorm_src 0
		.amdhsa_exception_fp_ieee_div_zero 0
		.amdhsa_exception_fp_ieee_overflow 0
		.amdhsa_exception_fp_ieee_underflow 0
		.amdhsa_exception_fp_ieee_inexact 0
		.amdhsa_exception_int_div_zero 0
	.end_amdhsa_kernel
	.section	.text._ZL33flash_attn_stream_k_fixup_uniformILi64ELi1ELi8EEvPfPK15HIP_vector_typeIfLj2EEiiiiiiS1_IjLj3EES5_S5_,"axG",@progbits,_ZL33flash_attn_stream_k_fixup_uniformILi64ELi1ELi8EEvPfPK15HIP_vector_typeIfLj2EEiiiiiiS1_IjLj3EES5_S5_,comdat
.Lfunc_end15:
	.size	_ZL33flash_attn_stream_k_fixup_uniformILi64ELi1ELi8EEvPfPK15HIP_vector_typeIfLj2EEiiiiiiS1_IjLj3EES5_S5_, .Lfunc_end15-_ZL33flash_attn_stream_k_fixup_uniformILi64ELi1ELi8EEvPfPK15HIP_vector_typeIfLj2EEiiiiiiS1_IjLj3EES5_S5_
                                        ; -- End function
	.set _ZL33flash_attn_stream_k_fixup_uniformILi64ELi1ELi8EEvPfPK15HIP_vector_typeIfLj2EEiiiiiiS1_IjLj3EES5_S5_.num_vgpr, 11
	.set _ZL33flash_attn_stream_k_fixup_uniformILi64ELi1ELi8EEvPfPK15HIP_vector_typeIfLj2EEiiiiiiS1_IjLj3EES5_S5_.num_agpr, 0
	.set _ZL33flash_attn_stream_k_fixup_uniformILi64ELi1ELi8EEvPfPK15HIP_vector_typeIfLj2EEiiiiiiS1_IjLj3EES5_S5_.numbered_sgpr, 20
	.set _ZL33flash_attn_stream_k_fixup_uniformILi64ELi1ELi8EEvPfPK15HIP_vector_typeIfLj2EEiiiiiiS1_IjLj3EES5_S5_.num_named_barrier, 0
	.set _ZL33flash_attn_stream_k_fixup_uniformILi64ELi1ELi8EEvPfPK15HIP_vector_typeIfLj2EEiiiiiiS1_IjLj3EES5_S5_.private_seg_size, 0
	.set _ZL33flash_attn_stream_k_fixup_uniformILi64ELi1ELi8EEvPfPK15HIP_vector_typeIfLj2EEiiiiiiS1_IjLj3EES5_S5_.uses_vcc, 1
	.set _ZL33flash_attn_stream_k_fixup_uniformILi64ELi1ELi8EEvPfPK15HIP_vector_typeIfLj2EEiiiiiiS1_IjLj3EES5_S5_.uses_flat_scratch, 0
	.set _ZL33flash_attn_stream_k_fixup_uniformILi64ELi1ELi8EEvPfPK15HIP_vector_typeIfLj2EEiiiiiiS1_IjLj3EES5_S5_.has_dyn_sized_stack, 0
	.set _ZL33flash_attn_stream_k_fixup_uniformILi64ELi1ELi8EEvPfPK15HIP_vector_typeIfLj2EEiiiiiiS1_IjLj3EES5_S5_.has_recursion, 0
	.set _ZL33flash_attn_stream_k_fixup_uniformILi64ELi1ELi8EEvPfPK15HIP_vector_typeIfLj2EEiiiiiiS1_IjLj3EES5_S5_.has_indirect_call, 0
	.section	.AMDGPU.csdata,"",@progbits
; Kernel info:
; codeLenInByte = 1120
; TotalNumSgprs: 22
; NumVgprs: 11
; ScratchSize: 0
; MemoryBound: 0
; FloatMode: 240
; IeeeMode: 1
; LDSByteSize: 0 bytes/workgroup (compile time only)
; SGPRBlocks: 0
; VGPRBlocks: 1
; NumSGPRsForWavesPerEU: 22
; NumVGPRsForWavesPerEU: 11
; Occupancy: 16
; WaveLimiterHint : 0
; COMPUTE_PGM_RSRC2:SCRATCH_EN: 0
; COMPUTE_PGM_RSRC2:USER_SGPR: 2
; COMPUTE_PGM_RSRC2:TRAP_HANDLER: 0
; COMPUTE_PGM_RSRC2:TGID_X_EN: 1
; COMPUTE_PGM_RSRC2:TGID_Y_EN: 1
; COMPUTE_PGM_RSRC2:TGID_Z_EN: 1
; COMPUTE_PGM_RSRC2:TIDIG_COMP_CNT: 0
	.section	.text._ZL33flash_attn_stream_k_fixup_generalILi64ELi1ELi8EEvPfPK15HIP_vector_typeIfLj2EEiiiiS1_IjLj3EES5_S5_S5_,"axG",@progbits,_ZL33flash_attn_stream_k_fixup_generalILi64ELi1ELi8EEvPfPK15HIP_vector_typeIfLj2EEiiiiS1_IjLj3EES5_S5_S5_,comdat
	.globl	_ZL33flash_attn_stream_k_fixup_generalILi64ELi1ELi8EEvPfPK15HIP_vector_typeIfLj2EEiiiiS1_IjLj3EES5_S5_S5_ ; -- Begin function _ZL33flash_attn_stream_k_fixup_generalILi64ELi1ELi8EEvPfPK15HIP_vector_typeIfLj2EEiiiiS1_IjLj3EES5_S5_S5_
	.p2align	8
	.type	_ZL33flash_attn_stream_k_fixup_generalILi64ELi1ELi8EEvPfPK15HIP_vector_typeIfLj2EEiiiiS1_IjLj3EES5_S5_S5_,@function
_ZL33flash_attn_stream_k_fixup_generalILi64ELi1ELi8EEvPfPK15HIP_vector_typeIfLj2EEiiiiS1_IjLj3EES5_S5_S5_: ; @_ZL33flash_attn_stream_k_fixup_generalILi64ELi1ELi8EEvPfPK15HIP_vector_typeIfLj2EEiiiiS1_IjLj3EES5_S5_S5_
; %bb.0:
	s_clause 0x1
	s_load_b128 s[4:7], s[0:1], 0x10
	s_load_b32 s16, s[0:1], 0x50
	s_mov_b32 s2, ttmp9
	s_ashr_i32 s3, ttmp9, 31
	s_mov_b32 s17, 0
	s_delay_alu instid0(SALU_CYCLE_1) | instskip(SKIP_3) | instid1(SALU_CYCLE_1)
	s_mov_b32 s8, s17
	s_wait_kmcnt 0x0
	s_ashr_i32 s19, s7, 31
	s_mov_b32 s18, s7
	s_mul_u64 s[2:3], s[18:19], s[2:3]
	s_delay_alu instid0(SALU_CYCLE_1) | instskip(NEXT) | instid1(SALU_CYCLE_1)
	s_mov_b32 s9, s3
	s_cmp_lg_u64 s[8:9], 0
	s_cbranch_scc0 .LBB16_21
; %bb.1:
	s_add_nc_u64 s[8:9], s[16:17], 0
	s_mov_b32 s15, s17
	s_xor_b64 s[8:9], s[8:9], 0
	s_mov_b32 s23, s17
	s_cvt_f32_u32 s7, s8
	s_cvt_f32_u32 s10, s9
	s_sub_nc_u64 s[12:13], 0, s[8:9]
	s_delay_alu instid0(SALU_CYCLE_2) | instskip(NEXT) | instid1(SALU_CYCLE_3)
	s_fmamk_f32 s7, s10, 0x4f800000, s7
	v_s_rcp_f32 s7, s7
	s_delay_alu instid0(TRANS32_DEP_1) | instskip(SKIP_1) | instid1(SALU_CYCLE_2)
	s_mul_f32 s7, s7, 0x5f7ffffc
	s_wait_alu 0xfffe
	s_mul_f32 s10, s7, 0x2f800000
	s_delay_alu instid0(SALU_CYCLE_3) | instskip(NEXT) | instid1(SALU_CYCLE_3)
	s_trunc_f32 s10, s10
	s_fmamk_f32 s7, s10, 0xcf800000, s7
	s_cvt_u32_f32 s11, s10
	s_wait_alu 0xfffe
	s_delay_alu instid0(SALU_CYCLE_1) | instskip(NEXT) | instid1(SALU_CYCLE_3)
	s_cvt_u32_f32 s10, s7
	s_mul_u64 s[20:21], s[12:13], s[10:11]
	s_delay_alu instid0(SALU_CYCLE_1)
	s_mul_hi_u32 s25, s10, s21
	s_mul_i32 s24, s10, s21
	s_mul_hi_u32 s14, s10, s20
	s_mul_i32 s22, s11, s20
	s_add_nc_u64 s[14:15], s[14:15], s[24:25]
	s_mul_hi_u32 s7, s11, s20
	s_mul_hi_u32 s26, s11, s21
	s_add_co_u32 s14, s14, s22
	s_wait_alu 0xfffe
	s_add_co_ci_u32 s22, s15, s7
	s_mul_i32 s20, s11, s21
	s_add_co_ci_u32 s21, s26, 0
	s_delay_alu instid0(SALU_CYCLE_1)
	s_add_nc_u64 s[14:15], s[22:23], s[20:21]
	s_mov_b32 s21, s17
	s_add_co_u32 s10, s10, s14
	s_cselect_b32 s7, -1, 0
	s_wait_alu 0xfffe
	s_cmp_lg_u32 s7, 0
	s_add_co_ci_u32 s11, s11, s15
	s_mov_b32 s15, s17
	s_mul_u64 s[12:13], s[12:13], s[10:11]
	s_delay_alu instid0(SALU_CYCLE_1)
	s_mul_hi_u32 s23, s10, s13
	s_mul_i32 s22, s10, s13
	s_mul_hi_u32 s14, s10, s12
	s_mul_i32 s20, s11, s12
	s_add_nc_u64 s[14:15], s[14:15], s[22:23]
	s_mul_hi_u32 s7, s11, s12
	s_mul_hi_u32 s24, s11, s13
	s_mul_i32 s12, s11, s13
	s_add_co_u32 s13, s14, s20
	s_wait_alu 0xfffe
	s_add_co_ci_u32 s20, s15, s7
	s_add_co_ci_u32 s13, s24, 0
	s_mov_b32 s15, s17
	s_add_nc_u64 s[12:13], s[20:21], s[12:13]
	s_delay_alu instid0(SALU_CYCLE_1) | instskip(SKIP_1) | instid1(SALU_CYCLE_1)
	s_add_co_u32 s7, s10, s12
	s_cselect_b32 s10, -1, 0
	s_cmp_lg_u32 s10, 0
	s_add_co_ci_u32 s20, s11, s13
	s_ashr_i32 s10, s3, 31
	s_delay_alu instid0(SALU_CYCLE_1) | instskip(NEXT) | instid1(SALU_CYCLE_1)
	s_mov_b32 s11, s10
	s_add_nc_u64 s[12:13], s[2:3], s[10:11]
	s_delay_alu instid0(SALU_CYCLE_1) | instskip(NEXT) | instid1(SALU_CYCLE_1)
	s_xor_b64 s[12:13], s[12:13], s[10:11]
	s_mul_hi_u32 s23, s12, s20
	s_mul_i32 s22, s12, s20
	s_wait_alu 0xfffe
	s_mul_hi_u32 s14, s12, s7
	s_mul_hi_u32 s24, s13, s7
	s_mul_i32 s7, s13, s7
	s_add_nc_u64 s[14:15], s[14:15], s[22:23]
	s_mul_hi_u32 s3, s13, s20
	s_wait_alu 0xfffe
	s_add_co_u32 s7, s14, s7
	s_mul_i32 s22, s13, s20
	s_add_co_ci_u32 s20, s15, s24
	s_add_co_ci_u32 s23, s3, 0
	s_delay_alu instid0(SALU_CYCLE_1) | instskip(NEXT) | instid1(SALU_CYCLE_1)
	s_add_nc_u64 s[14:15], s[20:21], s[22:23]
	s_mul_u64 s[20:21], s[8:9], s[14:15]
	s_delay_alu instid0(SALU_CYCLE_1)
	s_sub_co_u32 s3, s12, s20
	s_cselect_b32 s7, -1, 0
	s_sub_co_i32 s12, s13, s21
	s_wait_alu 0xfffe
	s_cmp_lg_u32 s7, 0
	s_sub_co_ci_u32 s12, s12, s9
	s_sub_co_u32 s20, s3, s8
	s_cselect_b32 s22, -1, 0
	s_delay_alu instid0(SALU_CYCLE_1) | instskip(SKIP_2) | instid1(SALU_CYCLE_1)
	s_cmp_lg_u32 s22, 0
	s_add_nc_u64 s[22:23], s[14:15], 1
	s_sub_co_ci_u32 s12, s12, 0
	s_cmp_ge_u32 s12, s9
	s_cselect_b32 s24, -1, 0
	s_cmp_ge_u32 s20, s8
	s_cselect_b32 s20, -1, 0
	s_cmp_eq_u32 s12, s9
	s_cselect_b32 s12, s20, s24
	s_add_nc_u64 s[24:25], s[14:15], 2
	s_cmp_lg_u32 s12, 0
	s_cselect_b32 s12, s24, s22
	s_cselect_b32 s20, s25, s23
	s_cmp_lg_u32 s7, 0
	s_sub_co_ci_u32 s7, s13, s21
	s_wait_alu 0xfffe
	s_cmp_ge_u32 s7, s9
	s_cselect_b32 s13, -1, 0
	s_cmp_ge_u32 s3, s8
	s_cselect_b32 s3, -1, 0
	s_cmp_eq_u32 s7, s9
	s_cselect_b32 s3, s3, s13
	s_delay_alu instid0(SALU_CYCLE_1) | instskip(SKIP_4) | instid1(SALU_CYCLE_1)
	s_cmp_lg_u32 s3, 0
	s_mov_b32 s3, s17
	s_cselect_b32 s9, s20, s15
	s_cselect_b32 s8, s12, s14
	s_xor_b64 s[10:11], s[10:11], 0
	s_xor_b64 s[8:9], s[8:9], s[10:11]
	s_delay_alu instid0(SALU_CYCLE_1)
	s_sub_nc_u64 s[20:21], s[8:9], s[10:11]
	s_and_not1_b32 vcc_lo, exec_lo, s3
	s_cbranch_vccnz .LBB16_3
.LBB16_2:
	v_cvt_f32_u32_e32 v1, s16
	s_sub_co_i32 s7, 0, s16
	s_delay_alu instid0(VALU_DEP_1) | instskip(NEXT) | instid1(TRANS32_DEP_1)
	v_rcp_iflag_f32_e32 v1, v1
	v_mul_f32_e32 v1, 0x4f7ffffe, v1
	s_delay_alu instid0(VALU_DEP_1) | instskip(NEXT) | instid1(VALU_DEP_1)
	v_cvt_u32_f32_e32 v1, v1
	v_readfirstlane_b32 s3, v1
	s_wait_alu 0xfffe
	s_mul_i32 s7, s7, s3
	s_wait_alu 0xfffe
	s_mul_hi_u32 s7, s3, s7
	s_wait_alu 0xfffe
	s_add_co_i32 s3, s3, s7
	s_delay_alu instid0(SALU_CYCLE_1) | instskip(NEXT) | instid1(SALU_CYCLE_1)
	s_mul_hi_u32 s3, s2, s3
	s_mul_i32 s7, s3, s16
	s_wait_alu 0xfffe
	s_sub_co_i32 s2, s2, s7
	s_add_co_i32 s7, s3, 1
	s_sub_co_i32 s8, s2, s16
	s_cmp_ge_u32 s2, s16
	s_wait_alu 0xfffe
	s_cselect_b32 s3, s7, s3
	s_cselect_b32 s2, s8, s2
	s_add_co_i32 s7, s3, 1
	s_cmp_ge_u32 s2, s16
	s_wait_alu 0xfffe
	s_cselect_b32 s20, s7, s3
.LBB16_3:
	s_add_co_i32 s2, ttmp9, 1
	s_mov_b32 s8, 0
	s_ashr_i32 s3, s2, 31
	s_delay_alu instid0(SALU_CYCLE_1) | instskip(NEXT) | instid1(SALU_CYCLE_1)
	s_mul_u64 s[2:3], s[18:19], s[2:3]
	s_mov_b32 s9, s3
	s_delay_alu instid0(SALU_CYCLE_1)
	s_cmp_lg_u64 s[8:9], 0
	s_cbranch_scc0 .LBB16_22
; %bb.4:
	s_add_nc_u64 s[10:11], s[16:17], 0
	s_mov_b32 s23, s8
	s_xor_b64 s[10:11], s[10:11], 0
	s_mov_b32 s27, s8
	s_cvt_f32_u32 s7, s10
	s_cvt_f32_u32 s9, s11
	s_sub_nc_u64 s[14:15], 0, s[10:11]
	s_wait_alu 0xfffe
	s_delay_alu instid0(SALU_CYCLE_1) | instskip(SKIP_1) | instid1(SALU_CYCLE_2)
	s_fmamk_f32 s7, s9, 0x4f800000, s7
	s_wait_alu 0xfffe
	v_s_rcp_f32 s7, s7
	s_delay_alu instid0(TRANS32_DEP_1) | instskip(SKIP_1) | instid1(SALU_CYCLE_2)
	s_mul_f32 s7, s7, 0x5f7ffffc
	s_wait_alu 0xfffe
	s_mul_f32 s9, s7, 0x2f800000
	s_delay_alu instid0(SALU_CYCLE_3) | instskip(NEXT) | instid1(SALU_CYCLE_3)
	s_trunc_f32 s9, s9
	s_fmamk_f32 s7, s9, 0xcf800000, s7
	s_cvt_u32_f32 s13, s9
	s_wait_alu 0xfffe
	s_delay_alu instid0(SALU_CYCLE_1) | instskip(NEXT) | instid1(SALU_CYCLE_3)
	s_cvt_u32_f32 s12, s7
	s_mul_u64 s[24:25], s[14:15], s[12:13]
	s_delay_alu instid0(SALU_CYCLE_1)
	s_mul_hi_u32 s29, s12, s25
	s_mul_i32 s28, s12, s25
	s_mul_hi_u32 s22, s12, s24
	s_mul_i32 s9, s13, s24
	s_add_nc_u64 s[22:23], s[22:23], s[28:29]
	s_mul_hi_u32 s7, s13, s24
	s_mul_hi_u32 s21, s13, s25
	s_add_co_u32 s9, s22, s9
	s_wait_alu 0xfffe
	s_add_co_ci_u32 s26, s23, s7
	s_mul_i32 s24, s13, s25
	s_add_co_ci_u32 s25, s21, 0
	s_delay_alu instid0(SALU_CYCLE_1)
	s_add_nc_u64 s[22:23], s[26:27], s[24:25]
	s_mov_b32 s25, s8
	s_add_co_u32 s12, s12, s22
	s_cselect_b32 s7, -1, 0
	s_wait_alu 0xfffe
	s_cmp_lg_u32 s7, 0
	s_add_co_ci_u32 s13, s13, s23
	s_mov_b32 s23, s8
	s_mul_u64 s[14:15], s[14:15], s[12:13]
	s_delay_alu instid0(SALU_CYCLE_1)
	s_mul_hi_u32 s27, s12, s15
	s_mul_i32 s26, s12, s15
	s_mul_hi_u32 s22, s12, s14
	s_mul_i32 s9, s13, s14
	s_add_nc_u64 s[22:23], s[22:23], s[26:27]
	s_mul_hi_u32 s7, s13, s14
	s_mul_hi_u32 s21, s13, s15
	s_add_co_u32 s9, s22, s9
	s_wait_alu 0xfffe
	s_add_co_ci_u32 s24, s23, s7
	s_mul_i32 s14, s13, s15
	s_add_co_ci_u32 s15, s21, 0
	s_mov_b32 s23, s8
	s_add_nc_u64 s[14:15], s[24:25], s[14:15]
	s_delay_alu instid0(SALU_CYCLE_1) | instskip(SKIP_1) | instid1(SALU_CYCLE_1)
	s_add_co_u32 s7, s12, s14
	s_cselect_b32 s9, -1, 0
	s_cmp_lg_u32 s9, 0
	s_add_co_ci_u32 s9, s13, s15
	s_ashr_i32 s12, s3, 31
	s_delay_alu instid0(SALU_CYCLE_1) | instskip(NEXT) | instid1(SALU_CYCLE_1)
	s_mov_b32 s13, s12
	s_add_nc_u64 s[14:15], s[2:3], s[12:13]
	s_delay_alu instid0(SALU_CYCLE_1) | instskip(NEXT) | instid1(SALU_CYCLE_1)
	s_xor_b64 s[14:15], s[14:15], s[12:13]
	s_mul_hi_u32 s27, s14, s9
	s_mul_i32 s26, s14, s9
	s_wait_alu 0xfffe
	s_mul_hi_u32 s22, s14, s7
	s_mul_hi_u32 s21, s15, s7
	s_mul_i32 s7, s15, s7
	s_add_nc_u64 s[22:23], s[22:23], s[26:27]
	s_mul_hi_u32 s3, s15, s9
	s_wait_alu 0xfffe
	s_add_co_u32 s7, s22, s7
	s_add_co_ci_u32 s24, s23, s21
	s_mul_i32 s26, s15, s9
	s_add_co_ci_u32 s27, s3, 0
	s_delay_alu instid0(SALU_CYCLE_1) | instskip(NEXT) | instid1(SALU_CYCLE_1)
	s_add_nc_u64 s[22:23], s[24:25], s[26:27]
	s_mul_u64 s[24:25], s[10:11], s[22:23]
	s_add_nc_u64 s[26:27], s[22:23], 1
	s_sub_co_u32 s3, s14, s24
	s_cselect_b32 s7, -1, 0
	s_sub_co_i32 s9, s15, s25
	s_wait_alu 0xfffe
	s_cmp_lg_u32 s7, 0
	s_add_nc_u64 s[28:29], s[22:23], 2
	s_sub_co_ci_u32 s9, s9, s11
	s_sub_co_u32 s14, s3, s10
	s_cselect_b32 s21, -1, 0
	s_delay_alu instid0(SALU_CYCLE_1) | instskip(SKIP_1) | instid1(SALU_CYCLE_1)
	s_cmp_lg_u32 s21, 0
	s_sub_co_ci_u32 s9, s9, 0
	s_cmp_ge_u32 s9, s11
	s_cselect_b32 s21, -1, 0
	s_cmp_ge_u32 s14, s10
	s_cselect_b32 s14, -1, 0
	s_cmp_eq_u32 s9, s11
	s_cselect_b32 s9, s14, s21
	s_delay_alu instid0(SALU_CYCLE_1)
	s_cmp_lg_u32 s9, 0
	s_cselect_b32 s9, s28, s26
	s_cselect_b32 s14, s29, s27
	s_cmp_lg_u32 s7, 0
	s_sub_co_ci_u32 s7, s15, s25
	s_wait_alu 0xfffe
	s_cmp_ge_u32 s7, s11
	s_cselect_b32 s15, -1, 0
	s_cmp_ge_u32 s3, s10
	s_cselect_b32 s3, -1, 0
	s_cmp_eq_u32 s7, s11
	s_cselect_b32 s3, s3, s15
	s_delay_alu instid0(SALU_CYCLE_1) | instskip(SKIP_3) | instid1(SALU_CYCLE_1)
	s_cmp_lg_u32 s3, 0
	s_cselect_b32 s11, s14, s23
	s_cselect_b32 s10, s9, s22
	s_xor_b64 s[12:13], s[12:13], 0
	s_xor_b64 s[10:11], s[10:11], s[12:13]
	s_delay_alu instid0(SALU_CYCLE_1)
	s_sub_nc_u64 s[10:11], s[10:11], s[12:13]
	s_load_b96 s[12:14], s[0:1], 0x44
	s_and_not1_b32 vcc_lo, exec_lo, s8
	s_cbranch_vccnz .LBB16_6
.LBB16_5:
	v_cvt_f32_u32_e32 v1, s16
	s_sub_co_i32 s7, 0, s16
	s_delay_alu instid0(VALU_DEP_1) | instskip(NEXT) | instid1(TRANS32_DEP_1)
	v_rcp_iflag_f32_e32 v1, v1
	v_mul_f32_e32 v1, 0x4f7ffffe, v1
	s_delay_alu instid0(VALU_DEP_1) | instskip(NEXT) | instid1(VALU_DEP_1)
	v_cvt_u32_f32_e32 v1, v1
	v_readfirstlane_b32 s3, v1
	s_wait_alu 0xfffe
	s_mul_i32 s7, s7, s3
	s_wait_alu 0xfffe
	s_mul_hi_u32 s7, s3, s7
	s_wait_alu 0xfffe
	s_add_co_i32 s3, s3, s7
	s_delay_alu instid0(SALU_CYCLE_1) | instskip(NEXT) | instid1(SALU_CYCLE_1)
	s_mul_hi_u32 s3, s2, s3
	s_mul_i32 s7, s3, s16
	s_wait_alu 0xfffe
	s_sub_co_i32 s2, s2, s7
	s_add_co_i32 s7, s3, 1
	s_sub_co_i32 s8, s2, s16
	s_cmp_ge_u32 s2, s16
	s_wait_alu 0xfffe
	s_cselect_b32 s3, s7, s3
	s_cselect_b32 s2, s8, s2
	s_add_co_i32 s7, s3, 1
	s_cmp_ge_u32 s2, s16
	s_wait_alu 0xfffe
	s_cselect_b32 s10, s7, s3
.LBB16_6:
	s_mov_b32 s21, 0
	s_wait_kmcnt 0x0
	s_mov_b32 s22, s12
	s_mov_b32 s23, s21
	s_cmp_eq_u32 s20, s10
	s_mul_u64 s[2:3], s[20:21], s[22:23]
	s_cselect_b32 s7, -1, 0
	s_add_co_i32 s2, s3, s20
	s_mov_b32 s11, s21
	s_lshr_b32 s12, s2, s13
	s_mul_u64 s[2:3], s[10:11], s[22:23]
	s_mul_i32 s2, s12, s14
	s_delay_alu instid0(SALU_CYCLE_1) | instskip(SKIP_2) | instid1(SALU_CYCLE_1)
	s_cmp_eq_u32 s2, s20
	s_cselect_b32 s2, -1, 0
	s_add_co_i32 s3, s3, s10
	s_lshr_b32 s3, s3, s13
	s_delay_alu instid0(SALU_CYCLE_1)
	s_cmp_eq_u32 s12, s3
	s_mul_i32 s3, s3, s14
	s_cselect_b32 s8, -1, 0
	s_cmp_lg_u32 s3, s10
	s_cselect_b32 s3, -1, 0
	s_wait_alu 0xfffe
	s_or_b32 s2, s7, s2
	s_and_b32 s3, s8, s3
	s_delay_alu instid0(SALU_CYCLE_1) | instskip(NEXT) | instid1(SALU_CYCLE_1)
	s_or_b32 s2, s2, s3
	s_and_b32 vcc_lo, exec_lo, s2
	s_cbranch_vccnz .LBB16_24
; %bb.7:
	s_load_b256 s[24:31], s[0:1], 0x20
	s_mov_b32 s3, s21
	s_load_b32 s7, s[0:1], 0x40
	s_and_b32 s15, ttmp7, 0xffff
	s_wait_kmcnt 0x0
	s_mov_b32 s2, s24
	s_delay_alu instid0(SALU_CYCLE_1) | instskip(NEXT) | instid1(SALU_CYCLE_1)
	s_mul_u64 s[2:3], s[20:21], s[2:3]
	s_add_co_i32 s2, s3, s20
	s_delay_alu instid0(SALU_CYCLE_1) | instskip(NEXT) | instid1(SALU_CYCLE_1)
	s_lshr_b32 s2, s2, s25
	s_mul_i32 s3, s2, s26
	s_delay_alu instid0(SALU_CYCLE_1) | instskip(NEXT) | instid1(SALU_CYCLE_1)
	s_sub_co_i32 s8, s20, s3
	s_mul_hi_u32 s3, s8, s27
	s_delay_alu instid0(SALU_CYCLE_1) | instskip(NEXT) | instid1(SALU_CYCLE_1)
	s_add_co_i32 s3, s8, s3
	s_lshr_b32 s3, s3, s28
	s_delay_alu instid0(SALU_CYCLE_1) | instskip(NEXT) | instid1(SALU_CYCLE_1)
	s_mul_i32 s9, s3, s29
	s_sub_co_i32 s8, s8, s9
	s_delay_alu instid0(SALU_CYCLE_1) | instskip(NEXT) | instid1(SALU_CYCLE_1)
	s_mul_hi_u32 s9, s8, s30
	s_add_co_i32 s9, s8, s9
	s_delay_alu instid0(SALU_CYCLE_1)
	s_lshr_b32 s24, s9, s31
	s_mov_b32 s9, s21
	s_mul_i32 s7, s24, s7
	s_lshr_b32 s21, ttmp7, 16
	s_wait_alu 0xfffe
	s_sub_co_i32 s8, s8, s7
	s_lshl_b32 s24, s24, 3
	s_mul_u64 s[10:11], s[8:9], s[22:23]
	s_delay_alu instid0(SALU_CYCLE_1)
	s_add_co_i32 s7, s8, s11
	s_wait_alu 0xfffe
	s_lshr_b32 s7, s7, s13
	s_wait_alu 0xfffe
	s_add_co_i32 s7, s7, s15
	s_wait_alu 0xfffe
	s_cmp_lt_i32 s7, s4
	s_cselect_b32 s8, -1, 0
	s_add_co_i32 s24, s24, s21
	s_delay_alu instid0(SALU_CYCLE_1) | instskip(SKIP_1) | instid1(SALU_CYCLE_1)
	s_cmp_lt_i32 s24, s6
	s_cselect_b32 s9, -1, 0
	s_and_b32 s8, s8, s9
	s_delay_alu instid0(SALU_CYCLE_1)
	s_and_not1_b32 vcc_lo, exec_lo, s8
	s_cbranch_vccnz .LBB16_24
; %bb.8:
	s_mul_i32 s2, s2, s4
	s_load_b128 s[8:11], s[0:1], 0x0
	s_mul_i32 s3, s3, s6
	s_add_co_i32 s0, s7, s2
	s_add_co_i32 s1, s24, s3
	s_mul_i32 s0, s0, s5
	v_cvt_f32_u32_e32 v4, s16
	s_add_co_i32 s1, s1, s0
	s_add_co_i32 s34, ttmp9, -1
	v_lshl_or_b32 v1, s1, 6, v0
	s_add_nc_u64 s[0:1], s[16:17], 0
	v_rcp_iflag_f32_e32 v4, v4
	s_wait_alu 0xfffe
	s_xor_b64 s[6:7], s[0:1], 0
	s_add_co_i32 s0, s15, ttmp9
	v_ashrrev_i32_e32 v2, 31, v1
	s_wait_alu 0xfffe
	s_cvt_f32_u32 s1, s6
	s_cvt_f32_u32 s2, s7
	s_lshl_b32 s0, s0, 3
	v_lshl_or_b32 v0, s21, 6, v0
	v_lshlrev_b64_e32 v[1:2], 2, v[1:2]
	s_wait_alu 0xfffe
	s_add_co_i32 s0, s0, s21
	s_fmamk_f32 s2, s2, 0x4f800000, s1
	s_wait_alu 0xfffe
	s_ashr_i32 s1, s0, 31
	s_sub_nc_u64 s[30:31], 0, s[6:7]
	s_wait_alu 0xfffe
	s_lshl_b64 s[0:1], s[0:1], 3
	s_wait_kmcnt 0x0
	v_add_co_u32 v1, vcc_lo, s8, v1
	s_delay_alu instid0(VALU_DEP_1)
	v_add_co_ci_u32_e64 v2, null, s9, v2, vcc_lo
	v_s_rcp_f32 s2, s2
	s_wait_alu 0xfffe
	s_add_nc_u64 s[0:1], s[10:11], s[0:1]
	s_mov_b32 s8, 0
	global_load_b32 v3, v[1:2], off
	s_load_b64 s[26:27], s[0:1], 0x0
	v_mul_f32_e32 v4, 0x4f7ffffe, v4
	s_lshl_b32 s0, s16, 5
	s_mul_f32 s2, s2, 0x5f7ffffc
	s_wait_alu 0xfffe
	s_delay_alu instid0(SALU_CYCLE_2) | instskip(SKIP_1) | instid1(SALU_CYCLE_2)
	s_mul_f32 s1, s2, 0x2f800000
	s_wait_alu 0xfffe
	s_trunc_f32 s3, s1
	s_mov_b32 s1, s8
	s_wait_alu 0xfffe
	s_lshl_b64 s[0:1], s[0:1], 2
	s_fmamk_f32 s2, s3, 0xcf800000, s2
	s_cvt_u32_f32 s29, s3
	s_wait_alu 0xfffe
	s_add_nc_u64 s[24:25], s[10:11], s[0:1]
	s_cvt_u32_f32 s28, s2
	s_wait_kmcnt 0x0
	v_mov_b32_e32 v5, s27
	v_cvt_u32_f32_e32 v4, v4
.LBB16_9:                               ; =>This Inner Loop Header: Depth=1
	s_wait_alu 0xfffe
	s_ashr_i32 s35, s34, 31
	s_mov_b32 s2, -1
	s_wait_alu 0xfffe
	s_mul_u64 s[0:1], s[34:35], s[18:19]
                                        ; implicit-def: $sgpr38_sgpr39
	s_wait_alu 0xfffe
	s_mov_b32 s9, s1
	s_wait_alu 0xfffe
	s_cmp_lg_u64 s[8:9], 0
	s_cbranch_scc0 .LBB16_11
; %bb.10:                               ;   in Loop: Header=BB16_9 Depth=1
	s_mul_u64 s[2:3], s[30:31], s[28:29]
	s_mov_b32 s37, s8
	s_wait_alu 0xfffe
	s_mul_hi_u32 s5, s28, s3
	s_mul_i32 s4, s28, s3
	s_mul_hi_u32 s36, s28, s2
	s_mul_hi_u32 s9, s29, s2
	s_wait_alu 0xfffe
	s_add_nc_u64 s[4:5], s[36:37], s[4:5]
	s_mul_i32 s2, s29, s2
	s_mul_hi_u32 s17, s29, s3
	s_wait_alu 0xfffe
	s_add_co_u32 s2, s4, s2
	s_add_co_ci_u32 s2, s5, s9
	s_add_co_ci_u32 s5, s17, 0
	s_mul_i32 s4, s29, s3
	s_mov_b32 s3, s8
	s_mov_b32 s39, s8
	s_wait_alu 0xfffe
	s_add_nc_u64 s[2:3], s[2:3], s[4:5]
	s_wait_alu 0xfffe
	s_add_co_u32 s2, s28, s2
	s_cselect_b32 s4, -1, 0
	s_wait_alu 0xfffe
	s_cmp_lg_u32 s4, 0
	s_add_co_ci_u32 s3, s29, s3
	s_wait_alu 0xfffe
	s_mul_u64 s[4:5], s[30:31], s[2:3]
	s_wait_alu 0xfffe
	s_mul_hi_u32 s37, s2, s5
	s_mul_i32 s36, s2, s5
	s_mul_hi_u32 s38, s2, s4
	s_mul_hi_u32 s9, s3, s4
	s_mul_i32 s4, s3, s4
	s_wait_alu 0xfffe
	s_add_nc_u64 s[36:37], s[38:39], s[36:37]
	s_mul_hi_u32 s17, s3, s5
	s_wait_alu 0xfffe
	s_add_co_u32 s4, s36, s4
	s_add_co_ci_u32 s4, s37, s9
	s_add_co_ci_u32 s37, s17, 0
	s_mul_i32 s36, s3, s5
	s_mov_b32 s5, s8
	s_wait_alu 0xfffe
	s_add_nc_u64 s[4:5], s[4:5], s[36:37]
	s_mov_b32 s37, s8
	s_wait_alu 0xfffe
	s_add_co_u32 s9, s2, s4
	s_cselect_b32 s2, -1, 0
	s_wait_alu 0xfffe
	s_cmp_lg_u32 s2, 0
	s_add_co_ci_u32 s17, s3, s5
	s_ashr_i32 s2, s1, 31
	s_wait_alu 0xfffe
	s_mov_b32 s3, s2
	s_wait_alu 0xfffe
	s_add_nc_u64 s[4:5], s[0:1], s[2:3]
	s_wait_alu 0xfffe
	s_xor_b64 s[4:5], s[4:5], s[2:3]
	s_wait_alu 0xfffe
	s_mul_hi_u32 s39, s4, s17
	s_mul_i32 s38, s4, s17
	s_mul_hi_u32 s36, s4, s9
	s_mul_i32 s27, s5, s9
	s_wait_alu 0xfffe
	s_add_nc_u64 s[36:37], s[36:37], s[38:39]
	s_mul_hi_u32 s9, s5, s9
	s_mul_hi_u32 s1, s5, s17
	s_wait_alu 0xfffe
	s_add_co_u32 s27, s36, s27
	s_add_co_ci_u32 s36, s37, s9
	s_add_co_ci_u32 s39, s1, 0
	s_mul_i32 s38, s5, s17
	s_mov_b32 s37, s8
	s_wait_alu 0xfffe
	s_add_nc_u64 s[36:37], s[36:37], s[38:39]
	s_wait_alu 0xfffe
	s_mul_u64 s[38:39], s[6:7], s[36:37]
	s_add_nc_u64 s[40:41], s[36:37], 1
	s_wait_alu 0xfffe
	s_sub_co_u32 s1, s4, s38
	s_cselect_b32 s4, -1, 0
	s_sub_co_i32 s9, s5, s39
	s_wait_alu 0xfffe
	s_cmp_lg_u32 s4, 0
	s_add_nc_u64 s[42:43], s[36:37], 2
	s_sub_co_ci_u32 s9, s9, s7
	s_sub_co_u32 s17, s1, s6
	s_cselect_b32 s27, -1, 0
	s_wait_alu 0xfffe
	s_cmp_lg_u32 s27, 0
	s_sub_co_ci_u32 s9, s9, 0
	s_wait_alu 0xfffe
	s_cmp_ge_u32 s9, s7
	s_cselect_b32 s27, -1, 0
	s_cmp_ge_u32 s17, s6
	s_cselect_b32 s17, -1, 0
	s_cmp_eq_u32 s9, s7
	s_wait_alu 0xfffe
	s_cselect_b32 s9, s17, s27
	s_wait_alu 0xfffe
	s_cmp_lg_u32 s9, 0
	s_cselect_b32 s9, s42, s40
	s_cselect_b32 s17, s43, s41
	s_cmp_lg_u32 s4, 0
	s_sub_co_ci_u32 s4, s5, s39
	s_wait_alu 0xfffe
	s_cmp_ge_u32 s4, s7
	s_cselect_b32 s5, -1, 0
	s_cmp_ge_u32 s1, s6
	s_cselect_b32 s1, -1, 0
	s_cmp_eq_u32 s4, s7
	s_wait_alu 0xfffe
	s_cselect_b32 s1, s1, s5
	s_wait_alu 0xfffe
	s_cmp_lg_u32 s1, 0
	s_cselect_b32 s5, s17, s37
	s_cselect_b32 s4, s9, s36
	s_xor_b64 s[2:3], s[2:3], 0
	s_wait_alu 0xfffe
	s_xor_b64 s[4:5], s[4:5], s[2:3]
	s_wait_alu 0xfffe
	s_sub_nc_u64 s[38:39], s[4:5], s[2:3]
	s_mov_b32 s2, 0
.LBB16_11:                              ;   in Loop: Header=BB16_9 Depth=1
	s_wait_alu 0xfffe
	s_and_not1_b32 vcc_lo, exec_lo, s2
	s_wait_alu 0xfffe
	s_cbranch_vccnz .LBB16_13
; %bb.12:                               ;   in Loop: Header=BB16_9 Depth=1
	v_readfirstlane_b32 s1, v4
	s_sub_co_i32 s2, 0, s16
	s_wait_alu 0xfffe
	s_mul_i32 s2, s2, s1
	s_wait_alu 0xfffe
	s_mul_hi_u32 s2, s1, s2
	s_wait_alu 0xfffe
	s_add_co_i32 s1, s1, s2
	s_wait_alu 0xfffe
	s_mul_hi_u32 s1, s0, s1
	s_wait_alu 0xfffe
	s_mul_i32 s2, s1, s16
	s_wait_alu 0xfffe
	s_sub_co_i32 s0, s0, s2
	s_add_co_i32 s2, s1, 1
	s_wait_alu 0xfffe
	s_sub_co_i32 s3, s0, s16
	s_cmp_ge_u32 s0, s16
	s_cselect_b32 s1, s2, s1
	s_wait_alu 0xfffe
	s_cselect_b32 s0, s3, s0
	s_add_co_i32 s2, s1, 1
	s_wait_alu 0xfffe
	s_cmp_ge_u32 s0, s16
	s_cselect_b32 s38, s2, s1
.LBB16_13:                              ;   in Loop: Header=BB16_9 Depth=1
	v_readfirstlane_b32 s9, v0
	s_wait_alu 0xfffe
	s_cmp_lg_u32 s20, s38
	s_mov_b32 s0, -1
                                        ; implicit-def: $sgpr27
                                        ; implicit-def: $vgpr6
                                        ; implicit-def: $vgpr7
                                        ; implicit-def: $sgpr17
                                        ; implicit-def: $sgpr33
	s_cbranch_scc1 .LBB16_16
; %bb.14:                               ;   in Loop: Header=BB16_9 Depth=1
	s_wait_alu 0xfffe
	s_and_not1_b32 vcc_lo, exec_lo, s0
	s_wait_alu 0xfffe
	s_cbranch_vccz .LBB16_19
.LBB16_15:                              ;   in Loop: Header=BB16_9 Depth=1
	s_and_not1_b32 vcc_lo, exec_lo, s27
	s_wait_alu 0xfffe
	s_cbranch_vccnz .LBB16_20
	s_branch .LBB16_23
.LBB16_16:                              ;   in Loop: Header=BB16_9 Depth=1
	s_add_co_i32 s40, s34, s15
	s_mov_b32 s1, s8
	s_wait_alu 0xfffe
	s_add_co_i32 s0, s40, s16
	v_max_num_f32_e64 v6, s26, s26
	s_wait_alu 0xfffe
	s_lshl_b32 s0, s0, 3
	s_mov_b32 s39, s8
	s_wait_alu 0xfffe
	s_add_co_i32 s0, s0, s21
	s_mul_u64 s[42:43], s[38:39], s[22:23]
	s_wait_alu 0xfffe
	s_lshl_b64 s[0:1], s[0:1], 3
	s_mov_b32 s33, s20
	s_wait_alu 0xfffe
	s_add_nc_u64 s[0:1], s[10:11], s[0:1]
	s_load_b64 s[36:37], s[0:1], 0x0
	v_readfirstlane_b32 s0, v6
	s_wait_kmcnt 0x0
	v_max_num_f32_e64 v7, s36, s36
	s_delay_alu instid0(VALU_DEP_1) | instskip(SKIP_2) | instid1(SALU_CYCLE_2)
	v_readfirstlane_b32 s1, v7
	s_max_num_f32 s9, s0, s1
	s_wait_alu 0xfffe
	s_sub_f32 s35, s26, s9
	s_sub_f32 s36, s36, s9
	s_wait_alu 0xfffe
	s_delay_alu instid0(SALU_CYCLE_1)
	s_cmp_nlt_f32 s35, 0xc2ce8ed0
	s_cselect_b32 s0, -1, 0
	s_cmp_ngt_f32 s35, 0x42b17218
	s_cselect_b32 s1, -1, 0
	s_cmp_ge_f32 s35, 0xc1a00000
	s_cselect_b32 s2, -1, 0
	s_cmp_nlt_f32 s36, 0xc2ce8ed0
	s_cselect_b32 s3, -1, 0
	s_cmp_ngt_f32 s36, 0x42b17218
	s_cselect_b32 s4, -1, 0
	s_cmp_ge_f32 s36, 0xc1a00000
	s_cselect_b32 s5, -1, 0
	s_add_co_i32 s17, s43, s38
	s_wait_alu 0xfffe
	s_lshr_b32 s17, s17, s13
	s_wait_alu 0xfffe
	s_mul_i32 s27, s17, s14
	s_wait_alu 0xfffe
	s_cmp_eq_u32 s27, s38
	s_cselect_b32 s27, -1, 0
	s_cmp_lt_u32 s17, s12
	s_cselect_b32 s17, -1, 0
	s_wait_alu 0xfffe
	s_or_b32 s17, s17, s27
	s_mov_b32 s27, -1
	s_wait_alu 0xfffe
	s_and_b32 vcc_lo, exec_lo, s17
	s_mov_b32 s17, s34
	s_wait_alu 0xfffe
	s_cbranch_vccnz .LBB16_18
; %bb.17:                               ;   in Loop: Header=BB16_9 Depth=1
	s_add_co_i32 s17, s34, -1
	s_mov_b32 s27, 0
	s_mov_b32 s33, s38
.LBB16_18:                              ;   in Loop: Header=BB16_9 Depth=1
	v_lshl_add_u32 v6, s40, 9, v0
	s_mul_f32 s38, s36, 0x3fb8aa3b
	s_mul_f32 s39, s35, 0x3fb8aa3b
	s_wait_alu 0xfffe
	s_delay_alu instid0(SALU_CYCLE_1)
	s_xor_b32 s40, s38, 0x80000000
	v_ashrrev_i32_e32 v7, 31, v6
	s_rndne_f32 s41, s38
	s_wait_alu 0xfffe
	s_fmamk_f32 s40, s36, 0x3fb8aa3b, s40
	s_xor_b32 s42, s39, 0x80000000
	s_rndne_f32 s43, s39
	v_lshlrev_b64_e32 v[6:7], 2, v[6:7]
	s_sub_f32 s38, s38, s41
	s_wait_alu 0xfffe
	s_fmamk_f32 s36, s36, 0x32a5705f, s40
	s_fmamk_f32 s40, s35, 0x3fb8aa3b, s42
	s_sub_f32 s39, s39, s43
	v_add_co_u32 v6, vcc_lo, s24, v6
	s_wait_alu 0xfffd
	v_add_co_ci_u32_e64 v7, null, s25, v7, vcc_lo
	s_wait_alu 0xfffe
	s_add_f32 s36, s38, s36
	s_fmamk_f32 s35, s35, 0x32a5705f, s40
	s_cvt_i32_f32 s38, s41
	global_load_b32 v6, v[6:7], off
	s_wait_alu 0xfffe
	v_s_exp_f32 s36, s36
	s_add_f32 s35, s39, s35
	s_wait_alu 0xfffe
	s_delay_alu instid0(SALU_CYCLE_2) | instskip(NEXT) | instid1(TRANS32_DEP_2)
	v_s_exp_f32 s35, s35
	v_ldexp_f32 v7, s36, s38
	s_cvt_i32_f32 s36, s43
	s_wait_alu 0xf1fe
	s_delay_alu instid0(TRANS32_DEP_1) | instid1(SALU_CYCLE_2)
	v_ldexp_f32 v8, s35, s36
	s_delay_alu instid0(VALU_DEP_2) | instskip(NEXT) | instid1(VALU_DEP_2)
	v_cndmask_b32_e64 v7, 0, v7, s3
	v_cndmask_b32_e64 v8, 0, v8, s0
	s_delay_alu instid0(VALU_DEP_2) | instskip(NEXT) | instid1(VALU_DEP_2)
	v_cndmask_b32_e64 v7, 0x7f800000, v7, s4
	v_cndmask_b32_e64 v8, 0x7f800000, v8, s1
	;; [unrolled: 3-line block ×3, first 2 shown]
	s_wait_loadcnt 0x0
	s_delay_alu instid0(VALU_DEP_2) | instskip(SKIP_1) | instid1(VALU_DEP_1)
	v_mul_f32_e32 v6, v6, v7
	v_mul_f32_e32 v7, s37, v7
	v_fmac_f32_e32 v7, v5, v8
	s_delay_alu instid0(VALU_DEP_3)
	v_fmac_f32_e32 v6, v3, v8
	s_cbranch_execnz .LBB16_15
.LBB16_19:                              ;   in Loop: Header=BB16_9 Depth=1
	s_wait_loadcnt 0x0
	v_dual_mov_b32 v7, v5 :: v_dual_mov_b32 v6, v3
	s_add_co_i32 s17, s34, -1
	s_mov_b32 s33, s20
	s_mov_b32 s9, s26
	s_cbranch_execz .LBB16_23
.LBB16_20:                              ;   in Loop: Header=BB16_9 Depth=1
	v_mov_b32_e32 v5, v7
	s_wait_loadcnt 0x0
	v_mov_b32_e32 v3, v6
	s_mov_b32 s20, s33
	s_wait_alu 0xfffe
	s_mov_b32 s34, s17
	s_mov_b32 s26, s9
	s_branch .LBB16_9
.LBB16_21:
                                        ; implicit-def: $sgpr20_sgpr21
	s_branch .LBB16_2
.LBB16_22:
                                        ; implicit-def: $sgpr10_sgpr11
	s_load_b96 s[12:14], s[0:1], 0x44
	s_branch .LBB16_5
.LBB16_23:
	v_div_scale_f32 v0, null, v7, v7, v6
	s_wait_loadcnt 0x0
	s_delay_alu instid0(VALU_DEP_1) | instskip(NEXT) | instid1(TRANS32_DEP_1)
	v_rcp_f32_e32 v3, v0
	v_fma_f32 v4, -v0, v3, 1.0
	s_delay_alu instid0(VALU_DEP_1) | instskip(SKIP_1) | instid1(VALU_DEP_1)
	v_fmac_f32_e32 v3, v4, v3
	v_div_scale_f32 v4, vcc_lo, v6, v7, v6
	v_mul_f32_e32 v5, v4, v3
	s_delay_alu instid0(VALU_DEP_1) | instskip(NEXT) | instid1(VALU_DEP_1)
	v_fma_f32 v8, -v0, v5, v4
	v_fmac_f32_e32 v5, v8, v3
	s_delay_alu instid0(VALU_DEP_1) | instskip(SKIP_1) | instid1(VALU_DEP_1)
	v_fma_f32 v0, -v0, v5, v4
	s_wait_alu 0xfffd
	v_div_fmas_f32 v0, v0, v3, v5
	s_delay_alu instid0(VALU_DEP_1)
	v_div_fixup_f32 v0, v0, v7, v6
	global_store_b32 v[1:2], v0, off
.LBB16_24:
	s_endpgm
	.section	.rodata,"a",@progbits
	.p2align	6, 0x0
	.amdhsa_kernel _ZL33flash_attn_stream_k_fixup_generalILi64ELi1ELi8EEvPfPK15HIP_vector_typeIfLj2EEiiiiS1_IjLj3EES5_S5_S5_
		.amdhsa_group_segment_fixed_size 0
		.amdhsa_private_segment_fixed_size 0
		.amdhsa_kernarg_size 336
		.amdhsa_user_sgpr_count 2
		.amdhsa_user_sgpr_dispatch_ptr 0
		.amdhsa_user_sgpr_queue_ptr 0
		.amdhsa_user_sgpr_kernarg_segment_ptr 1
		.amdhsa_user_sgpr_dispatch_id 0
		.amdhsa_user_sgpr_private_segment_size 0
		.amdhsa_wavefront_size32 1
		.amdhsa_uses_dynamic_stack 0
		.amdhsa_enable_private_segment 0
		.amdhsa_system_sgpr_workgroup_id_x 1
		.amdhsa_system_sgpr_workgroup_id_y 1
		.amdhsa_system_sgpr_workgroup_id_z 1
		.amdhsa_system_sgpr_workgroup_info 0
		.amdhsa_system_vgpr_workitem_id 0
		.amdhsa_next_free_vgpr 9
		.amdhsa_next_free_sgpr 44
		.amdhsa_reserve_vcc 1
		.amdhsa_float_round_mode_32 0
		.amdhsa_float_round_mode_16_64 0
		.amdhsa_float_denorm_mode_32 3
		.amdhsa_float_denorm_mode_16_64 3
		.amdhsa_fp16_overflow 0
		.amdhsa_workgroup_processor_mode 1
		.amdhsa_memory_ordered 1
		.amdhsa_forward_progress 1
		.amdhsa_inst_pref_size 28
		.amdhsa_round_robin_scheduling 0
		.amdhsa_exception_fp_ieee_invalid_op 0
		.amdhsa_exception_fp_denorm_src 0
		.amdhsa_exception_fp_ieee_div_zero 0
		.amdhsa_exception_fp_ieee_overflow 0
		.amdhsa_exception_fp_ieee_underflow 0
		.amdhsa_exception_fp_ieee_inexact 0
		.amdhsa_exception_int_div_zero 0
	.end_amdhsa_kernel
	.section	.text._ZL33flash_attn_stream_k_fixup_generalILi64ELi1ELi8EEvPfPK15HIP_vector_typeIfLj2EEiiiiS1_IjLj3EES5_S5_S5_,"axG",@progbits,_ZL33flash_attn_stream_k_fixup_generalILi64ELi1ELi8EEvPfPK15HIP_vector_typeIfLj2EEiiiiS1_IjLj3EES5_S5_S5_,comdat
.Lfunc_end16:
	.size	_ZL33flash_attn_stream_k_fixup_generalILi64ELi1ELi8EEvPfPK15HIP_vector_typeIfLj2EEiiiiS1_IjLj3EES5_S5_S5_, .Lfunc_end16-_ZL33flash_attn_stream_k_fixup_generalILi64ELi1ELi8EEvPfPK15HIP_vector_typeIfLj2EEiiiiS1_IjLj3EES5_S5_S5_
                                        ; -- End function
	.set _ZL33flash_attn_stream_k_fixup_generalILi64ELi1ELi8EEvPfPK15HIP_vector_typeIfLj2EEiiiiS1_IjLj3EES5_S5_S5_.num_vgpr, 9
	.set _ZL33flash_attn_stream_k_fixup_generalILi64ELi1ELi8EEvPfPK15HIP_vector_typeIfLj2EEiiiiS1_IjLj3EES5_S5_S5_.num_agpr, 0
	.set _ZL33flash_attn_stream_k_fixup_generalILi64ELi1ELi8EEvPfPK15HIP_vector_typeIfLj2EEiiiiS1_IjLj3EES5_S5_S5_.numbered_sgpr, 44
	.set _ZL33flash_attn_stream_k_fixup_generalILi64ELi1ELi8EEvPfPK15HIP_vector_typeIfLj2EEiiiiS1_IjLj3EES5_S5_S5_.num_named_barrier, 0
	.set _ZL33flash_attn_stream_k_fixup_generalILi64ELi1ELi8EEvPfPK15HIP_vector_typeIfLj2EEiiiiS1_IjLj3EES5_S5_S5_.private_seg_size, 0
	.set _ZL33flash_attn_stream_k_fixup_generalILi64ELi1ELi8EEvPfPK15HIP_vector_typeIfLj2EEiiiiS1_IjLj3EES5_S5_S5_.uses_vcc, 1
	.set _ZL33flash_attn_stream_k_fixup_generalILi64ELi1ELi8EEvPfPK15HIP_vector_typeIfLj2EEiiiiS1_IjLj3EES5_S5_S5_.uses_flat_scratch, 0
	.set _ZL33flash_attn_stream_k_fixup_generalILi64ELi1ELi8EEvPfPK15HIP_vector_typeIfLj2EEiiiiS1_IjLj3EES5_S5_S5_.has_dyn_sized_stack, 0
	.set _ZL33flash_attn_stream_k_fixup_generalILi64ELi1ELi8EEvPfPK15HIP_vector_typeIfLj2EEiiiiS1_IjLj3EES5_S5_S5_.has_recursion, 0
	.set _ZL33flash_attn_stream_k_fixup_generalILi64ELi1ELi8EEvPfPK15HIP_vector_typeIfLj2EEiiiiS1_IjLj3EES5_S5_S5_.has_indirect_call, 0
	.section	.AMDGPU.csdata,"",@progbits
; Kernel info:
; codeLenInByte = 3556
; TotalNumSgprs: 46
; NumVgprs: 9
; ScratchSize: 0
; MemoryBound: 0
; FloatMode: 240
; IeeeMode: 1
; LDSByteSize: 0 bytes/workgroup (compile time only)
; SGPRBlocks: 0
; VGPRBlocks: 1
; NumSGPRsForWavesPerEU: 46
; NumVGPRsForWavesPerEU: 9
; Occupancy: 16
; WaveLimiterHint : 0
; COMPUTE_PGM_RSRC2:SCRATCH_EN: 0
; COMPUTE_PGM_RSRC2:USER_SGPR: 2
; COMPUTE_PGM_RSRC2:TRAP_HANDLER: 0
; COMPUTE_PGM_RSRC2:TGID_X_EN: 1
; COMPUTE_PGM_RSRC2:TGID_Y_EN: 1
; COMPUTE_PGM_RSRC2:TGID_Z_EN: 1
; COMPUTE_PGM_RSRC2:TIDIG_COMP_CNT: 0
	.section	.text._ZL15flash_attn_tileILi64ELi64ELi16ELi4ELb0EEvPKcS1_S1_S1_S1_PKiPfP15HIP_vector_typeIfLj2EEffffjfiS5_IjLj3EEiiiiiiiiiiiliiliiiiil,"axG",@progbits,_ZL15flash_attn_tileILi64ELi64ELi16ELi4ELb0EEvPKcS1_S1_S1_S1_PKiPfP15HIP_vector_typeIfLj2EEffffjfiS5_IjLj3EEiiiiiiiiiiiliiliiiiil,comdat
	.globl	_ZL15flash_attn_tileILi64ELi64ELi16ELi4ELb0EEvPKcS1_S1_S1_S1_PKiPfP15HIP_vector_typeIfLj2EEffffjfiS5_IjLj3EEiiiiiiiiiiiliiliiiiil ; -- Begin function _ZL15flash_attn_tileILi64ELi64ELi16ELi4ELb0EEvPKcS1_S1_S1_S1_PKiPfP15HIP_vector_typeIfLj2EEffffjfiS5_IjLj3EEiiiiiiiiiiiliiliiiiil
	.p2align	8
	.type	_ZL15flash_attn_tileILi64ELi64ELi16ELi4ELb0EEvPKcS1_S1_S1_S1_PKiPfP15HIP_vector_typeIfLj2EEffffjfiS5_IjLj3EEiiiiiiiiiiiliiliiiiil,@function
_ZL15flash_attn_tileILi64ELi64ELi16ELi4ELb0EEvPKcS1_S1_S1_S1_PKiPfP15HIP_vector_typeIfLj2EEffffjfiS5_IjLj3EEiiiiiiiiiiiliiliiiiil: ; @_ZL15flash_attn_tileILi64ELi64ELi16ELi4ELb0EEvPKcS1_S1_S1_S1_PKiPfP15HIP_vector_typeIfLj2EEffffjfiS5_IjLj3EEiiiiiiiiiiiliiliiiiil
; %bb.0:
	s_clause 0x1
	s_load_b128 s[20:23], s[0:1], 0x5c
	s_load_b64 s[30:31], s[0:1], 0x80
	s_lshr_b32 s5, ttmp7, 16
	s_load_b64 s[38:39], s[0:1], 0xb8
	s_mov_b32 s37, 0
	s_mov_b64 s[34:35], 0
	s_wait_kmcnt 0x0
	s_ashr_i32 s2, s23, 31
	s_delay_alu instid0(SALU_CYCLE_1) | instskip(NEXT) | instid1(SALU_CYCLE_1)
	s_lshr_b32 s2, s2, 30
	s_add_co_i32 s2, s23, s2
	s_delay_alu instid0(SALU_CYCLE_1) | instskip(NEXT) | instid1(SALU_CYCLE_1)
	s_ashr_i32 s2, s2, 2
	s_cvt_f32_u32 s3, s2
	s_sub_co_i32 s4, 0, s2
	s_delay_alu instid0(SALU_CYCLE_2) | instskip(NEXT) | instid1(TRANS32_DEP_1)
	v_rcp_iflag_f32_e32 v1, s3
	v_readfirstlane_b32 s3, v1
	s_mul_f32 s3, s3, 0x4f7ffffe
	s_wait_alu 0xfffe
	s_delay_alu instid0(SALU_CYCLE_2) | instskip(SKIP_1) | instid1(SALU_CYCLE_2)
	s_cvt_u32_f32 s3, s3
	s_wait_alu 0xfffe
	s_mul_i32 s4, s4, s3
	s_delay_alu instid0(SALU_CYCLE_1) | instskip(NEXT) | instid1(SALU_CYCLE_1)
	s_mul_hi_u32 s4, s3, s4
	s_add_co_i32 s3, s3, s4
	s_wait_alu 0xfffe
	s_mul_hi_u32 s3, s5, s3
	s_wait_alu 0xfffe
	s_mul_i32 s4, s3, s2
	s_add_co_i32 s6, s3, 1
	s_sub_co_i32 s4, s5, s4
	s_delay_alu instid0(SALU_CYCLE_1)
	s_sub_co_i32 s7, s4, s2
	s_cmp_ge_u32 s4, s2
	s_cselect_b32 s3, s6, s3
	s_cselect_b32 s4, s7, s4
	s_wait_alu 0xfffe
	s_add_co_i32 s6, s3, 1
	s_cmp_ge_u32 s4, s2
	s_cselect_b32 s28, s6, s3
	s_abs_i32 s3, s31
	s_abs_i32 s7, s23
	s_wait_alu 0xfffe
	s_cvt_f32_u32 s2, s3
	s_sub_co_i32 s4, 0, s3
	s_lshl_b32 s5, s5, 2
	s_mul_i32 s6, s28, s23
	s_wait_alu 0xfffe
	v_rcp_iflag_f32_e32 v1, s2
	s_delay_alu instid0(TRANS32_DEP_1) | instskip(SKIP_2) | instid1(SALU_CYCLE_2)
	v_readfirstlane_b32 s2, v1
	s_mul_f32 s2, s2, 0x4f7ffffe
	s_wait_alu 0xfffe
	s_cvt_u32_f32 s2, s2
	s_wait_alu 0xfffe
	s_delay_alu instid0(SALU_CYCLE_2) | instskip(NEXT) | instid1(SALU_CYCLE_1)
	s_mul_i32 s4, s4, s2
	s_mul_hi_u32 s4, s2, s4
	s_delay_alu instid0(SALU_CYCLE_1)
	s_add_co_i32 s4, s2, s4
	s_sub_co_i32 s2, s5, s6
	s_mul_hi_u32 s4, s7, s4
	s_xor_b32 s5, s23, s31
	s_mul_i32 s6, s4, s3
	s_ashr_i32 s24, s5, 31
	s_sub_co_i32 s5, s7, s6
	s_add_co_i32 s6, s4, 1
	s_sub_co_i32 s7, s5, s3
	s_cmp_ge_u32 s5, s3
	s_cselect_b32 s4, s6, s4
	s_cselect_b32 s5, s7, s5
	s_add_co_i32 s6, s4, 1
	s_cmp_ge_u32 s5, s3
	s_cselect_b32 s3, s6, s4
	s_load_b512 s[4:19], s[0:1], 0x0
	s_xor_b32 s3, s3, s24
	s_wait_alu 0xfffe
	s_sub_co_i32 s33, s3, s24
	s_delay_alu instid0(SALU_CYCLE_1) | instskip(SKIP_2) | instid1(SALU_CYCLE_3)
	s_abs_i32 s3, s33
	s_wait_alu 0xfffe
	s_cvt_f32_u32 s24, s3
	v_rcp_iflag_f32_e32 v1, s24
	s_wait_kmcnt 0x0
	s_cmp_eq_u64 s[10:11], 0
	s_delay_alu instid0(TRANS32_DEP_1)
	v_readfirstlane_b32 s36, v1
	s_cbranch_scc1 .LBB17_2
; %bb.1:
	s_abs_i32 s26, s38
	s_delay_alu instid0(SALU_CYCLE_1) | instskip(SKIP_1) | instid1(SALU_CYCLE_2)
	s_cvt_f32_u32 s24, s26
	s_wait_alu 0xfffe
	v_rcp_iflag_f32_e32 v1, s24
	s_delay_alu instid0(TRANS32_DEP_1) | instskip(SKIP_2) | instid1(SALU_CYCLE_2)
	v_readfirstlane_b32 s24, v1
	s_mul_f32 s24, s24, 0x4f7ffffe
	s_wait_alu 0xfffe
	s_cvt_u32_f32 s27, s24
	s_sub_co_i32 s24, 0, s26
	s_wait_alu 0xfffe
	s_delay_alu instid0(SALU_CYCLE_1) | instskip(SKIP_4) | instid1(SALU_CYCLE_1)
	s_mul_i32 s24, s24, s27
	s_wait_alu 0xfffe
	s_mul_hi_u32 s29, s27, s24
	s_load_b64 s[24:25], s[0:1], 0xc8
	s_add_co_i32 s27, s27, s29
	s_mul_hi_u32 s27, s28, s27
	s_delay_alu instid0(SALU_CYCLE_1) | instskip(NEXT) | instid1(SALU_CYCLE_1)
	s_mul_i32 s27, s27, s26
	s_sub_co_i32 s27, s28, s27
	s_delay_alu instid0(SALU_CYCLE_1) | instskip(SKIP_2) | instid1(SALU_CYCLE_1)
	s_sub_co_i32 s29, s27, s26
	s_cmp_ge_u32 s27, s26
	s_cselect_b32 s27, s29, s27
	s_sub_co_i32 s29, s27, s26
	s_cmp_ge_u32 s27, s26
	s_cselect_b32 s26, s29, s27
	s_delay_alu instid0(SALU_CYCLE_1)
	s_ashr_i32 s27, s26, 31
	s_wait_kmcnt 0x0
	s_mul_u64 s[24:25], s[24:25], s[26:27]
	s_wait_alu 0xfffe
	s_add_nc_u64 s[34:35], s[10:11], s[24:25]
.LBB17_2:
	v_bfe_u32 v1, v0, 10, 10
	s_lshl_b32 s31, ttmp9, 4
	s_load_b96 s[24:26], s[0:1], 0x70
	v_and_b32_e32 v106, 0x3ff, v0
	s_delay_alu instid0(VALU_DEP_2) | instskip(SKIP_2) | instid1(VALU_DEP_4)
	v_lshlrev_b32_e32 v104, 2, v1
	v_lshlrev_b32_e32 v3, 4, v1
	;; [unrolled: 1-line block ×4, first 2 shown]
	s_delay_alu instid0(VALU_DEP_4) | instskip(NEXT) | instid1(VALU_DEP_4)
	v_add_nc_u32_e32 v105, s31, v104
	v_or_b32_e32 v2, 4, v3
	v_or_b32_e32 v40, 5, v3
	;; [unrolled: 1-line block ×4, first 2 shown]
	v_mul_hi_u32 v4, v105, s20
	v_lshrrev_b32_e32 v101, 2, v2
	v_lshrrev_b32_e32 v100, 2, v40
	;; [unrolled: 1-line block ×4, first 2 shown]
	v_or_b32_e32 v44, 8, v3
	v_add_nc_u32_e32 v103, s31, v101
	s_wait_kmcnt 0x0
	s_ashr_i32 s41, s24, 31
	v_add_nc_u32_e32 v4, v105, v4
	s_mov_b32 s40, s24
	v_add_nc_u32_e32 v102, s31, v100
	s_lshr_b64 s[10:11], s[40:41], 2
	s_lshr_b32 s11, s41, 2
	v_lshrrev_b32_e32 v4, s21, v4
	s_mul_i32 s26, s28, s26
	v_mul_hi_u32 v8, v102, s20
	s_mul_i32 s42, s2, s25
	s_ashr_i32 s45, s25, 31
	v_mul_lo_u32 v0, v4, s22
	v_mul_hi_u32 v4, v103, s20
	s_mov_b32 s44, s25
	s_ashr_i32 s27, s26, 31
	s_ashr_i32 s43, s42, 31
	v_add_nc_u32_e32 v8, v102, v8
	s_lshr_b64 s[40:41], s[44:45], 2
	s_add_nc_u64 s[4:5], s[4:5], s[26:27]
	v_sub_nc_u32_e32 v0, v105, v0
	v_add_nc_u32_e32 v6, v103, v4
	v_lshrrev_b32_e32 v8, s21, v8
	s_and_b32 s44, s25, -4
	s_lshl_b64 s[24:25], s[40:41], 3
	v_mad_co_u64_u32 v[4:5], null, s10, v0, 0
	v_lshrrev_b32_e32 v6, s21, v6
	s_mul_u64 s[46:47], s[40:41], 12
	s_add_nc_u64 s[40:41], s[4:5], s[42:43]
	v_mul_lo_u32 v15, v8, s22
	s_add_nc_u64 s[26:27], s[40:41], s[44:45]
	v_mul_lo_u32 v7, v6, s22
	s_delay_alu instid0(VALU_DEP_4)
	v_mad_co_u64_u32 v[5:6], null, s11, v0, v[5:6]
	v_add_nc_u32_e32 v99, s31, v95
	s_wait_alu 0xfffe
	s_add_nc_u64 s[24:25], s[40:41], s[24:25]
	s_add_nc_u64 s[4:5], s[40:41], s[46:47]
	v_sub_nc_u32_e32 v19, v102, v15
	v_add_nc_u32_e32 v98, s31, v177
	v_sub_nc_u32_e32 v14, v103, v7
	v_lshlrev_b64_e32 v[4:5], 2, v[4:5]
	v_mul_hi_u32 v16, v99, s20
	v_lshrrev_b32_e32 v176, 2, v44
	v_or_b32_e32 v45, 9, v3
	v_mad_co_u64_u32 v[6:7], null, s10, v14, 0
	v_add_co_u32 v8, vcc_lo, s40, v4
	s_delay_alu instid0(VALU_DEP_1)
	v_add_co_ci_u32_e64 v9, null, s41, v5, vcc_lo
	v_add_co_u32 v10, vcc_lo, s26, v4
	s_wait_alu 0xfffd
	v_add_co_ci_u32_e64 v11, null, s27, v5, vcc_lo
	s_wait_alu 0xfffe
	v_add_co_u32 v12, vcc_lo, s24, v4
	s_wait_alu 0xfffd
	v_add_co_ci_u32_e64 v13, null, s25, v5, vcc_lo
	v_add_co_u32 v8, vcc_lo, v8, v42
	s_wait_alu 0xfffd
	v_add_co_ci_u32_e64 v9, null, 0, v9, vcc_lo
	;; [unrolled: 3-line block ×5, first 2 shown]
	v_mad_co_u64_u32 v[4:5], null, s11, v14, v[7:8]
	v_add_nc_u32_e32 v5, v99, v16
	v_add_co_u32 v14, vcc_lo, v17, v42
	s_wait_alu 0xfffd
	v_add_co_ci_u32_e64 v15, null, 0, v18, vcc_lo
	s_delay_alu instid0(VALU_DEP_3) | instskip(SKIP_3) | instid1(VALU_DEP_4)
	v_lshrrev_b32_e32 v5, s21, v5
	v_mov_b32_e32 v7, v4
	v_mad_co_u64_u32 v[16:17], null, s10, v19, 0
	v_add_nc_u32_e32 v96, s31, v176
	v_mul_lo_u32 v18, v5, s22
	s_clause 0x3
	global_load_b64 v[4:5], v[8:9], off
	global_load_b64 v[8:9], v[10:11], off
	;; [unrolled: 1-line block ×4, first 2 shown]
	v_lshlrev_b64_e32 v[6:7], 2, v[6:7]
	v_lshrrev_b32_e32 v175, 2, v45
	v_mul_hi_u32 v21, v96, s20
	v_mov_b32_e32 v14, v17
	v_mul_hi_u32 v17, v98, s20
	s_cmp_eq_u64 s[14:15], 0
	v_sub_nc_u32_e32 v18, v99, v18
	v_add_nc_u32_e32 v93, s31, v175
	v_mad_co_u64_u32 v[14:15], null, s11, v19, v[14:15]
	v_add_co_u32 v15, vcc_lo, s40, v6
	v_add_nc_u32_e32 v20, v98, v17
	s_wait_alu 0xfffd
	v_add_co_ci_u32_e64 v19, null, s41, v7, vcc_lo
	v_mad_co_u64_u32 v[6:7], null, s10, v18, 0
	s_delay_alu instid0(VALU_DEP_3)
	v_lshrrev_b32_e32 v20, s21, v20
	v_mov_b32_e32 v17, v14
	v_add_co_u32 v14, vcc_lo, v15, v42
	s_wait_alu 0xfffd
	v_add_co_ci_u32_e64 v15, null, 0, v19, vcc_lo
	v_mul_lo_u32 v20, v20, s22
	v_lshlrev_b64_e32 v[16:17], 2, v[16:17]
	v_mul_hi_u32 v23, v93, s20
	s_delay_alu instid0(VALU_DEP_3) | instskip(NEXT) | instid1(VALU_DEP_2)
	v_sub_nc_u32_e32 v20, v98, v20
	v_add_nc_u32_e32 v23, v93, v23
	s_wait_loadcnt 0x2
	v_mad_co_u64_u32 v[18:19], null, s11, v18, v[7:8]
	v_add_nc_u32_e32 v7, v96, v21
	v_add_co_u32 v19, vcc_lo, s26, v16
	s_wait_alu 0xfffd
	v_add_co_ci_u32_e64 v21, null, s27, v17, vcc_lo
	s_delay_alu instid0(VALU_DEP_3) | instskip(SKIP_3) | instid1(VALU_DEP_4)
	v_lshrrev_b32_e32 v22, s21, v7
	v_mad_co_u64_u32 v[16:17], null, s10, v20, 0
	v_mov_b32_e32 v7, v18
	v_add_co_u32 v18, vcc_lo, v19, v42
	v_mul_lo_u32 v22, v22, s22
	s_wait_alu 0xfffd
	v_add_co_ci_u32_e64 v19, null, 0, v21, vcc_lo
	s_delay_alu instid0(VALU_DEP_3) | instskip(SKIP_3) | instid1(VALU_DEP_3)
	v_mad_co_u64_u32 v[20:21], null, s11, v20, v[17:18]
	v_lshlrev_b64_e32 v[6:7], 2, v[6:7]
	v_lshrrev_b32_e32 v17, s21, v23
	v_sub_nc_u32_e32 v25, v96, v22
	v_add_co_u32 v23, vcc_lo, s24, v6
	s_delay_alu instid0(VALU_DEP_2) | instskip(NEXT) | instid1(VALU_DEP_4)
	v_mad_co_u64_u32 v[21:22], null, s10, v25, 0
	v_mul_lo_u32 v26, v17, s22
	v_mov_b32_e32 v17, v20
	s_wait_alu 0xfffd
	v_add_co_ci_u32_e64 v7, null, s25, v7, vcc_lo
	v_add_co_u32 v23, vcc_lo, v23, v42
	v_mov_b32_e32 v6, v22
	v_or_b32_e32 v46, 10, v3
	v_sub_nc_u32_e32 v27, v93, v26
	s_wait_alu 0xfffd
	v_add_co_ci_u32_e64 v24, null, 0, v7, vcc_lo
	v_mad_co_u64_u32 v[6:7], null, s11, v25, v[6:7]
	v_lshrrev_b32_e32 v174, 2, v46
	v_mad_co_u64_u32 v[25:26], null, s10, v27, 0
	v_or_b32_e32 v47, 11, v3
	v_lshlrev_b64_e32 v[16:17], 2, v[16:17]
	s_delay_alu instid0(VALU_DEP_4) | instskip(SKIP_1) | instid1(VALU_DEP_4)
	v_dual_mov_b32 v22, v6 :: v_dual_add_nc_u32 v97, s31, v174
	v_or_b32_e32 v48, 12, v3
	v_lshrrev_b32_e32 v173, 2, v47
	v_mov_b32_e32 v6, v26
	s_delay_alu instid0(VALU_DEP_4) | instskip(SKIP_1) | instid1(VALU_DEP_4)
	v_mul_hi_u32 v20, v97, s20
	v_add_co_u32 v16, vcc_lo, s4, v16
	v_add_nc_u32_e32 v94, s31, v173
	s_wait_alu 0xfffd
	v_add_co_ci_u32_e64 v17, null, s5, v17, vcc_lo
	s_delay_alu instid0(VALU_DEP_3)
	v_add_co_u32 v16, vcc_lo, v16, v42
	v_add_nc_u32_e32 v7, v97, v20
	v_lshlrev_b64_e32 v[20:21], 2, v[21:22]
	v_mul_hi_u32 v28, v94, s20
	s_wait_alu 0xfffd
	v_add_co_ci_u32_e64 v17, null, 0, v17, vcc_lo
	v_lshrrev_b32_e32 v7, s21, v7
	v_lshrrev_b32_e32 v172, 2, v48
	v_or_b32_e32 v49, 13, v3
	v_or_b32_e32 v50, 14, v3
	;; [unrolled: 1-line block ×3, first 2 shown]
	v_mul_lo_u32 v26, v7, s22
	v_mad_co_u64_u32 v[6:7], null, s11, v27, v[6:7]
	v_add_co_u32 v7, vcc_lo, s40, v20
	s_wait_alu 0xfffd
	v_add_co_ci_u32_e64 v27, null, s41, v21, vcc_lo
	v_add_nc_u32_e32 v92, s31, v172
	v_sub_nc_u32_e32 v22, v97, v26
	v_mov_b32_e32 v26, v6
	v_add_co_u32 v6, vcc_lo, v7, v42
	s_wait_alu 0xfffd
	v_add_co_ci_u32_e64 v7, null, 0, v27, vcc_lo
	v_mad_co_u64_u32 v[20:21], null, s10, v22, 0
	v_add_nc_u32_e32 v27, v94, v28
	v_lshlrev_b64_e32 v[25:26], 2, v[25:26]
	v_mul_hi_u32 v29, v92, s20
	v_lshrrev_b32_e32 v171, 2, v49
	v_lshrrev_b32_e32 v170, 2, v50
	;; [unrolled: 1-line block ×3, first 2 shown]
	v_mad_co_u64_u32 v[21:22], null, s11, v22, v[21:22]
	v_lshrrev_b32_e32 v22, s21, v27
	v_add_co_u32 v25, vcc_lo, s26, v25
	v_add_nc_u32_e32 v255, s31, v171
	s_wait_alu 0xfffd
	v_add_co_ci_u32_e64 v26, null, s27, v26, vcc_lo
	v_mul_lo_u32 v22, v22, s22
	v_lshlrev_b64_e32 v[20:21], 2, v[20:21]
	v_add_nc_u32_e32 v29, v92, v29
	v_add_co_u32 v25, vcc_lo, v25, v42
	v_mul_hi_u32 v30, v255, s20
	s_wait_alu 0xfffd
	v_add_co_ci_u32_e64 v26, null, 0, v26, vcc_lo
	v_sub_nc_u32_e32 v22, v94, v22
	v_add_co_u32 v31, vcc_lo, s24, v20
	v_add_nc_u32_e32 v253, s31, v170
	s_wait_alu 0xfffd
	v_add_co_ci_u32_e64 v32, null, s25, v21, vcc_lo
	v_mad_co_u64_u32 v[27:28], null, s10, v22, 0
	s_delay_alu instid0(VALU_DEP_3)
	v_mul_hi_u32 v33, v253, s20
	v_add_nc_u32_e32 v254, s31, v169
	s_clause 0x3
	global_load_b64 v[14:15], v[14:15], off
	global_load_b64 v[18:19], v[18:19], off
	;; [unrolled: 1-line block ×4, first 2 shown]
	v_mov_b32_e32 v20, v28
	v_lshrrev_b32_e32 v28, s21, v29
	v_add_nc_u32_e32 v29, v255, v30
	s_delay_alu instid0(VALU_DEP_3) | instskip(NEXT) | instid1(VALU_DEP_3)
	v_mad_co_u64_u32 v[20:21], null, s11, v22, v[20:21]
	v_mul_lo_u32 v3, v28, s22
	s_delay_alu instid0(VALU_DEP_3)
	v_lshrrev_b32_e32 v29, s21, v29
	v_add_co_u32 v21, vcc_lo, v31, v42
	s_wait_alu 0xfffd
	v_add_co_ci_u32_e64 v22, null, 0, v32, vcc_lo
	v_mul_hi_u32 v32, v254, s20
	v_add_nc_u32_e32 v31, v253, v33
	v_sub_nc_u32_e32 v34, v92, v3
	v_mul_lo_u32 v3, v29, s22
	v_mov_b32_e32 v28, v20
	s_clause 0x2
	global_load_b64 v[6:7], v[6:7], off
	global_load_b64 v[25:26], v[25:26], off
	;; [unrolled: 1-line block ×3, first 2 shown]
	v_mad_co_u64_u32 v[29:30], null, s10, v34, 0
	v_add_nc_u32_e32 v35, v254, v32
	v_lshlrev_b64_e32 v[27:28], 2, v[27:28]
	v_sub_nc_u32_e32 v22, v255, v3
	s_delay_alu instid0(VALU_DEP_3) | instskip(SKIP_2) | instid1(VALU_DEP_4)
	v_lshrrev_b32_e32 v35, s21, v35
	v_mov_b32_e32 v3, v30
	v_lshrrev_b32_e32 v30, s21, v31
	v_mad_co_u64_u32 v[31:32], null, s10, v22, 0
	v_add_co_u32 v36, vcc_lo, s4, v27
	s_delay_alu instid0(VALU_DEP_4) | instskip(NEXT) | instid1(VALU_DEP_4)
	v_mad_co_u64_u32 v[33:34], null, s11, v34, v[3:4]
	v_mul_lo_u32 v34, v30, s22
	s_wait_alu 0xfffd
	v_add_co_ci_u32_e64 v37, null, s5, v28, vcc_lo
	v_mov_b32_e32 v3, v32
	v_mul_lo_u32 v32, v35, s22
	v_add_co_u32 v35, vcc_lo, v36, v42
	v_mov_b32_e32 v30, v33
	v_sub_nc_u32_e32 v39, v253, v34
	v_mad_co_u64_u32 v[27:28], null, s11, v22, v[3:4]
	s_wait_alu 0xfffd
	v_add_co_ci_u32_e64 v36, null, 0, v37, vcc_lo
	s_delay_alu instid0(VALU_DEP_3) | instskip(SKIP_3) | instid1(VALU_DEP_3)
	v_mad_co_u64_u32 v[33:34], null, s10, v39, 0
	v_sub_nc_u32_e32 v22, v254, v32
	v_lshlrev_b64_e32 v[28:29], 2, v[29:30]
	v_mov_b32_e32 v32, v27
	v_mad_co_u64_u32 v[37:38], null, s10, v22, 0
	v_mov_b32_e32 v3, v34
	s_delay_alu instid0(VALU_DEP_4) | instskip(NEXT) | instid1(VALU_DEP_4)
	v_add_co_u32 v34, vcc_lo, s40, v28
	v_lshlrev_b64_e32 v[27:28], 2, v[31:32]
	s_wait_alu 0xfffd
	v_add_co_ci_u32_e64 v52, null, s41, v29, vcc_lo
	v_mad_co_u64_u32 v[29:30], null, s11, v39, v[3:4]
	v_mov_b32_e32 v3, v38
	v_add_co_u32 v30, vcc_lo, v34, v42
	s_wait_alu 0xfffd
	v_add_co_ci_u32_e64 v31, null, 0, v52, vcc_lo
	s_delay_alu instid0(VALU_DEP_3) | instskip(SKIP_4) | instid1(VALU_DEP_3)
	v_mad_co_u64_u32 v[38:39], null, s11, v22, v[3:4]
	v_add_co_u32 v3, vcc_lo, s26, v27
	s_wait_alu 0xfffd
	v_add_co_ci_u32_e64 v22, null, s27, v28, vcc_lo
	v_mov_b32_e32 v34, v29
	v_add_co_u32 v27, vcc_lo, v3, v42
	s_wait_alu 0xfffd
	s_delay_alu instid0(VALU_DEP_3) | instskip(NEXT) | instid1(VALU_DEP_3)
	v_add_co_ci_u32_e64 v28, null, 0, v22, vcc_lo
	v_lshlrev_b64_e32 v[32:33], 2, v[33:34]
	s_clause 0x2
	global_load_b64 v[34:35], v[35:36], off
	global_load_b64 v[29:30], v[30:31], off
	;; [unrolled: 1-line block ×3, first 2 shown]
	v_lshlrev_b64_e32 v[36:37], 2, v[37:38]
	v_add_co_u32 v3, vcc_lo, s24, v32
	s_wait_alu 0xfffd
	v_add_co_ci_u32_e64 v22, null, s25, v33, vcc_lo
	s_delay_alu instid0(VALU_DEP_3)
	v_add_co_u32 v33, vcc_lo, s4, v36
	s_wait_alu 0xfffd
	v_add_co_ci_u32_e64 v37, null, s5, v37, vcc_lo
	v_add_co_u32 v31, vcc_lo, v3, v42
	s_wait_alu 0xfffd
	v_add_co_ci_u32_e64 v32, null, 0, v22, vcc_lo
	;; [unrolled: 3-line block ×3, first 2 shown]
	s_clause 0x1
	global_load_b64 v[31:32], v[31:32], off
	global_load_b64 v[36:37], v[36:37], off
	s_load_b32 s4, s[0:1], 0x40
	v_lshl_add_u32 v3, v106, 2, 0x4400
	s_delay_alu instid0(VALU_DEP_1)
	v_add_nc_u32_e32 v22, v3, v1
	v_lshl_add_u32 v2, v2, 7, v3
	v_lshl_add_u32 v33, v40, 7, v3
	;; [unrolled: 1-line block ×7, first 2 shown]
	s_wait_kmcnt 0x0
	v_fma_mixlo_f16 v4, s4, v4, 0
	v_fma_mixlo_f16 v5, s4, v5, 0
	;; [unrolled: 1-line block ×4, first 2 shown]
	s_wait_loadcnt 0xd
	v_fma_mixlo_f16 v10, s4, v10, 0
	v_fma_mixlo_f16 v11, s4, v11, 0
	s_wait_loadcnt 0xc
	v_fma_mixlo_f16 v12, s4, v12, 0
	v_fma_mixlo_f16 v13, s4, v13, 0
	v_lshlrev_b32_e32 v5, 16, v5
	v_and_b32_e32 v4, 0xffff, v4
	v_lshlrev_b32_e32 v9, 16, v9
	v_and_b32_e32 v8, 0xffff, v8
	;; [unrolled: 2-line block ×4, first 2 shown]
	v_or_b32_e32 v4, v5, v4
	v_or_b32_e32 v5, v9, v8
	;; [unrolled: 1-line block ×3, first 2 shown]
	s_delay_alu instid0(VALU_DEP_4)
	v_or_b32_e32 v9, v13, v12
	ds_store_2addr_b32 v22, v4, v5 offset1:32
	ds_store_2addr_b32 v22, v8, v9 offset0:64 offset1:96
	s_wait_loadcnt 0xb
	v_fma_mixlo_f16 v10, s4, v14, 0
	v_fma_mixlo_f16 v11, s4, v15, 0
	s_wait_loadcnt 0xa
	v_fma_mixlo_f16 v12, s4, v18, 0
	v_fma_mixlo_f16 v13, s4, v19, 0
	;; [unrolled: 3-line block ×3, first 2 shown]
	v_lshlrev_b32_e32 v4, 16, v11
	v_and_b32_e32 v5, 0xffff, v10
	v_lshlrev_b32_e32 v8, 16, v13
	v_and_b32_e32 v9, 0xffff, v12
	;; [unrolled: 2-line block ×3, first 2 shown]
	s_wait_loadcnt 0x8
	v_fma_mixlo_f16 v16, s4, v16, 0
	v_fma_mixlo_f16 v17, s4, v17, 0
	v_or_b32_e32 v4, v4, v5
	v_or_b32_e32 v5, v8, v9
	;; [unrolled: 1-line block ×3, first 2 shown]
	v_and_b32_e32 v13, 0xffff, v16
	v_lshlrev_b32_e32 v12, 16, v17
	s_wait_loadcnt 0x7
	v_fma_mixlo_f16 v6, s4, v6, 0
	v_fma_mixlo_f16 v7, s4, v7, 0
	s_wait_loadcnt 0x6
	v_fma_mixlo_f16 v18, s4, v25, 0
	v_fma_mixlo_f16 v19, s4, v26, 0
	s_wait_loadcnt 0x5
	v_fma_mixlo_f16 v20, s4, v20, 0
	v_fma_mixlo_f16 v21, s4, v21, 0
	v_lshlrev_b32_e32 v7, 16, v7
	v_and_b32_e32 v6, 0xffff, v6
	v_lshlrev_b32_e32 v14, 16, v19
	v_and_b32_e32 v15, 0xffff, v18
	v_lshlrev_b32_e32 v16, 16, v21
	v_or_b32_e32 v9, v12, v13
	v_or_b32_e32 v6, v7, v6
	v_and_b32_e32 v12, 0xffff, v20
	v_or_b32_e32 v7, v14, v15
	v_lshl_add_u32 v15, v47, 7, v3
	s_delay_alu instid0(VALU_DEP_3)
	v_or_b32_e32 v12, v16, v12
	v_lshl_add_u32 v16, v48, 7, v3
	s_wait_loadcnt 0x4
	v_fma_mixlo_f16 v10, s4, v35, 0
	v_fma_mixlo_f16 v11, s4, v34, 0
	s_wait_loadcnt 0x3
	v_fma_mixlo_f16 v13, s4, v30, 0
	v_fma_mixlo_f16 v14, s4, v29, 0
	s_wait_loadcnt 0x2
	v_fma_mixlo_f16 v17, s4, v27, 0
	v_lshlrev_b32_e32 v10, 16, v10
	v_and_b32_e32 v11, 0xffff, v11
	v_lshlrev_b32_e32 v13, 16, v13
	v_and_b32_e32 v14, 0xffff, v14
	v_and_b32_e32 v17, 0xffff, v17
	s_delay_alu instid0(VALU_DEP_4) | instskip(SKIP_1) | instid1(VALU_DEP_4)
	v_or_b32_e32 v10, v10, v11
	v_fma_mixlo_f16 v11, s4, v28, 0
	v_or_b32_e32 v13, v13, v14
	v_lshl_add_u32 v14, v49, 7, v3
	s_delay_alu instid0(VALU_DEP_3) | instskip(NEXT) | instid1(VALU_DEP_1)
	v_lshlrev_b32_e32 v11, 16, v11
	v_or_b32_e32 v11, v11, v17
	v_lshl_add_u32 v17, v50, 7, v3
	s_wait_loadcnt 0x1
	v_fma_mixlo_f16 v18, s4, v32, 0
	v_fma_mixlo_f16 v19, s4, v31, 0
	s_wait_loadcnt 0x0
	v_fma_mixlo_f16 v20, s4, v37, 0
	v_fma_mixlo_f16 v21, s4, v36, 0
	v_lshl_add_u32 v3, v51, 7, v3
	v_lshlrev_b32_e32 v18, 16, v18
	v_and_b32_e32 v19, 0xffff, v19
	v_lshlrev_b32_e32 v20, 16, v20
	v_and_b32_e32 v21, 0xffff, v21
	s_delay_alu instid0(VALU_DEP_3) | instskip(NEXT) | instid1(VALU_DEP_2)
	v_or_b32_e32 v18, v18, v19
	v_or_b32_e32 v19, v20, v21
	ds_store_b32 v2, v4
	ds_store_b32 v33, v5
	;; [unrolled: 1-line block ×12, first 2 shown]
	s_wait_dscnt 0x0
	s_barrier_signal -1
	s_barrier_wait -1
	global_inv scope:SCOPE_SE
	s_cbranch_scc1 .LBB17_4
; %bb.3:
	s_load_b32 s4, s[0:1], 0xd0
	s_mov_b32 s5, 0
	s_wait_kmcnt 0x0
	s_mul_i32 s4, s4, s28
	s_wait_alu 0xfffe
	s_add_co_i32 s4, s4, ttmp9
	s_wait_alu 0xfffe
	s_lshl_b64 s[4:5], s[4:5], 2
	s_wait_alu 0xfffe
	s_add_nc_u64 s[4:5], s[14:15], s[4:5]
	s_load_b32 s30, s[4:5], 0x0
.LBB17_4:
	s_and_b32 s4, ttmp7, 0xffff
	v_mbcnt_lo_u32_b32 v107, -1, 0
	s_wait_alu 0xfffe
	s_lshl_b32 s10, s4, 6
	s_wait_kmcnt 0x0
	s_wait_alu 0xfffe
	s_cmp_lt_i32 s10, s30
	s_cbranch_scc1 .LBB17_7
; %bb.5:
	v_mbcnt_lo_u32_b32 v16, -1, 0
	v_mov_b32_e32 v109, 32
	s_delay_alu instid0(VALU_DEP_2)
	v_xor_b32_e32 v113, 16, v16
	v_xor_b32_e32 v114, 8, v16
	;; [unrolled: 1-line block ×5, first 2 shown]
	s_mov_b32 s29, 0
	s_cbranch_execz .LBB17_8
; %bb.6:
	v_dual_mov_b32 v0, 0xfeffffff :: v_dual_mov_b32 v155, 0
	v_dual_mov_b32 v38, 0 :: v_dual_mov_b32 v37, 0
	;; [unrolled: 1-line block ×3, first 2 shown]
	s_delay_alu instid0(VALU_DEP_3)
	v_dual_mov_b32 v1, v0 :: v_dual_mov_b32 v2, v0
	v_dual_mov_b32 v3, v0 :: v_dual_mov_b32 v4, v0
	;; [unrolled: 1-line block ×20, first 2 shown]
	v_dual_mov_b32 v142, 0 :: v_dual_lshlrev_b32 v61, 1, v106
	v_mov_b32_e32 v140, 0
	s_branch .LBB17_11
.LBB17_7:
                                        ; implicit-def: $vgpr16
                                        ; implicit-def: $vgpr109
                                        ; implicit-def: $vgpr113
                                        ; implicit-def: $vgpr114
                                        ; implicit-def: $vgpr111
                                        ; implicit-def: $vgpr112
                                        ; implicit-def: $vgpr110
	s_mov_b32 s29, 0
.LBB17_8:
	s_clause 0x8
	scratch_store_b32 off, v177, off offset:32
	scratch_store_b32 off, v176, off offset:28
	;; [unrolled: 1-line block ×8, first 2 shown]
	scratch_store_b32 off, v169, off
	s_mul_f32 s5, s36, 0x4f7ffffe
	s_clause 0x1
	s_load_b128 s[24:27], s[0:1], 0x98
	s_load_b64 s[40:41], s[0:1], 0x8c
	s_sub_co_i32 s11, 0, s3
	s_abs_i32 s36, s2
	s_cvt_u32_f32 s5, s5
	s_mov_b32 s15, s37
	s_load_b64 s[42:43], s[0:1], 0xa8
	s_ashr_i32 s38, s2, 31
	s_mul_i32 s11, s11, s5
	s_ashr_i32 s33, s33, 31
	s_wait_alu 0xfffe
	s_mul_hi_u32 s11, s5, s11
	v_dual_mov_b32 v141, 0 :: v_dual_add_nc_u32 v12, 1, v105
	s_wait_alu 0xfffe
	s_add_co_i32 s14, s5, s11
	s_xor_b32 s11, s38, s33
	s_mul_u64 s[14:15], s[36:37], s[14:15]
	v_dual_mov_b32 v143, 0 :: v_dual_add_nc_u32 v14, 2, v105
	s_mul_i32 s33, s15, s3
	v_lshrrev_b32_e32 v2, 3, v106
	s_sub_co_i32 s33, s36, s33
	s_ashr_i32 s5, s39, 1
	s_add_co_i32 s37, s15, 1
	s_wait_kmcnt 0x0
	s_ashr_i32 s14, s26, 2
	s_ashr_i32 s26, s40, 2
	s_sub_co_i32 s36, s33, s3
	s_cmp_ge_u32 s33, s3
	v_mul_hi_u32 v6, s20, v12
	v_mul_hi_u32 v7, s20, v14
	v_add_nc_u32_e32 v11, v2, v104
	s_cselect_b32 s15, s37, s15
	s_cselect_b32 s33, s36, s33
	s_add_co_i32 s36, s15, 1
	s_cmp_ge_u32 s33, s3
	v_dual_mov_b32 v144, 0 :: v_dual_add_nc_u32 v15, 3, v105
	s_cselect_b32 s3, s36, s15
	s_wait_alu 0xfffe
	v_mul_lo_u32 v122, v0, s5
	v_mov_b32_e32 v0, 0xfeffffff
	v_mul_lo_u32 v2, s26, v11
	s_xor_b32 s3, s3, s11
	v_dual_mov_b32 v148, 0 :: v_dual_add_nc_u32 v9, v12, v6
	v_dual_mov_b32 v150, 0 :: v_dual_add_nc_u32 v7, v14, v7
	s_mul_u64 s[24:25], s[24:25], s[28:29]
	s_mul_u64 s[36:37], s[42:43], s[28:29]
	s_wait_alu 0xfffe
	s_sub_co_i32 s3, s3, s11
	v_mul_hi_u32 v8, s20, v15
	s_add_nc_u64 s[6:7], s[6:7], s[24:25]
	s_wait_alu 0xfffe
	s_mul_i32 s24, s3, s41
	s_add_nc_u64 s[8:9], s[8:9], s[36:37]
	s_mul_i32 s36, s3, s27
	s_lshl_b32 s3, s26, 4
	v_lshrrev_b32_e32 v9, s21, v9
	v_lshrrev_b32_e32 v10, s21, v7
	s_wait_alu 0xfffe
	v_dual_mov_b32 v145, 0 :: v_dual_add_nc_u32 v4, s3, v2
	v_dual_mov_b32 v147, 0 :: v_dual_add_nc_u32 v8, v15, v8
	v_mul_lo_u32 v17, v9, s22
	v_mul_lo_u32 v19, v10, s22
	;; [unrolled: 1-line block ×3, first 2 shown]
	v_dual_mov_b32 v149, 0 :: v_dual_add_nc_u32 v6, s3, v4
	v_lshrrev_b32_e32 v16, s21, v8
	v_dual_mov_b32 v140, 0 :: v_dual_lshlrev_b32 v115, 2, v106
	s_delay_alu instid0(VALU_DEP_3)
	v_dual_mov_b32 v153, 0 :: v_dual_add_nc_u32 v8, s3, v6
	s_lshl_b32 s3, s14, 4
	v_ashrrev_i32_e32 v3, 31, v2
	v_dual_mov_b32 v155, 0 :: v_dual_add_nc_u32 v120, 0x4400, v1
	v_sub_nc_u32_e32 v17, v12, v17
	v_sub_nc_u32_e32 v14, v14, v19
	s_wait_alu 0xfffe
	v_add_nc_u32_e32 v12, s3, v10
	v_dual_mov_b32 v154, 0 :: v_dual_add_nc_u32 v127, 0x2400, v1
	v_lshlrev_b32_e32 v1, 4, v106
	v_mul_lo_u32 v16, v16, s22
	v_dual_mov_b32 v109, 32 :: v_dual_and_b32 v18, 28, v115
	v_mul_lo_u32 v124, v14, s5
	v_lshlrev_b64_e32 v[64:65], 2, v[2:3]
	v_mov_b32_e32 v2, 0xfeffffff
	v_dual_mov_b32 v1, 0xfeffffff :: v_dual_add_nc_u32 v132, v127, v1
	v_dual_mov_b32 v3, 0xfeffffff :: v_dual_add_nc_u32 v14, s3, v12
	v_dual_mov_b32 v142, 0 :: v_dual_lshlrev_b32 v13, 2, v18
	v_ashrrev_i32_e32 v5, 31, v4
	v_sub_nc_u32_e32 v15, v15, v16
	s_delay_alu instid0(VALU_DEP_4) | instskip(NEXT) | instid1(VALU_DEP_4)
	v_add_nc_u32_e32 v16, s3, v14
	v_mad_u32_u24 v116, 0x90, v11, v13
	v_ashrrev_i32_e32 v7, 31, v6
	v_ashrrev_i32_e32 v9, 31, v8
	v_mul_lo_u32 v123, v17, s5
	v_mul_lo_u32 v125, v15, s5
	v_lshl_or_b32 v126, v11, 7, v13
	v_ashrrev_i32_e32 v11, 31, v10
	v_ashrrev_i32_e32 v13, 31, v12
	v_ashrrev_i32_e32 v15, 31, v14
	v_lshlrev_b64_e32 v[66:67], 2, v[4:5]
	v_mov_b32_e32 v5, 0xfeffffff
	v_ashrrev_i32_e32 v17, 31, v16
	v_lshlrev_b64_e32 v[68:69], 2, v[6:7]
	v_lshlrev_b64_e32 v[70:71], 2, v[8:9]
	;; [unrolled: 1-line block ×6, first 2 shown]
	v_dual_mov_b32 v146, 0 :: v_dual_add_nc_u32 v117, 0x900, v116
	v_dual_mov_b32 v151, 0 :: v_dual_add_nc_u32 v118, 0x1200, v116
	;; [unrolled: 1-line block ×3, first 2 shown]
	v_mul_u32_u24_e32 v121, 0x90, v106
	v_dual_mov_b32 v25, 0 :: v_dual_add_nc_u32 v128, 0x800, v126
	v_dual_mov_b32 v24, 0 :: v_dual_add_nc_u32 v129, 0x1000, v126
	;; [unrolled: 1-line block ×3, first 2 shown]
	v_dual_mov_b32 v4, 0xfeffffff :: v_dual_lshlrev_b32 v131, 2, v18
	v_xor_b32_e32 v113, 16, v107
	v_xor_b32_e32 v114, 8, v107
	;; [unrolled: 1-line block ×5, first 2 shown]
	v_dual_mov_b32 v26, 0 :: v_dual_add_nc_u32 v133, 0x400, v115
	v_dual_mov_b32 v29, 0 :: v_dual_add_nc_u32 v134, 0x800, v115
	;; [unrolled: 1-line block ×7, first 2 shown]
	v_dual_mov_b32 v6, 0xfeffffff :: v_dual_mov_b32 v9, 0xfeffffff
	v_dual_mov_b32 v7, 0xfeffffff :: v_dual_mov_b32 v8, 0xfeffffff
	;; [unrolled: 1-line block ×7, first 2 shown]
	v_mov_b32_e32 v38, 0
	v_mov_b32_e32 v108, 0
	s_ashr_i32 s25, s24, 31
	s_ashr_i32 s37, s36, 31
	s_wait_alu 0xfffe
	s_add_nc_u64 s[6:7], s[6:7], s[24:25]
	s_add_nc_u64 s[8:9], s[8:9], s[36:37]
	s_ashr_i32 s27, s26, 31
	s_ashr_i32 s15, s14, 31
	s_add_nc_u64 s[20:21], s[0:1], 0xd0
.LBB17_9:                               ; =>This Inner Loop Header: Depth=1
	s_ashr_i32 s11, s10, 31
	v_dual_mov_b32 v186, v0 :: v_dual_mov_b32 v199, 0
	s_wait_alu 0xfffe
	s_mul_u64 s[24:25], s[10:11], s[26:27]
	v_dual_mov_b32 v170, v8 :: v_dual_mov_b32 v185, v1
	s_wait_alu 0xfffe
	s_lshl_b64 s[24:25], s[24:25], 2
	v_dual_mov_b32 v182, v25 :: v_dual_mov_b32 v181, v3
	s_wait_alu 0xfffe
	s_add_nc_u64 s[24:25], s[6:7], s[24:25]
	v_dual_mov_b32 v184, v24 :: v_dual_mov_b32 v183, v2
	s_wait_alu 0xfffe
	v_add_co_u32 v0, vcc_lo, s24, v64
	s_wait_alu 0xfffd
	v_add_co_ci_u32_e64 v1, null, s25, v65, vcc_lo
	v_dual_mov_b32 v156, v38 :: v_dual_mov_b32 v171, v31
	s_delay_alu instid0(VALU_DEP_3) | instskip(SKIP_1) | instid1(VALU_DEP_3)
	v_add_co_u32 v0, vcc_lo, v0, v131
	s_wait_alu 0xfffd
	v_add_co_ci_u32_e64 v1, null, 0, v1, vcc_lo
	v_dual_mov_b32 v158, v37 :: v_dual_mov_b32 v157, v15
	v_dual_mov_b32 v160, v36 :: v_dual_mov_b32 v159, v14
	global_load_b128 v[0:3], v[0:1], off
	v_dual_mov_b32 v162, v35 :: v_dual_mov_b32 v161, v13
	v_dual_mov_b32 v164, v34 :: v_dual_mov_b32 v163, v12
	;; [unrolled: 1-line block ×16, first 2 shown]
	v_mov_b32_e32 v188, 0
	s_wait_loadcnt 0x0
	ds_store_b128 v116, v[0:3]
	v_add_co_u32 v0, vcc_lo, s24, v66
	s_wait_alu 0xfffd
	v_add_co_ci_u32_e64 v1, null, s25, v67, vcc_lo
	s_delay_alu instid0(VALU_DEP_2) | instskip(SKIP_1) | instid1(VALU_DEP_2)
	v_add_co_u32 v0, vcc_lo, v0, v131
	s_wait_alu 0xfffd
	v_add_co_ci_u32_e64 v1, null, 0, v1, vcc_lo
	global_load_b128 v[0:3], v[0:1], off
	s_wait_loadcnt 0x0
	ds_store_b128 v117, v[0:3]
	v_add_co_u32 v0, vcc_lo, s24, v68
	s_wait_alu 0xfffd
	v_add_co_ci_u32_e64 v1, null, s25, v69, vcc_lo
	s_delay_alu instid0(VALU_DEP_2) | instskip(SKIP_1) | instid1(VALU_DEP_2)
	v_add_co_u32 v0, vcc_lo, v0, v131
	s_wait_alu 0xfffd
	v_add_co_ci_u32_e64 v1, null, 0, v1, vcc_lo
	global_load_b128 v[0:3], v[0:1], off
	s_wait_loadcnt 0x0
	ds_store_b128 v118, v[0:3]
	v_add_co_u32 v0, vcc_lo, s24, v70
	s_wait_alu 0xfffd
	v_add_co_ci_u32_e64 v1, null, s25, v71, vcc_lo
	s_mul_u64 s[24:25], s[10:11], s[14:15]
	v_add_co_u32 v0, vcc_lo, v0, v131
	s_wait_alu 0xfffd
	v_add_co_ci_u32_e64 v1, null, 0, v1, vcc_lo
	v_cmp_gt_i32_e32 vcc_lo, 32, v113
	s_wait_alu 0xfffe
	s_lshl_b64 s[24:25], s[24:25], 2
	global_load_b128 v[0:3], v[0:1], off
	s_wait_alu 0xfffe
	s_add_nc_u64 s[24:25], s[8:9], s[24:25]
	s_wait_loadcnt 0x0
	ds_store_b128 v119, v[0:3]
	s_wait_storecnt_dscnt 0x0
	s_barrier_signal -1
	s_barrier_wait -1
	global_inv scope:SCOPE_SE
	ds_load_b128 v[203:206], v121
	ds_load_b128 v[0:3], v121 offset:4608
	ds_load_b128 v[207:210], v120
	ds_load_b128 v[60:63], v120 offset:128
	ds_load_b128 v[56:59], v120 offset:256
	ds_load_b128 v[52:55], v120 offset:384
	ds_load_b128 v[48:51], v120 offset:512
	ds_load_b128 v[44:47], v120 offset:640
	ds_load_b128 v[40:43], v120 offset:768
	ds_load_b128 v[36:39], v120 offset:896
	ds_load_b128 v[32:35], v120 offset:1024
	ds_load_b128 v[28:31], v120 offset:1152
	ds_load_b128 v[24:27], v120 offset:1280
	ds_load_b128 v[20:23], v120 offset:1408
	ds_load_b128 v[16:19], v120 offset:1536
	ds_load_b128 v[12:15], v120 offset:1664
	ds_load_b128 v[8:11], v120 offset:1792
	ds_load_b128 v[4:7], v120 offset:1920
	s_wait_dscnt 0xf
	;;#ASMSTART
	v_dot2_f32_f16 v199, v203, v207, v199
	;;#ASMEND
	;;#ASMSTART
	v_dot2_f32_f16 v199, v204, v208, v199
	;;#ASMEND
	;;#ASMSTART
	v_dot2_f32_f16 v199, v205, v209, v199
	;;#ASMEND
	;;#ASMSTART
	v_dot2_f32_f16 v199, v206, v210, v199
	;;#ASMEND
	s_wait_dscnt 0xe
	;;#ASMSTART
	v_dot2_f32_f16 v200, v203, v60, v200
	;;#ASMEND
	;;#ASMSTART
	v_dot2_f32_f16 v200, v204, v61, v200
	;;#ASMEND
	;;#ASMSTART
	v_dot2_f32_f16 v200, v205, v62, v200
	;;#ASMEND
	;;#ASMSTART
	v_dot2_f32_f16 v200, v206, v63, v200
	;;#ASMEND
	;; [unrolled: 13-line block ×15, first 2 shown]
	s_wait_dscnt 0x0
	;;#ASMSTART
	v_dot2_f32_f16 v187, v203, v4, v187
	;;#ASMEND
	;;#ASMSTART
	v_dot2_f32_f16 v187, v204, v5, v187
	;;#ASMEND
	;;#ASMSTART
	v_dot2_f32_f16 v187, v205, v6, v187
	;;#ASMEND
	v_mov_b32_e32 v204, 0
	;;#ASMSTART
	v_dot2_f32_f16 v187, v206, v7, v187
	;;#ASMEND
	;;#ASMSTART
	v_dot2_f32_f16 v204, v0, v207, v204
	;;#ASMEND
	;;#ASMSTART
	v_dot2_f32_f16 v204, v1, v208, v204
	;;#ASMEND
	;;#ASMSTART
	v_dot2_f32_f16 v204, v2, v209, v204
	;;#ASMEND
	v_mov_b32_e32 v203, 0
	;;#ASMSTART
	v_dot2_f32_f16 v204, v3, v210, v204
	;;#ASMEND
	;; [unrolled: 13-line block ×16, first 2 shown]
	;;#ASMSTART
	v_dot2_f32_f16 v15, v0, v4, v15
	;;#ASMEND
	;;#ASMSTART
	v_dot2_f32_f16 v15, v1, v5, v15
	;;#ASMEND
	;;#ASMSTART
	v_dot2_f32_f16 v15, v2, v6, v15
	;;#ASMEND
	;;#ASMSTART
	v_dot2_f32_f16 v15, v3, v7, v15
	;;#ASMEND
	ds_load_b128 v[0:3], v121 offset:16
	ds_load_b128 v[4:7], v121 offset:4624
	;; [unrolled: 1-line block ×18, first 2 shown]
	s_wait_dscnt 0xf
	;;#ASMSTART
	v_dot2_f32_f16 v199, v0, v8, v199
	;;#ASMEND
	;;#ASMSTART
	v_dot2_f32_f16 v199, v1, v9, v199
	;;#ASMEND
	;;#ASMSTART
	v_dot2_f32_f16 v199, v2, v10, v199
	;;#ASMEND
	;;#ASMSTART
	v_dot2_f32_f16 v199, v3, v11, v199
	;;#ASMEND
	s_wait_dscnt 0xe
	;;#ASMSTART
	v_dot2_f32_f16 v200, v0, v205, v200
	;;#ASMEND
	;;#ASMSTART
	v_dot2_f32_f16 v200, v1, v206, v200
	;;#ASMEND
	;;#ASMSTART
	v_dot2_f32_f16 v200, v2, v207, v200
	;;#ASMEND
	;;#ASMSTART
	v_dot2_f32_f16 v200, v3, v208, v200
	;;#ASMEND
	;; [unrolled: 13-line block ×16, first 2 shown]
	;;#ASMSTART
	v_dot2_f32_f16 v204, v4, v8, v204
	;;#ASMEND
	;;#ASMSTART
	v_dot2_f32_f16 v204, v5, v9, v204
	;;#ASMEND
	;; [unrolled: 3-line block ×64, first 2 shown]
	ds_load_b128 v[0:3], v121 offset:32
	ds_load_b128 v[4:7], v121 offset:4640
	;; [unrolled: 1-line block ×18, first 2 shown]
	s_wait_dscnt 0xf
	;;#ASMSTART
	v_dot2_f32_f16 v199, v0, v8, v199
	;;#ASMEND
	;;#ASMSTART
	v_dot2_f32_f16 v199, v1, v9, v199
	;;#ASMEND
	;;#ASMSTART
	v_dot2_f32_f16 v199, v2, v10, v199
	;;#ASMEND
	;;#ASMSTART
	v_dot2_f32_f16 v199, v3, v11, v199
	;;#ASMEND
	s_wait_dscnt 0xe
	;;#ASMSTART
	v_dot2_f32_f16 v200, v0, v80, v200
	;;#ASMEND
	;;#ASMSTART
	v_dot2_f32_f16 v200, v1, v81, v200
	;;#ASMEND
	;;#ASMSTART
	v_dot2_f32_f16 v200, v2, v82, v200
	;;#ASMEND
	;;#ASMSTART
	v_dot2_f32_f16 v200, v3, v83, v200
	;;#ASMEND
	;; [unrolled: 13-line block ×16, first 2 shown]
	;;#ASMSTART
	v_dot2_f32_f16 v204, v4, v8, v204
	;;#ASMEND
	;;#ASMSTART
	v_dot2_f32_f16 v204, v5, v9, v204
	;;#ASMEND
	;; [unrolled: 3-line block ×64, first 2 shown]
	ds_load_b128 v[0:3], v121 offset:48
	ds_load_b128 v[4:7], v121 offset:4656
	;; [unrolled: 1-line block ×18, first 2 shown]
	s_wait_dscnt 0xf
	;;#ASMSTART
	v_dot2_f32_f16 v199, v0, v8, v199
	;;#ASMEND
	;;#ASMSTART
	v_dot2_f32_f16 v199, v1, v9, v199
	;;#ASMEND
	;;#ASMSTART
	v_dot2_f32_f16 v199, v2, v10, v199
	;;#ASMEND
	;;#ASMSTART
	v_dot2_f32_f16 v199, v3, v11, v199
	;;#ASMEND
	s_wait_dscnt 0xe
	;;#ASMSTART
	v_dot2_f32_f16 v200, v0, v80, v200
	;;#ASMEND
	;;#ASMSTART
	v_dot2_f32_f16 v200, v1, v81, v200
	;;#ASMEND
	;;#ASMSTART
	v_dot2_f32_f16 v200, v2, v82, v200
	;;#ASMEND
	;;#ASMSTART
	v_dot2_f32_f16 v200, v3, v83, v200
	;;#ASMEND
	;; [unrolled: 13-line block ×16, first 2 shown]
	;;#ASMSTART
	v_dot2_f32_f16 v204, v4, v8, v204
	;;#ASMEND
	;;#ASMSTART
	v_dot2_f32_f16 v204, v5, v9, v204
	;;#ASMEND
	;; [unrolled: 3-line block ×64, first 2 shown]
	ds_load_b128 v[0:3], v121 offset:64
	ds_load_b128 v[4:7], v121 offset:4672
	ds_load_b128 v[8:11], v120 offset:64
	ds_load_b128 v[80:83], v120 offset:192
	ds_load_b128 v[84:87], v120 offset:320
	ds_load_b128 v[88:91], v120 offset:448
	ds_load_b128 v[205:208], v120 offset:576
	ds_load_b128 v[209:212], v120 offset:704
	ds_load_b128 v[213:216], v120 offset:832
	ds_load_b128 v[217:220], v120 offset:960
	ds_load_b128 v[221:224], v120 offset:1088
	ds_load_b128 v[225:228], v120 offset:1216
	ds_load_b128 v[229:232], v120 offset:1344
	ds_load_b128 v[233:236], v120 offset:1472
	ds_load_b128 v[237:240], v120 offset:1600
	ds_load_b128 v[241:244], v120 offset:1728
	ds_load_b128 v[245:248], v120 offset:1856
	ds_load_b128 v[249:252], v120 offset:1984
	s_wait_dscnt 0xf
	;;#ASMSTART
	v_dot2_f32_f16 v199, v0, v8, v199
	;;#ASMEND
	;;#ASMSTART
	v_dot2_f32_f16 v199, v1, v9, v199
	;;#ASMEND
	;;#ASMSTART
	v_dot2_f32_f16 v199, v2, v10, v199
	;;#ASMEND
	;;#ASMSTART
	v_dot2_f32_f16 v199, v3, v11, v199
	;;#ASMEND
	s_wait_dscnt 0xe
	;;#ASMSTART
	v_dot2_f32_f16 v200, v0, v80, v200
	;;#ASMEND
	;;#ASMSTART
	v_dot2_f32_f16 v200, v1, v81, v200
	;;#ASMEND
	;;#ASMSTART
	v_dot2_f32_f16 v200, v2, v82, v200
	;;#ASMEND
	;;#ASMSTART
	v_dot2_f32_f16 v200, v3, v83, v200
	;;#ASMEND
	;; [unrolled: 13-line block ×16, first 2 shown]
	;;#ASMSTART
	v_dot2_f32_f16 v204, v4, v8, v204
	;;#ASMEND
	;;#ASMSTART
	v_dot2_f32_f16 v204, v5, v9, v204
	;;#ASMEND
	;; [unrolled: 3-line block ×64, first 2 shown]
	ds_load_b128 v[0:3], v121 offset:80
	ds_load_b128 v[4:7], v121 offset:4688
	;; [unrolled: 1-line block ×18, first 2 shown]
	s_wait_dscnt 0xf
	;;#ASMSTART
	v_dot2_f32_f16 v199, v0, v8, v199
	;;#ASMEND
	;;#ASMSTART
	v_dot2_f32_f16 v199, v1, v9, v199
	;;#ASMEND
	;;#ASMSTART
	v_dot2_f32_f16 v199, v2, v10, v199
	;;#ASMEND
	;;#ASMSTART
	v_dot2_f32_f16 v199, v3, v11, v199
	;;#ASMEND
	s_wait_dscnt 0xe
	;;#ASMSTART
	v_dot2_f32_f16 v200, v0, v80, v200
	;;#ASMEND
	;;#ASMSTART
	v_dot2_f32_f16 v200, v1, v81, v200
	;;#ASMEND
	;;#ASMSTART
	v_dot2_f32_f16 v200, v2, v82, v200
	;;#ASMEND
	;;#ASMSTART
	v_dot2_f32_f16 v200, v3, v83, v200
	;;#ASMEND
	;; [unrolled: 13-line block ×16, first 2 shown]
	;;#ASMSTART
	v_dot2_f32_f16 v204, v4, v8, v204
	;;#ASMEND
	;;#ASMSTART
	v_dot2_f32_f16 v204, v5, v9, v204
	;;#ASMEND
	;; [unrolled: 3-line block ×64, first 2 shown]
	ds_load_b128 v[0:3], v121 offset:96
	ds_load_b128 v[4:7], v121 offset:4704
	;; [unrolled: 1-line block ×18, first 2 shown]
	s_wait_dscnt 0xf
	;;#ASMSTART
	v_dot2_f32_f16 v199, v0, v8, v199
	;;#ASMEND
	;;#ASMSTART
	v_dot2_f32_f16 v199, v1, v9, v199
	;;#ASMEND
	;;#ASMSTART
	v_dot2_f32_f16 v199, v2, v10, v199
	;;#ASMEND
	;;#ASMSTART
	v_dot2_f32_f16 v199, v3, v11, v199
	;;#ASMEND
	s_wait_dscnt 0xe
	;;#ASMSTART
	v_dot2_f32_f16 v200, v0, v80, v200
	;;#ASMEND
	;;#ASMSTART
	v_dot2_f32_f16 v200, v1, v81, v200
	;;#ASMEND
	;;#ASMSTART
	v_dot2_f32_f16 v200, v2, v82, v200
	;;#ASMEND
	;;#ASMSTART
	v_dot2_f32_f16 v200, v3, v83, v200
	;;#ASMEND
	;; [unrolled: 13-line block ×16, first 2 shown]
	;;#ASMSTART
	v_dot2_f32_f16 v204, v4, v8, v204
	;;#ASMEND
	;;#ASMSTART
	v_dot2_f32_f16 v204, v5, v9, v204
	;;#ASMEND
	;; [unrolled: 3-line block ×64, first 2 shown]
	ds_load_b128 v[0:3], v121 offset:112
	ds_load_b128 v[4:7], v121 offset:4720
	;; [unrolled: 1-line block ×18, first 2 shown]
	s_wait_dscnt 0xf
	;;#ASMSTART
	v_dot2_f32_f16 v199, v0, v8, v199
	;;#ASMEND
	;;#ASMSTART
	v_dot2_f32_f16 v199, v1, v9, v199
	;;#ASMEND
	;;#ASMSTART
	v_dot2_f32_f16 v199, v2, v10, v199
	;;#ASMEND
	;;#ASMSTART
	v_dot2_f32_f16 v199, v3, v11, v199
	;;#ASMEND
	s_wait_dscnt 0xe
	;;#ASMSTART
	v_dot2_f32_f16 v200, v0, v80, v200
	;;#ASMEND
	;;#ASMSTART
	v_dot2_f32_f16 v200, v1, v81, v200
	;;#ASMEND
	;;#ASMSTART
	v_dot2_f32_f16 v200, v2, v82, v200
	;;#ASMEND
	;;#ASMSTART
	v_dot2_f32_f16 v200, v3, v83, v200
	;;#ASMEND
	;; [unrolled: 13-line block ×16, first 2 shown]
	;;#ASMSTART
	v_dot2_f32_f16 v204, v4, v8, v204
	;;#ASMEND
	s_wait_alu 0xfffd
	v_cndmask_b32_e32 v0, v107, v113, vcc_lo
	v_cmp_gt_i32_e32 vcc_lo, 32, v114
	;;#ASMSTART
	v_dot2_f32_f16 v204, v5, v9, v204
	;;#ASMEND
	;;#ASMSTART
	v_dot2_f32_f16 v204, v6, v10, v204
	;;#ASMEND
	;; [unrolled: 3-line block ×6, first 2 shown]
	s_wait_alu 0xfffd
	v_dual_cndmask_b32 v0, v107, v114 :: v_dual_lshlrev_b32 v39, 2, v0
	v_cmp_gt_i32_e32 vcc_lo, 32, v111
	;;#ASMSTART
	v_dot2_f32_f16 v203, v7, v83, v203
	;;#ASMEND
	;;#ASMSTART
	v_dot2_f32_f16 v60, v4, v84, v60
	;;#ASMEND
	;; [unrolled: 3-line block ×7, first 2 shown]
	s_wait_alu 0xfffd
	v_dual_cndmask_b32 v0, v107, v111 :: v_dual_lshlrev_b32 v51, 2, v0
	v_cmp_gt_i32_e32 vcc_lo, 32, v112
	;;#ASMSTART
	v_dot2_f32_f16 v56, v6, v90, v56
	;;#ASMEND
	;;#ASMSTART
	v_dot2_f32_f16 v56, v7, v91, v56
	;;#ASMEND
	;;#ASMSTART
	v_dot2_f32_f16 v52, v4, v205, v52
	;;#ASMEND
	;;#ASMSTART
	v_dot2_f32_f16 v52, v5, v206, v52
	;;#ASMEND
	;;#ASMSTART
	v_dot2_f32_f16 v52, v6, v207, v52
	;;#ASMEND
	;;#ASMSTART
	v_dot2_f32_f16 v52, v7, v208, v52
	;;#ASMEND
	;;#ASMSTART
	v_dot2_f32_f16 v48, v4, v209, v48
	;;#ASMEND
	v_lshlrev_b32_e32 v54, 2, v0
	s_wait_alu 0xfffd
	v_cndmask_b32_e32 v0, v107, v112, vcc_lo
	v_cmp_gt_i32_e32 vcc_lo, 32, v110
	;;#ASMSTART
	v_dot2_f32_f16 v48, v5, v210, v48
	;;#ASMEND
	;;#ASMSTART
	v_dot2_f32_f16 v48, v6, v211, v48
	;;#ASMEND
	;; [unrolled: 3-line block ×6, first 2 shown]
	v_add_nc_u32_e32 v12, s10, v106
	s_wait_alu 0xfffd
	v_dual_cndmask_b32 v0, v107, v110 :: v_dual_lshlrev_b32 v55, 2, v0
	;;#ASMSTART
	v_dot2_f32_f16 v44, v7, v216, v44
	;;#ASMEND
	;;#ASMSTART
	v_dot2_f32_f16 v40, v4, v217, v40
	;;#ASMEND
	;; [unrolled: 3-line block ×7, first 2 shown]
	v_lshlrev_b32_e32 v57, 2, v0
	v_add_nc_u32_e32 v0, v12, v122
	;;#ASMSTART
	v_dot2_f32_f16 v36, v6, v223, v36
	;;#ASMEND
	;;#ASMSTART
	v_dot2_f32_f16 v36, v7, v224, v36
	;;#ASMEND
	;;#ASMSTART
	v_dot2_f32_f16 v32, v4, v225, v32
	;;#ASMEND
	;;#ASMSTART
	v_dot2_f32_f16 v32, v5, v226, v32
	;;#ASMEND
	;;#ASMSTART
	v_dot2_f32_f16 v32, v6, v227, v32
	;;#ASMEND
	;;#ASMSTART
	v_dot2_f32_f16 v32, v7, v228, v32
	;;#ASMEND
	;;#ASMSTART
	v_dot2_f32_f16 v28, v4, v229, v28
	;;#ASMEND
	v_ashrrev_i32_e32 v1, 31, v0
	;;#ASMSTART
	v_dot2_f32_f16 v28, v5, v230, v28
	;;#ASMEND
	;;#ASMSTART
	v_dot2_f32_f16 v28, v6, v231, v28
	;;#ASMEND
	;;#ASMSTART
	v_dot2_f32_f16 v28, v7, v232, v28
	;;#ASMEND
	;;#ASMSTART
	v_dot2_f32_f16 v24, v4, v233, v24
	;;#ASMEND
	;;#ASMSTART
	v_dot2_f32_f16 v24, v5, v234, v24
	;;#ASMEND
	;;#ASMSTART
	v_dot2_f32_f16 v24, v6, v235, v24
	;;#ASMEND
	v_lshlrev_b64_e32 v[0:1], 1, v[0:1]
	;;#ASMSTART
	v_dot2_f32_f16 v24, v7, v236, v24
	;;#ASMEND
	;;#ASMSTART
	v_dot2_f32_f16 v20, v4, v237, v20
	;;#ASMEND
	;; [unrolled: 3-line block ×8, first 2 shown]
	v_add_co_u32 v0, vcc_lo, s34, v0
	;;#ASMSTART
	v_dot2_f32_f16 v16, v7, v244, v16
	;;#ASMEND
	;;#ASMSTART
	v_dot2_f32_f16 v14, v4, v245, v14
	;;#ASMEND
	;; [unrolled: 3-line block ×3, first 2 shown]
	s_wait_alu 0xfffd
	v_add_co_ci_u32_e64 v1, null, s35, v1, vcc_lo
	;;#ASMSTART
	v_dot2_f32_f16 v14, v6, v247, v14
	;;#ASMEND
	;;#ASMSTART
	v_dot2_f32_f16 v14, v7, v248, v14
	;;#ASMEND
	;; [unrolled: 3-line block ×6, first 2 shown]
	s_clause 0x1
	global_load_u16 v2, v[0:1], off
	global_load_u16 v0, v[0:1], off offset:64
	s_wait_loadcnt 0x1
	v_cvt_f32_f16_e32 v3, v2
	s_wait_loadcnt 0x0
	v_cvt_f32_f16_e32 v4, v0
	s_delay_alu instid0(VALU_DEP_1) | instskip(SKIP_2) | instid1(VALU_DEP_3)
	v_dual_add_f32 v59, v199, v3 :: v_dual_add_f32 v58, v204, v4
	v_add_f32_e32 v26, v60, v4
	v_dual_add_f32 v25, v203, v4 :: v_dual_add_f32 v42, v202, v3
	v_add_f32_e32 v2, 0x40051340, v59
	s_delay_alu instid0(VALU_DEP_4) | instskip(NEXT) | instid1(VALU_DEP_4)
	v_add_f32_e32 v0, 0x40051340, v58
	v_add_f32_e32 v5, 0x40051340, v26
	v_add_f32_e32 v27, v56, v4
	v_add_f32_e32 v49, v200, v3
	v_add_f32_e32 v41, v201, v3
	v_max3_num_f32 v0, v186, v2, v0
	v_dual_add_f32 v2, 0x40051340, v25 :: v_dual_add_f32 v3, 0x40051340, v42
	v_add_f32_e32 v4, 0x40051340, v27
	ds_bpermute_b32 v1, v39, v0
	v_max3_num_f32 v3, v181, v3, v4
	ds_bpermute_b32 v4, v39, v3
	s_wait_dscnt 0x1
	v_max_num_f32_e32 v1, v1, v1
	s_delay_alu instid0(VALU_DEP_1)
	v_max_num_f32_e32 v0, v0, v1
	s_wait_dscnt 0x0
	v_max_num_f32_e32 v4, v4, v4
	ds_bpermute_b32 v1, v51, v0
	v_max_num_f32_e32 v3, v3, v4
	ds_bpermute_b32 v4, v51, v3
	s_wait_dscnt 0x1
	v_max_num_f32_e32 v1, v1, v1
	s_delay_alu instid0(VALU_DEP_1)
	v_max_num_f32_e32 v0, v0, v1
	s_wait_dscnt 0x0
	v_max_num_f32_e32 v4, v4, v4
	ds_bpermute_b32 v1, v54, v0
	v_max_num_f32_e32 v3, v3, v4
	s_wait_dscnt 0x0
	v_max_num_f32_e32 v1, v1, v1
	s_delay_alu instid0(VALU_DEP_1) | instskip(SKIP_3) | instid1(VALU_DEP_1)
	v_max_num_f32_e32 v0, v0, v1
	ds_bpermute_b32 v1, v55, v0
	s_wait_dscnt 0x0
	v_max_num_f32_e32 v1, v1, v1
	v_max_num_f32_e32 v0, v0, v1
	ds_bpermute_b32 v1, v57, v0
	s_wait_dscnt 0x0
	v_max_num_f32_e32 v1, v1, v1
	s_delay_alu instid0(VALU_DEP_1) | instskip(SKIP_1) | instid1(VALU_DEP_1)
	v_max_num_f32_e32 v0, v0, v1
	v_add_f32_e32 v1, 0x40051340, v49
	v_max3_num_f32 v1, v185, v1, v2
	ds_bpermute_b32 v2, v39, v1
	s_wait_dscnt 0x0
	v_max_num_f32_e32 v2, v2, v2
	s_delay_alu instid0(VALU_DEP_1) | instskip(SKIP_3) | instid1(VALU_DEP_1)
	v_max_num_f32_e32 v1, v1, v2
	ds_bpermute_b32 v2, v51, v1
	s_wait_dscnt 0x0
	v_max_num_f32_e32 v2, v2, v2
	v_max_num_f32_e32 v1, v1, v2
	ds_bpermute_b32 v2, v54, v1
	s_wait_dscnt 0x0
	v_max_num_f32_e32 v2, v2, v2
	s_delay_alu instid0(VALU_DEP_1)
	v_max_num_f32_e32 v1, v1, v2
	ds_bpermute_b32 v4, v54, v3
	ds_bpermute_b32 v2, v55, v1
	s_wait_dscnt 0x1
	v_max_num_f32_e32 v4, v4, v4
	s_wait_dscnt 0x0
	s_delay_alu instid0(VALU_DEP_1) | instskip(NEXT) | instid1(VALU_DEP_1)
	v_dual_max_num_f32 v2, v2, v2 :: v_dual_max_num_f32 v3, v3, v4
	v_max_num_f32_e32 v1, v1, v2
	ds_bpermute_b32 v4, v55, v3
	ds_bpermute_b32 v2, v57, v1
	s_wait_dscnt 0x1
	v_max_num_f32_e32 v4, v4, v4
	s_wait_dscnt 0x0
	s_delay_alu instid0(VALU_DEP_1) | instskip(NEXT) | instid1(VALU_DEP_1)
	v_dual_max_num_f32 v2, v2, v2 :: v_dual_max_num_f32 v3, v3, v4
	v_dual_max_num_f32 v1, v1, v2 :: v_dual_add_f32 v2, 0x40051340, v41
	ds_bpermute_b32 v4, v57, v3
	v_sub_f32_e32 v25, v25, v1
	v_max3_num_f32 v2, v183, v2, v5
	ds_bpermute_b32 v5, v39, v2
	s_wait_dscnt 0x1
	v_max_num_f32_e32 v4, v4, v4
	s_delay_alu instid0(VALU_DEP_1) | instskip(SKIP_2) | instid1(VALU_DEP_1)
	v_dual_max_num_f32 v3, v3, v4 :: v_dual_add_nc_u32 v4, v12, v123
	s_wait_dscnt 0x0
	v_max_num_f32_e32 v5, v5, v5
	v_dual_sub_f32 v27, v27, v3 :: v_dual_max_num_f32 v2, v2, v5
	ds_bpermute_b32 v5, v51, v2
	s_wait_dscnt 0x0
	v_max_num_f32_e32 v5, v5, v5
	s_delay_alu instid0(VALU_DEP_1) | instskip(SKIP_3) | instid1(VALU_DEP_1)
	v_max_num_f32_e32 v2, v2, v5
	ds_bpermute_b32 v5, v54, v2
	s_wait_dscnt 0x0
	v_max_num_f32_e32 v5, v5, v5
	v_max_num_f32_e32 v2, v2, v5
	ds_bpermute_b32 v5, v55, v2
	s_wait_dscnt 0x0
	v_max_num_f32_e32 v5, v5, v5
	s_delay_alu instid0(VALU_DEP_1) | instskip(SKIP_3) | instid1(VALU_DEP_1)
	v_max_num_f32_e32 v2, v2, v5
	ds_bpermute_b32 v5, v57, v2
	s_wait_dscnt 0x0
	v_max_num_f32_e32 v5, v5, v5
	v_max_num_f32_e32 v2, v2, v5
	v_ashrrev_i32_e32 v5, 31, v4
	s_delay_alu instid0(VALU_DEP_1) | instskip(NEXT) | instid1(VALU_DEP_1)
	v_lshlrev_b64_e32 v[4:5], 1, v[4:5]
	v_add_co_u32 v4, vcc_lo, s34, v4
	s_wait_alu 0xfffd
	s_delay_alu instid0(VALU_DEP_2)
	v_add_co_ci_u32_e64 v5, null, s35, v5, vcc_lo
	s_clause 0x1
	global_load_u16 v6, v[4:5], off
	global_load_u16 v4, v[4:5], off offset:64
	s_wait_loadcnt 0x1
	v_cvt_f32_f16_e32 v7, v6
	s_wait_loadcnt 0x0
	v_cvt_f32_f16_e32 v8, v4
	s_delay_alu instid0(VALU_DEP_2) | instskip(NEXT) | instid1(VALU_DEP_2)
	v_add_f32_e32 v53, v198, v7
	v_add_f32_e32 v43, v52, v8
	;; [unrolled: 1-line block ×3, first 2 shown]
	v_dual_add_f32 v29, v48, v8 :: v_dual_add_f32 v46, v197, v7
	s_delay_alu instid0(VALU_DEP_4) | instskip(NEXT) | instid1(VALU_DEP_4)
	v_add_f32_e32 v6, 0x40051340, v53
	v_dual_add_f32 v4, 0x40051340, v43 :: v_dual_add_f32 v31, v40, v8
	v_add_f32_e32 v50, v195, v7
	s_delay_alu instid0(VALU_DEP_4) | instskip(NEXT) | instid1(VALU_DEP_3)
	v_dual_add_f32 v30, v44, v8 :: v_dual_add_f32 v7, 0x40051340, v46
	v_max3_num_f32 v4, v179, v6, v4
	v_add_f32_e32 v6, 0x40051340, v29
	s_delay_alu instid0(VALU_DEP_3)
	v_dual_add_f32 v8, 0x40051340, v31 :: v_dual_add_f32 v9, 0x40051340, v30
	ds_bpermute_b32 v5, v39, v4
	v_max3_num_f32 v7, v173, v7, v8
	ds_bpermute_b32 v8, v39, v7
	s_wait_dscnt 0x1
	v_max_num_f32_e32 v5, v5, v5
	s_delay_alu instid0(VALU_DEP_1)
	v_max_num_f32_e32 v4, v4, v5
	s_wait_dscnt 0x0
	v_max_num_f32_e32 v8, v8, v8
	ds_bpermute_b32 v5, v51, v4
	v_max_num_f32_e32 v7, v7, v8
	ds_bpermute_b32 v8, v51, v7
	s_wait_dscnt 0x1
	v_max_num_f32_e32 v5, v5, v5
	s_delay_alu instid0(VALU_DEP_1)
	v_max_num_f32_e32 v4, v4, v5
	s_wait_dscnt 0x0
	v_max_num_f32_e32 v8, v8, v8
	ds_bpermute_b32 v5, v54, v4
	v_max_num_f32_e32 v7, v7, v8
	;; [unrolled: 9-line block ×3, first 2 shown]
	ds_bpermute_b32 v8, v55, v7
	s_wait_dscnt 0x1
	v_dual_max_num_f32 v5, v5, v5 :: v_dual_sub_f32 v42, v42, v3
	s_delay_alu instid0(VALU_DEP_1)
	v_max_num_f32_e32 v4, v4, v5
	s_wait_dscnt 0x0
	v_max_num_f32_e32 v8, v8, v8
	ds_bpermute_b32 v5, v57, v4
	v_max_num_f32_e32 v7, v7, v8
	ds_bpermute_b32 v8, v57, v7
	s_wait_dscnt 0x1
	v_max_num_f32_e32 v5, v5, v5
	s_delay_alu instid0(VALU_DEP_1) | instskip(SKIP_2) | instid1(VALU_DEP_2)
	v_dual_max_num_f32 v4, v4, v5 :: v_dual_add_f32 v5, 0x40051340, v50
	s_wait_dscnt 0x0
	v_max_num_f32_e32 v8, v8, v8
	v_sub_f32_e32 v43, v43, v4
	s_delay_alu instid0(VALU_DEP_3) | instskip(NEXT) | instid1(VALU_DEP_3)
	v_max3_num_f32 v5, v177, v5, v6
	v_max_num_f32_e32 v7, v7, v8
	v_add_nc_u32_e32 v8, v12, v124
	v_add_nc_u32_e32 v12, v12, v125
	ds_bpermute_b32 v6, v39, v5
	s_wait_dscnt 0x0
	v_dual_sub_f32 v31, v31, v7 :: v_dual_max_num_f32 v6, v6, v6
	s_delay_alu instid0(VALU_DEP_1) | instskip(SKIP_3) | instid1(VALU_DEP_1)
	v_max_num_f32_e32 v5, v5, v6
	ds_bpermute_b32 v6, v51, v5
	s_wait_dscnt 0x0
	v_max_num_f32_e32 v6, v6, v6
	v_max_num_f32_e32 v5, v5, v6
	ds_bpermute_b32 v6, v54, v5
	s_wait_dscnt 0x0
	v_max_num_f32_e32 v6, v6, v6
	s_delay_alu instid0(VALU_DEP_1)
	v_max_num_f32_e32 v5, v5, v6
	v_sub_f32_e32 v41, v41, v2
	v_sub_f32_e32 v26, v26, v2
	ds_bpermute_b32 v6, v55, v5
	s_wait_dscnt 0x0
	v_max_num_f32_e32 v6, v6, v6
	s_delay_alu instid0(VALU_DEP_1) | instskip(SKIP_3) | instid1(VALU_DEP_1)
	v_max_num_f32_e32 v5, v5, v6
	ds_bpermute_b32 v6, v57, v5
	s_wait_dscnt 0x0
	v_max_num_f32_e32 v6, v6, v6
	v_dual_max_num_f32 v5, v5, v6 :: v_dual_add_f32 v6, 0x40051340, v45
	s_delay_alu instid0(VALU_DEP_1) | instskip(NEXT) | instid1(VALU_DEP_2)
	v_sub_f32_e32 v29, v29, v5
	v_max3_num_f32 v6, v175, v6, v9
	ds_bpermute_b32 v9, v39, v6
	s_wait_dscnt 0x0
	v_max_num_f32_e32 v9, v9, v9
	s_delay_alu instid0(VALU_DEP_1) | instskip(SKIP_3) | instid1(VALU_DEP_1)
	v_max_num_f32_e32 v6, v6, v9
	ds_bpermute_b32 v9, v51, v6
	s_wait_dscnt 0x0
	v_max_num_f32_e32 v9, v9, v9
	v_max_num_f32_e32 v6, v6, v9
	ds_bpermute_b32 v9, v54, v6
	s_wait_dscnt 0x0
	v_max_num_f32_e32 v9, v9, v9
	s_delay_alu instid0(VALU_DEP_1) | instskip(SKIP_3) | instid1(VALU_DEP_1)
	v_max_num_f32_e32 v6, v6, v9
	ds_bpermute_b32 v9, v55, v6
	s_wait_dscnt 0x0
	v_max_num_f32_e32 v9, v9, v9
	v_max_num_f32_e32 v6, v6, v9
	ds_bpermute_b32 v9, v57, v6
	s_wait_dscnt 0x0
	v_max_num_f32_e32 v9, v9, v9
	s_delay_alu instid0(VALU_DEP_1) | instskip(SKIP_1) | instid1(VALU_DEP_1)
	v_max_num_f32_e32 v6, v6, v9
	v_ashrrev_i32_e32 v9, 31, v8
	v_lshlrev_b64_e32 v[8:9], 1, v[8:9]
	s_delay_alu instid0(VALU_DEP_1) | instskip(SKIP_1) | instid1(VALU_DEP_2)
	v_add_co_u32 v8, vcc_lo, s34, v8
	s_wait_alu 0xfffd
	v_add_co_ci_u32_e64 v9, null, s35, v9, vcc_lo
	s_clause 0x1
	global_load_u16 v10, v[8:9], off
	global_load_u16 v8, v[8:9], off offset:64
	s_wait_loadcnt 0x1
	v_cvt_f32_f16_e32 v11, v10
	s_wait_loadcnt 0x0
	v_cvt_f32_f16_e32 v13, v8
	s_delay_alu instid0(VALU_DEP_1)
	v_dual_add_f32 v38, v191, v11 :: v_dual_add_f32 v47, v36, v13
	v_add_f32_e32 v36, v193, v11
	v_add_f32_e32 v48, v194, v11
	;; [unrolled: 1-line block ×7, first 2 shown]
	s_delay_alu instid0(VALU_DEP_4) | instskip(NEXT) | instid1(VALU_DEP_1)
	v_dual_add_f32 v34, v28, v13 :: v_dual_add_f32 v13, 0x40051340, v35
	v_dual_sub_f32 v46, v46, v7 :: v_dual_add_f32 v17, 0x40051340, v34
	s_delay_alu instid0(VALU_DEP_2) | instskip(SKIP_3) | instid1(VALU_DEP_1)
	v_max3_num_f32 v11, v165, v11, v13
	ds_bpermute_b32 v13, v39, v11
	s_wait_dscnt 0x0
	v_dual_add_f32 v8, 0x40051340, v47 :: v_dual_max_num_f32 v13, v13, v13
	v_max3_num_f32 v8, v170, v10, v8
	v_add_f32_e32 v10, 0x40051340, v33
	s_delay_alu instid0(VALU_DEP_3)
	v_max_num_f32_e32 v11, v11, v13
	ds_bpermute_b32 v9, v39, v8
	ds_bpermute_b32 v13, v51, v11
	s_wait_dscnt 0x1
	v_max_num_f32_e32 v9, v9, v9
	s_wait_dscnt 0x0
	v_max_num_f32_e32 v13, v13, v13
	s_delay_alu instid0(VALU_DEP_2) | instskip(NEXT) | instid1(VALU_DEP_2)
	v_max_num_f32_e32 v8, v8, v9
	v_max_num_f32_e32 v11, v11, v13
	ds_bpermute_b32 v9, v51, v8
	ds_bpermute_b32 v13, v54, v11
	s_wait_dscnt 0x1
	v_max_num_f32_e32 v9, v9, v9
	s_wait_dscnt 0x0
	v_max_num_f32_e32 v13, v13, v13
	s_delay_alu instid0(VALU_DEP_2) | instskip(NEXT) | instid1(VALU_DEP_2)
	v_max_num_f32_e32 v8, v8, v9
	;; [unrolled: 9-line block ×4, first 2 shown]
	v_max_num_f32_e32 v11, v11, v13
	ds_bpermute_b32 v9, v57, v8
	v_ashrrev_i32_e32 v13, 31, v12
	s_delay_alu instid0(VALU_DEP_1) | instskip(NEXT) | instid1(VALU_DEP_1)
	v_lshlrev_b64_e32 v[12:13], 1, v[12:13]
	v_add_co_u32 v12, vcc_lo, s34, v12
	s_wait_alu 0xfffd
	s_delay_alu instid0(VALU_DEP_2) | instskip(SKIP_2) | instid1(VALU_DEP_1)
	v_add_co_ci_u32_e64 v13, null, s35, v13, vcc_lo
	s_wait_dscnt 0x0
	v_max_num_f32_e32 v9, v9, v9
	v_dual_max_num_f32 v8, v8, v9 :: v_dual_add_f32 v9, 0x40051340, v38
	s_delay_alu instid0(VALU_DEP_1) | instskip(SKIP_3) | instid1(VALU_DEP_1)
	v_max3_num_f32 v9, v169, v9, v10
	ds_bpermute_b32 v10, v39, v9
	s_wait_dscnt 0x0
	v_max_num_f32_e32 v10, v10, v10
	v_max_num_f32_e32 v9, v9, v10
	ds_bpermute_b32 v10, v51, v9
	s_wait_dscnt 0x0
	v_max_num_f32_e32 v10, v10, v10
	s_delay_alu instid0(VALU_DEP_1) | instskip(SKIP_3) | instid1(VALU_DEP_1)
	v_max_num_f32_e32 v9, v9, v10
	ds_bpermute_b32 v10, v54, v9
	s_wait_dscnt 0x0
	v_max_num_f32_e32 v10, v10, v10
	v_max_num_f32_e32 v9, v9, v10
	ds_bpermute_b32 v10, v55, v9
	s_wait_dscnt 0x0
	v_max_num_f32_e32 v10, v10, v10
	s_delay_alu instid0(VALU_DEP_1) | instskip(SKIP_3) | instid1(VALU_DEP_1)
	v_max_num_f32_e32 v9, v9, v10
	ds_bpermute_b32 v10, v57, v9
	s_wait_dscnt 0x0
	v_max_num_f32_e32 v10, v10, v10
	v_dual_max_num_f32 v9, v9, v10 :: v_dual_add_f32 v10, 0x40051340, v37
	v_sub_f32_e32 v45, v45, v6
	s_delay_alu instid0(VALU_DEP_2) | instskip(NEXT) | instid1(VALU_DEP_3)
	v_dual_sub_f32 v30, v30, v6 :: v_dual_sub_f32 v33, v33, v9
	v_max3_num_f32 v10, v167, v10, v17
	ds_bpermute_b32 v17, v39, v10
	s_wait_dscnt 0x0
	v_max_num_f32_e32 v17, v17, v17
	s_delay_alu instid0(VALU_DEP_1) | instskip(SKIP_3) | instid1(VALU_DEP_1)
	v_max_num_f32_e32 v10, v10, v17
	ds_bpermute_b32 v17, v51, v10
	s_wait_dscnt 0x0
	v_max_num_f32_e32 v17, v17, v17
	v_max_num_f32_e32 v10, v10, v17
	ds_bpermute_b32 v17, v54, v10
	s_wait_dscnt 0x0
	v_max_num_f32_e32 v17, v17, v17
	s_delay_alu instid0(VALU_DEP_1) | instskip(SKIP_3) | instid1(VALU_DEP_1)
	v_max_num_f32_e32 v10, v10, v17
	ds_bpermute_b32 v17, v55, v10
	s_wait_dscnt 0x0
	v_max_num_f32_e32 v17, v17, v17
	v_max_num_f32_e32 v10, v10, v17
	ds_bpermute_b32 v17, v57, v10
	s_wait_dscnt 0x0
	v_max_num_f32_e32 v17, v17, v17
	s_delay_alu instid0(VALU_DEP_1)
	v_max_num_f32_e32 v10, v10, v17
	s_clause 0x1
	global_load_u16 v17, v[12:13], off
	global_load_u16 v12, v[12:13], off offset:64
	s_wait_loadcnt 0x0
	s_barrier_signal -1
	s_barrier_wait -1
	global_inv scope:SCOPE_SE
	v_cvt_f32_f16_e32 v17, v17
	v_cvt_f32_f16_e32 v24, v12
	s_delay_alu instid0(VALU_DEP_1) | instskip(SKIP_3) | instid1(VALU_DEP_4)
	v_dual_add_f32 v19, v189, v17 :: v_dual_add_f32 v22, v20, v24
	v_dual_add_f32 v23, v190, v17 :: v_dual_add_f32 v20, v16, v24
	v_sub_f32_e32 v35, v35, v11
	v_sub_f32_e32 v36, v36, v11
	v_add_f32_e32 v12, 0x40051340, v22
	s_delay_alu instid0(VALU_DEP_4) | instskip(SKIP_1) | instid1(VALU_DEP_2)
	v_add_f32_e32 v18, 0x40051340, v23
	v_add_f32_e32 v16, 0x40051340, v20
	v_max3_num_f32 v12, v163, v18, v12
	v_dual_add_f32 v18, v14, v24 :: v_dual_add_f32 v21, v188, v17
	v_add_f32_e32 v17, v187, v17
	ds_bpermute_b32 v13, v39, v12
	v_add_f32_e32 v14, 0x40051340, v18
	v_add_f32_e32 v28, 0x40051340, v17
	s_wait_dscnt 0x0
	v_max_num_f32_e32 v13, v13, v13
	s_delay_alu instid0(VALU_DEP_1) | instskip(SKIP_3) | instid1(VALU_DEP_1)
	v_max_num_f32_e32 v12, v12, v13
	ds_bpermute_b32 v13, v51, v12
	s_wait_dscnt 0x0
	v_max_num_f32_e32 v13, v13, v13
	v_max_num_f32_e32 v12, v12, v13
	ds_bpermute_b32 v13, v54, v12
	s_wait_dscnt 0x0
	v_max_num_f32_e32 v13, v13, v13
	s_delay_alu instid0(VALU_DEP_1) | instskip(SKIP_3) | instid1(VALU_DEP_1)
	v_max_num_f32_e32 v12, v12, v13
	ds_bpermute_b32 v13, v55, v12
	s_wait_dscnt 0x0
	v_max_num_f32_e32 v13, v13, v13
	v_max_num_f32_e32 v12, v12, v13
	ds_bpermute_b32 v13, v57, v12
	s_wait_dscnt 0x0
	v_max_num_f32_e32 v13, v13, v13
	s_delay_alu instid0(VALU_DEP_1) | instskip(SKIP_1) | instid1(VALU_DEP_1)
	v_max_num_f32_e32 v12, v12, v13
	v_add_f32_e32 v13, 0x40051340, v21
	v_max3_num_f32 v13, v161, v13, v16
	ds_bpermute_b32 v16, v39, v13
	s_wait_dscnt 0x0
	v_max_num_f32_e32 v16, v16, v16
	s_delay_alu instid0(VALU_DEP_1) | instskip(SKIP_3) | instid1(VALU_DEP_1)
	v_max_num_f32_e32 v13, v13, v16
	ds_bpermute_b32 v16, v51, v13
	s_wait_dscnt 0x0
	v_max_num_f32_e32 v16, v16, v16
	v_max_num_f32_e32 v13, v13, v16
	ds_bpermute_b32 v16, v54, v13
	s_wait_dscnt 0x0
	v_max_num_f32_e32 v16, v16, v16
	s_delay_alu instid0(VALU_DEP_1) | instskip(SKIP_3) | instid1(VALU_DEP_1)
	v_max_num_f32_e32 v13, v13, v16
	ds_bpermute_b32 v16, v55, v13
	s_wait_dscnt 0x0
	v_max_num_f32_e32 v16, v16, v16
	v_max_num_f32_e32 v13, v13, v16
	ds_bpermute_b32 v16, v57, v13
	s_wait_dscnt 0x0
	v_max_num_f32_e32 v16, v16, v16
	s_delay_alu instid0(VALU_DEP_1) | instskip(NEXT) | instid1(VALU_DEP_1)
	v_dual_max_num_f32 v13, v13, v16 :: v_dual_add_f32 v16, 0x40051340, v19
	v_dual_sub_f32 v47, v47, v8 :: v_dual_sub_f32 v20, v20, v13
	s_delay_alu instid0(VALU_DEP_2)
	v_max3_num_f32 v14, v159, v16, v14
	v_sub_f32_e32 v38, v38, v9
	v_sub_f32_e32 v21, v21, v13
	ds_bpermute_b32 v16, v39, v14
	s_wait_dscnt 0x0
	v_max_num_f32_e32 v16, v16, v16
	s_delay_alu instid0(VALU_DEP_1) | instskip(SKIP_3) | instid1(VALU_DEP_1)
	v_max_num_f32_e32 v14, v14, v16
	ds_bpermute_b32 v16, v51, v14
	s_wait_dscnt 0x0
	v_max_num_f32_e32 v16, v16, v16
	v_max_num_f32_e32 v14, v14, v16
	ds_bpermute_b32 v16, v54, v14
	s_wait_dscnt 0x0
	v_max_num_f32_e32 v16, v16, v16
	s_delay_alu instid0(VALU_DEP_1) | instskip(SKIP_3) | instid1(VALU_DEP_1)
	v_max_num_f32_e32 v14, v14, v16
	ds_bpermute_b32 v16, v55, v14
	s_wait_dscnt 0x0
	v_max_num_f32_e32 v16, v16, v16
	v_max_num_f32_e32 v14, v14, v16
	ds_bpermute_b32 v16, v57, v14
	s_wait_dscnt 0x0
	v_max_num_f32_e32 v16, v16, v16
	s_delay_alu instid0(VALU_DEP_1) | instskip(SKIP_1) | instid1(VALU_DEP_1)
	v_max_num_f32_e32 v14, v14, v16
	v_add_f32_e32 v16, v15, v24
	v_add_f32_e32 v15, 0x40051340, v16
	s_delay_alu instid0(VALU_DEP_1) | instskip(SKIP_4) | instid1(VALU_DEP_1)
	v_max3_num_f32 v15, v157, v28, v15
	v_sub_f32_e32 v28, v186, v0
	ds_bpermute_b32 v24, v39, v15
	s_wait_dscnt 0x0
	v_max_num_f32_e32 v24, v24, v24
	v_max_num_f32_e32 v15, v15, v24
	ds_bpermute_b32 v24, v51, v15
	s_wait_dscnt 0x0
	v_max_num_f32_e32 v24, v24, v24
	s_delay_alu instid0(VALU_DEP_1) | instskip(SKIP_3) | instid1(VALU_DEP_1)
	v_max_num_f32_e32 v15, v15, v24
	ds_bpermute_b32 v24, v54, v15
	s_wait_dscnt 0x0
	v_max_num_f32_e32 v24, v24, v24
	v_max_num_f32_e32 v15, v15, v24
	ds_bpermute_b32 v24, v55, v15
	s_wait_dscnt 0x0
	v_max_num_f32_e32 v24, v24, v24
	s_delay_alu instid0(VALU_DEP_1) | instskip(SKIP_3) | instid1(VALU_DEP_1)
	v_max_num_f32_e32 v15, v15, v24
	ds_bpermute_b32 v24, v57, v15
	s_wait_dscnt 0x0
	v_max_num_f32_e32 v24, v24, v24
	v_max_num_f32_e32 v15, v15, v24
	v_sub_f32_e32 v24, v59, v0
	v_dual_sub_f32 v50, v50, v5 :: v_dual_sub_f32 v37, v37, v10
	s_delay_alu instid0(VALU_DEP_3) | instskip(NEXT) | instid1(VALU_DEP_3)
	v_dual_sub_f32 v34, v34, v10 :: v_dual_sub_f32 v17, v17, v15
	v_mul_f32_e32 v32, 0x3fb8aa3b, v24
	v_cmp_ngt_f32_e32 vcc_lo, 0xc2ce8ed0, v24
	s_delay_alu instid0(VALU_DEP_2) | instskip(SKIP_1) | instid1(VALU_DEP_2)
	v_fma_f32 v39, 0x3fb8aa3b, v24, -v32
	v_rndne_f32_e32 v40, v32
	v_fmac_f32_e32 v39, 0x32a5705f, v24
	s_delay_alu instid0(VALU_DEP_2) | instskip(NEXT) | instid1(VALU_DEP_1)
	v_sub_f32_e32 v32, v32, v40
	v_add_f32_e32 v32, v32, v39
	v_cvt_i32_f32_e32 v39, v40
	s_delay_alu instid0(VALU_DEP_2) | instskip(NEXT) | instid1(TRANS32_DEP_1)
	v_exp_f32_e32 v32, v32
	v_ldexp_f32 v32, v32, v39
	s_wait_alu 0xfffd
	s_delay_alu instid0(VALU_DEP_1) | instskip(SKIP_2) | instid1(VALU_DEP_2)
	v_cndmask_b32_e32 v32, 0, v32, vcc_lo
	v_cmp_nlt_f32_e32 vcc_lo, 0x42b17218, v24
	s_wait_alu 0xfffd
	v_cndmask_b32_e32 v24, 0x7f800000, v32, vcc_lo
	v_sub_f32_e32 v32, v58, v0
	s_delay_alu instid0(VALU_DEP_2) | instskip(NEXT) | instid1(VALU_DEP_2)
	v_cvt_f16_f32_e32 v51, v24
	v_mul_f32_e32 v39, 0x3fb8aa3b, v32
	v_cmp_ngt_f32_e32 vcc_lo, 0xc2ce8ed0, v32
	s_delay_alu instid0(VALU_DEP_2) | instskip(SKIP_1) | instid1(VALU_DEP_2)
	v_fma_f32 v40, 0x3fb8aa3b, v32, -v39
	v_rndne_f32_e32 v44, v39
	v_fmac_f32_e32 v40, 0x32a5705f, v32
	s_delay_alu instid0(VALU_DEP_2) | instskip(NEXT) | instid1(VALU_DEP_1)
	v_sub_f32_e32 v39, v39, v44
	v_add_f32_e32 v39, v39, v40
	v_cvt_i32_f32_e32 v40, v44
	s_delay_alu instid0(VALU_DEP_2) | instskip(NEXT) | instid1(TRANS32_DEP_1)
	v_exp_f32_e32 v39, v39
	v_ldexp_f32 v39, v39, v40
	s_wait_alu 0xfffd
	s_delay_alu instid0(VALU_DEP_1) | instskip(SKIP_2) | instid1(VALU_DEP_2)
	v_cndmask_b32_e32 v39, 0, v39, vcc_lo
	v_cmp_nlt_f32_e32 vcc_lo, 0x42b17218, v32
	s_wait_alu 0xfffd
	v_cndmask_b32_e32 v32, 0x7f800000, v39, vcc_lo
	v_mul_f32_e32 v39, 0x3fb8aa3b, v28
	v_cmp_ngt_f32_e32 vcc_lo, 0xc2ce8ed0, v28
	v_sub_f32_e32 v23, v23, v12
	v_sub_f32_e32 v22, v22, v12
	s_delay_alu instid0(VALU_DEP_4) | instskip(SKIP_1) | instid1(VALU_DEP_2)
	v_fma_f32 v40, 0x3fb8aa3b, v28, -v39
	v_rndne_f32_e32 v44, v39
	v_fmac_f32_e32 v40, 0x32a5705f, v28
	s_delay_alu instid0(VALU_DEP_2) | instskip(NEXT) | instid1(VALU_DEP_1)
	v_sub_f32_e32 v39, v39, v44
	v_add_f32_e32 v39, v39, v40
	v_cvt_i32_f32_e32 v40, v44
	s_delay_alu instid0(VALU_DEP_2) | instskip(NEXT) | instid1(TRANS32_DEP_1)
	v_exp_f32_e32 v39, v39
	v_ldexp_f32 v39, v39, v40
	s_wait_alu 0xfffd
	s_delay_alu instid0(VALU_DEP_1) | instskip(NEXT) | instid1(VALU_DEP_1)
	v_dual_sub_f32 v40, v49, v1 :: v_dual_cndmask_b32 v39, 0, v39
	v_mul_f32_e32 v44, 0x3fb8aa3b, v40
	v_cmp_nlt_f32_e32 vcc_lo, 0x42b17218, v28
	s_delay_alu instid0(VALU_DEP_2)
	v_fma_f32 v49, 0x3fb8aa3b, v40, -v44
	v_rndne_f32_e32 v52, v44
	s_wait_alu 0xfffd
	v_cndmask_b32_e32 v28, 0x7f800000, v39, vcc_lo
	v_cmp_ngt_f32_e32 vcc_lo, 0xc2ce8ed0, v40
	v_fmac_f32_e32 v49, 0x32a5705f, v40
	v_sub_f32_e32 v44, v44, v52
	s_delay_alu instid0(VALU_DEP_1) | instskip(SKIP_1) | instid1(VALU_DEP_2)
	v_add_f32_e32 v44, v44, v49
	v_cvt_i32_f32_e32 v49, v52
	v_exp_f32_e32 v44, v44
	s_delay_alu instid0(TRANS32_DEP_1) | instskip(SKIP_1) | instid1(VALU_DEP_1)
	v_ldexp_f32 v44, v44, v49
	s_wait_alu 0xfffd
	v_cndmask_b32_e32 v44, 0, v44, vcc_lo
	v_cmp_nlt_f32_e32 vcc_lo, 0x42b17218, v40
	s_wait_alu 0xfffd
	s_delay_alu instid0(VALU_DEP_2) | instskip(SKIP_2) | instid1(VALU_DEP_3)
	v_cndmask_b32_e32 v40, 0x7f800000, v44, vcc_lo
	v_mul_f32_e32 v44, 0x3fb8aa3b, v25
	v_cmp_ngt_f32_e32 vcc_lo, 0xc2ce8ed0, v25
	v_cvt_f16_f32_e32 v54, v40
	s_delay_alu instid0(VALU_DEP_3) | instskip(SKIP_1) | instid1(VALU_DEP_1)
	v_fma_f32 v49, 0x3fb8aa3b, v25, -v44
	v_rndne_f32_e32 v52, v44
	v_dual_fmac_f32 v49, 0x32a5705f, v25 :: v_dual_sub_f32 v44, v44, v52
	s_delay_alu instid0(VALU_DEP_1) | instskip(SKIP_1) | instid1(VALU_DEP_2)
	v_add_f32_e32 v44, v44, v49
	v_cvt_i32_f32_e32 v49, v52
	v_exp_f32_e32 v44, v44
	s_delay_alu instid0(TRANS32_DEP_1) | instskip(SKIP_1) | instid1(VALU_DEP_1)
	v_ldexp_f32 v44, v44, v49
	s_wait_alu 0xfffd
	v_cndmask_b32_e32 v44, 0, v44, vcc_lo
	v_cmp_nlt_f32_e32 vcc_lo, 0x42b17218, v25
	s_wait_alu 0xfffd
	s_delay_alu instid0(VALU_DEP_2) | instskip(NEXT) | instid1(VALU_DEP_1)
	v_cndmask_b32_e32 v44, 0x7f800000, v44, vcc_lo
	v_add_f32_e32 v25, v40, v44
	v_add_f32_e32 v24, v24, v32
	v_cvt_f16_f32_e32 v49, v44
	v_cvt_f16_f32_e32 v32, v32
	s_delay_alu instid0(VALU_DEP_3) | instskip(SKIP_1) | instid1(VALU_DEP_1)
	v_fmac_f32_e32 v24, v184, v28
	v_cvt_f16_f32_e32 v28, v28
	v_and_b32_e32 v28, 0xffff, v28
	s_delay_alu instid0(VALU_DEP_1) | instskip(NEXT) | instid1(VALU_DEP_1)
	v_mul_u32_u24_e32 v28, 0x10001, v28
	v_pk_mul_f16 v39, v155, v28
	v_sub_f32_e32 v28, v185, v1
	s_delay_alu instid0(VALU_DEP_1) | instskip(SKIP_1) | instid1(VALU_DEP_2)
	v_mul_f32_e32 v40, 0x3fb8aa3b, v28
	v_cmp_ngt_f32_e32 vcc_lo, 0xc2ce8ed0, v28
	v_fma_f32 v44, 0x3fb8aa3b, v28, -v40
	v_rndne_f32_e32 v52, v40
	s_delay_alu instid0(VALU_DEP_2) | instskip(NEXT) | instid1(VALU_DEP_2)
	v_fmac_f32_e32 v44, 0x32a5705f, v28
	v_sub_f32_e32 v40, v40, v52
	s_delay_alu instid0(VALU_DEP_1) | instskip(SKIP_1) | instid1(VALU_DEP_2)
	v_add_f32_e32 v40, v40, v44
	v_cvt_i32_f32_e32 v44, v52
	v_exp_f32_e32 v40, v40
	s_delay_alu instid0(TRANS32_DEP_1) | instskip(SKIP_2) | instid1(VALU_DEP_2)
	v_ldexp_f32 v40, v40, v44
	v_mul_f32_e32 v44, 0x3fb8aa3b, v41
	s_wait_alu 0xfffd
	v_cndmask_b32_e32 v40, 0, v40, vcc_lo
	s_delay_alu instid0(VALU_DEP_2) | instskip(SKIP_2) | instid1(VALU_DEP_3)
	v_fma_f32 v52, 0x3fb8aa3b, v41, -v44
	v_rndne_f32_e32 v55, v44
	v_cmp_nlt_f32_e32 vcc_lo, 0x42b17218, v28
	v_fmac_f32_e32 v52, 0x32a5705f, v41
	s_delay_alu instid0(VALU_DEP_3) | instskip(SKIP_3) | instid1(VALU_DEP_3)
	v_sub_f32_e32 v44, v44, v55
	s_wait_alu 0xfffd
	v_cndmask_b32_e32 v28, 0x7f800000, v40, vcc_lo
	v_cmp_ngt_f32_e32 vcc_lo, 0xc2ce8ed0, v41
	v_add_f32_e32 v44, v44, v52
	v_cvt_i32_f32_e32 v52, v55
	s_delay_alu instid0(VALU_DEP_4) | instskip(SKIP_1) | instid1(VALU_DEP_4)
	v_fmac_f32_e32 v25, v182, v28
	v_cvt_f16_f32_e32 v28, v28
	v_exp_f32_e32 v44, v44
	s_delay_alu instid0(VALU_DEP_1) | instskip(NEXT) | instid1(VALU_DEP_1)
	v_and_b32_e32 v28, 0xffff, v28
	v_mul_u32_u24_e32 v28, 0x10001, v28
	s_delay_alu instid0(TRANS32_DEP_1) | instskip(NEXT) | instid1(VALU_DEP_2)
	v_ldexp_f32 v44, v44, v52
	v_pk_mul_f16 v40, v154, v28
	v_sub_f32_e32 v28, v183, v2
	s_wait_alu 0xfffd
	s_delay_alu instid0(VALU_DEP_3) | instskip(SKIP_2) | instid1(VALU_DEP_2)
	v_cndmask_b32_e32 v44, 0, v44, vcc_lo
	v_cmp_nlt_f32_e32 vcc_lo, 0x42b17218, v41
	s_wait_alu 0xfffd
	v_cndmask_b32_e32 v41, 0x7f800000, v44, vcc_lo
	v_mul_f32_e32 v44, 0x3fb8aa3b, v26
	v_cmp_ngt_f32_e32 vcc_lo, 0xc2ce8ed0, v26
	s_delay_alu instid0(VALU_DEP_3) | instskip(NEXT) | instid1(VALU_DEP_3)
	v_cvt_f16_f32_e32 v56, v41
	v_fma_f32 v52, 0x3fb8aa3b, v26, -v44
	v_rndne_f32_e32 v55, v44
	s_delay_alu instid0(VALU_DEP_2) | instskip(NEXT) | instid1(VALU_DEP_2)
	v_fmac_f32_e32 v52, 0x32a5705f, v26
	v_sub_f32_e32 v44, v44, v55
	s_delay_alu instid0(VALU_DEP_1) | instskip(SKIP_1) | instid1(VALU_DEP_2)
	v_add_f32_e32 v44, v44, v52
	v_cvt_i32_f32_e32 v52, v55
	v_exp_f32_e32 v44, v44
	s_delay_alu instid0(TRANS32_DEP_1) | instskip(SKIP_1) | instid1(VALU_DEP_1)
	v_ldexp_f32 v44, v44, v52
	s_wait_alu 0xfffd
	v_cndmask_b32_e32 v44, 0, v44, vcc_lo
	v_cmp_nlt_f32_e32 vcc_lo, 0x42b17218, v26
	s_wait_alu 0xfffd
	s_delay_alu instid0(VALU_DEP_2) | instskip(SKIP_1) | instid1(VALU_DEP_2)
	v_cndmask_b32_e32 v44, 0x7f800000, v44, vcc_lo
	v_cmp_ngt_f32_e32 vcc_lo, 0xc2ce8ed0, v28
	v_add_f32_e32 v26, v41, v44
	v_mul_f32_e32 v41, 0x3fb8aa3b, v28
	v_cvt_f16_f32_e32 v52, v44
	s_delay_alu instid0(VALU_DEP_2) | instskip(SKIP_1) | instid1(VALU_DEP_1)
	v_fma_f32 v44, 0x3fb8aa3b, v28, -v41
	v_rndne_f32_e32 v55, v41
	v_dual_fmac_f32 v44, 0x32a5705f, v28 :: v_dual_sub_f32 v41, v41, v55
	s_delay_alu instid0(VALU_DEP_1) | instskip(SKIP_1) | instid1(VALU_DEP_2)
	v_add_f32_e32 v41, v41, v44
	v_cvt_i32_f32_e32 v44, v55
	v_exp_f32_e32 v41, v41
	s_delay_alu instid0(TRANS32_DEP_1) | instskip(SKIP_1) | instid1(VALU_DEP_1)
	v_ldexp_f32 v41, v41, v44
	s_wait_alu 0xfffd
	v_dual_mul_f32 v44, 0x3fb8aa3b, v42 :: v_dual_cndmask_b32 v41, 0, v41
	s_delay_alu instid0(VALU_DEP_1) | instskip(SKIP_2) | instid1(VALU_DEP_2)
	v_fma_f32 v55, 0x3fb8aa3b, v42, -v44
	v_rndne_f32_e32 v57, v44
	v_cmp_nlt_f32_e32 vcc_lo, 0x42b17218, v28
	v_dual_fmac_f32 v55, 0x32a5705f, v42 :: v_dual_sub_f32 v44, v44, v57
	s_wait_alu 0xfffd
	v_cndmask_b32_e32 v28, 0x7f800000, v41, vcc_lo
	v_cmp_ngt_f32_e32 vcc_lo, 0xc2ce8ed0, v42
	s_delay_alu instid0(VALU_DEP_3) | instskip(SKIP_1) | instid1(VALU_DEP_4)
	v_add_f32_e32 v44, v44, v55
	v_cvt_i32_f32_e32 v55, v57
	v_fmac_f32_e32 v26, v180, v28
	v_cvt_f16_f32_e32 v28, v28
	s_delay_alu instid0(VALU_DEP_4) | instskip(NEXT) | instid1(VALU_DEP_1)
	v_exp_f32_e32 v44, v44
	v_and_b32_e32 v28, 0xffff, v28
	s_delay_alu instid0(VALU_DEP_1) | instskip(NEXT) | instid1(TRANS32_DEP_1)
	v_mul_u32_u24_e32 v28, 0x10001, v28
	v_ldexp_f32 v44, v44, v55
	s_delay_alu instid0(VALU_DEP_2) | instskip(SKIP_2) | instid1(VALU_DEP_3)
	v_pk_mul_f16 v41, v153, v28
	v_sub_f32_e32 v28, v181, v3
	s_wait_alu 0xfffd
	v_cndmask_b32_e32 v44, 0, v44, vcc_lo
	v_cmp_nlt_f32_e32 vcc_lo, 0x42b17218, v42
	s_wait_alu 0xfffd
	s_delay_alu instid0(VALU_DEP_2) | instskip(SKIP_2) | instid1(VALU_DEP_3)
	v_cndmask_b32_e32 v42, 0x7f800000, v44, vcc_lo
	v_mul_f32_e32 v44, 0x3fb8aa3b, v27
	v_cmp_ngt_f32_e32 vcc_lo, 0xc2ce8ed0, v27
	v_cvt_f16_f32_e32 v57, v42
	s_delay_alu instid0(VALU_DEP_3) | instskip(SKIP_1) | instid1(VALU_DEP_3)
	v_fma_f32 v55, 0x3fb8aa3b, v27, -v44
	v_rndne_f32_e32 v58, v44
	v_pack_b32_f16 v57, v56, v57
	s_delay_alu instid0(VALU_DEP_2)
	v_dual_fmac_f32 v55, 0x32a5705f, v27 :: v_dual_sub_f32 v44, v44, v58
	v_pack_b32_f16 v56, v51, v54
	v_pack_b32_f16 v51, v32, v49
	v_sub_f32_e32 v49, v170, v8
	v_sub_f32_e32 v32, v48, v8
	v_add_f32_e32 v44, v44, v55
	v_cvt_i32_f32_e32 v55, v58
	s_delay_alu instid0(VALU_DEP_3) | instskip(NEXT) | instid1(VALU_DEP_3)
	v_mul_f32_e32 v48, 0x3fb8aa3b, v32
	v_exp_f32_e32 v44, v44
	s_delay_alu instid0(TRANS32_DEP_1) | instskip(SKIP_1) | instid1(VALU_DEP_1)
	v_ldexp_f32 v44, v44, v55
	s_wait_alu 0xfffd
	v_cndmask_b32_e32 v44, 0, v44, vcc_lo
	v_cmp_nlt_f32_e32 vcc_lo, 0x42b17218, v27
	s_wait_alu 0xfffd
	s_delay_alu instid0(VALU_DEP_2) | instskip(SKIP_1) | instid1(VALU_DEP_2)
	v_cndmask_b32_e32 v44, 0x7f800000, v44, vcc_lo
	v_cmp_ngt_f32_e32 vcc_lo, 0xc2ce8ed0, v28
	v_add_f32_e32 v27, v42, v44
	v_mul_f32_e32 v42, 0x3fb8aa3b, v28
	v_cvt_f16_f32_e32 v55, v44
	s_delay_alu instid0(VALU_DEP_2) | instskip(SKIP_1) | instid1(VALU_DEP_3)
	v_fma_f32 v44, 0x3fb8aa3b, v28, -v42
	v_rndne_f32_e32 v58, v42
	v_pack_b32_f16 v52, v52, v55
	s_delay_alu instid0(VALU_DEP_3) | instskip(NEXT) | instid1(VALU_DEP_3)
	v_fmac_f32_e32 v44, 0x32a5705f, v28
	v_sub_f32_e32 v42, v42, v58
	s_delay_alu instid0(VALU_DEP_1) | instskip(SKIP_1) | instid1(VALU_DEP_2)
	v_add_f32_e32 v42, v42, v44
	v_cvt_i32_f32_e32 v44, v58
	v_exp_f32_e32 v42, v42
	s_delay_alu instid0(TRANS32_DEP_1) | instskip(SKIP_2) | instid1(VALU_DEP_2)
	v_ldexp_f32 v42, v42, v44
	v_sub_f32_e32 v44, v179, v4
	s_wait_alu 0xfffd
	v_cndmask_b32_e32 v42, 0, v42, vcc_lo
	v_cmp_nlt_f32_e32 vcc_lo, 0x42b17218, v28
	s_wait_alu 0xfffd
	s_delay_alu instid0(VALU_DEP_2) | instskip(NEXT) | instid1(VALU_DEP_1)
	v_cndmask_b32_e32 v28, 0x7f800000, v42, vcc_lo
	v_fmac_f32_e32 v27, v178, v28
	v_cvt_f16_f32_e32 v28, v28
	s_delay_alu instid0(VALU_DEP_1) | instskip(NEXT) | instid1(VALU_DEP_1)
	v_and_b32_e32 v28, 0xffff, v28
	v_mul_u32_u24_e32 v28, 0x10001, v28
	s_delay_alu instid0(VALU_DEP_1) | instskip(SKIP_1) | instid1(VALU_DEP_1)
	v_pk_mul_f16 v42, v152, v28
	v_sub_f32_e32 v28, v53, v4
	v_mul_f32_e32 v53, 0x3fb8aa3b, v28
	v_cmp_ngt_f32_e32 vcc_lo, 0xc2ce8ed0, v28
	s_delay_alu instid0(VALU_DEP_2) | instskip(SKIP_1) | instid1(VALU_DEP_1)
	v_fma_f32 v58, 0x3fb8aa3b, v28, -v53
	v_rndne_f32_e32 v59, v53
	v_dual_fmac_f32 v58, 0x32a5705f, v28 :: v_dual_sub_f32 v53, v53, v59
	v_sub_f32_e32 v19, v19, v14
	v_sub_f32_e32 v18, v18, v14
	s_delay_alu instid0(VALU_DEP_3) | instskip(SKIP_2) | instid1(VALU_DEP_3)
	v_add_f32_e32 v53, v53, v58
	v_cvt_i32_f32_e32 v58, v59
	v_sub_f32_e32 v16, v16, v15
	v_exp_f32_e32 v53, v53
	s_delay_alu instid0(TRANS32_DEP_1) | instskip(SKIP_1) | instid1(VALU_DEP_1)
	v_ldexp_f32 v53, v53, v58
	s_wait_alu 0xfffd
	v_cndmask_b32_e32 v53, 0, v53, vcc_lo
	v_cmp_nlt_f32_e32 vcc_lo, 0x42b17218, v28
	s_wait_alu 0xfffd
	s_delay_alu instid0(VALU_DEP_2) | instskip(SKIP_2) | instid1(VALU_DEP_3)
	v_cndmask_b32_e32 v28, 0x7f800000, v53, vcc_lo
	v_mul_f32_e32 v53, 0x3fb8aa3b, v43
	v_cmp_ngt_f32_e32 vcc_lo, 0xc2ce8ed0, v43
	v_cvt_f16_f32_e32 v58, v28
	s_delay_alu instid0(VALU_DEP_3) | instskip(SKIP_1) | instid1(VALU_DEP_2)
	v_fma_f32 v59, 0x3fb8aa3b, v43, -v53
	v_rndne_f32_e32 v60, v53
	v_fmac_f32_e32 v59, 0x32a5705f, v43
	s_delay_alu instid0(VALU_DEP_2) | instskip(NEXT) | instid1(VALU_DEP_1)
	v_sub_f32_e32 v53, v53, v60
	v_add_f32_e32 v53, v53, v59
	v_cvt_i32_f32_e32 v59, v60
	s_delay_alu instid0(VALU_DEP_2) | instskip(NEXT) | instid1(TRANS32_DEP_1)
	v_exp_f32_e32 v53, v53
	v_ldexp_f32 v53, v53, v59
	s_wait_alu 0xfffd
	s_delay_alu instid0(VALU_DEP_1) | instskip(SKIP_2) | instid1(VALU_DEP_2)
	v_cndmask_b32_e32 v53, 0, v53, vcc_lo
	v_cmp_nlt_f32_e32 vcc_lo, 0x42b17218, v43
	s_wait_alu 0xfffd
	v_cndmask_b32_e32 v43, 0x7f800000, v53, vcc_lo
	v_cmp_ngt_f32_e32 vcc_lo, 0xc2ce8ed0, v44
	s_delay_alu instid0(VALU_DEP_2) | instskip(SKIP_2) | instid1(VALU_DEP_1)
	v_add_f32_e32 v28, v28, v43
	v_cvt_f16_f32_e32 v53, v43
	v_mul_f32_e32 v43, 0x3fb8aa3b, v44
	v_fma_f32 v59, 0x3fb8aa3b, v44, -v43
	v_rndne_f32_e32 v60, v43
	s_delay_alu instid0(VALU_DEP_2) | instskip(NEXT) | instid1(VALU_DEP_2)
	v_fmac_f32_e32 v59, 0x32a5705f, v44
	v_sub_f32_e32 v43, v43, v60
	s_delay_alu instid0(VALU_DEP_1) | instskip(SKIP_1) | instid1(VALU_DEP_2)
	v_add_f32_e32 v43, v43, v59
	v_cvt_i32_f32_e32 v59, v60
	v_exp_f32_e32 v43, v43
	s_delay_alu instid0(TRANS32_DEP_1) | instskip(SKIP_2) | instid1(VALU_DEP_2)
	v_ldexp_f32 v43, v43, v59
	v_mul_f32_e32 v59, 0x3fb8aa3b, v50
	s_wait_alu 0xfffd
	v_cndmask_b32_e32 v43, 0, v43, vcc_lo
	s_delay_alu instid0(VALU_DEP_2) | instskip(SKIP_3) | instid1(VALU_DEP_3)
	v_fma_f32 v60, 0x3fb8aa3b, v50, -v59
	v_rndne_f32_e32 v61, v59
	v_cmp_nlt_f32_e32 vcc_lo, 0x42b17218, v44
	v_sub_f32_e32 v44, v177, v5
	v_dual_fmac_f32 v60, 0x32a5705f, v50 :: v_dual_sub_f32 v59, v59, v61
	s_wait_alu 0xfffd
	v_cndmask_b32_e32 v43, 0x7f800000, v43, vcc_lo
	v_cmp_ngt_f32_e32 vcc_lo, 0xc2ce8ed0, v50
	s_delay_alu instid0(VALU_DEP_3) | instskip(SKIP_1) | instid1(VALU_DEP_2)
	v_add_f32_e32 v59, v59, v60
	v_cvt_i32_f32_e32 v60, v61
	v_exp_f32_e32 v59, v59
	s_delay_alu instid0(TRANS32_DEP_1) | instskip(SKIP_1) | instid1(VALU_DEP_1)
	v_ldexp_f32 v59, v59, v60
	s_wait_alu 0xfffd
	v_cndmask_b32_e32 v59, 0, v59, vcc_lo
	v_cmp_nlt_f32_e32 vcc_lo, 0x42b17218, v50
	s_wait_alu 0xfffd
	s_delay_alu instid0(VALU_DEP_2) | instskip(SKIP_2) | instid1(VALU_DEP_3)
	v_cndmask_b32_e32 v50, 0x7f800000, v59, vcc_lo
	v_mul_f32_e32 v59, 0x3fb8aa3b, v29
	v_cmp_ngt_f32_e32 vcc_lo, 0xc2ce8ed0, v29
	v_cvt_f16_f32_e32 v60, v50
	s_delay_alu instid0(VALU_DEP_3) | instskip(SKIP_1) | instid1(VALU_DEP_3)
	v_fma_f32 v61, 0x3fb8aa3b, v29, -v59
	v_rndne_f32_e32 v62, v59
	v_pack_b32_f16 v58, v58, v60
	s_delay_alu instid0(VALU_DEP_3) | instskip(NEXT) | instid1(VALU_DEP_3)
	v_fmac_f32_e32 v61, 0x32a5705f, v29
	v_sub_f32_e32 v59, v59, v62
	s_delay_alu instid0(VALU_DEP_1) | instskip(SKIP_1) | instid1(VALU_DEP_2)
	v_add_f32_e32 v59, v59, v61
	v_cvt_i32_f32_e32 v61, v62
	v_exp_f32_e32 v59, v59
	s_delay_alu instid0(TRANS32_DEP_1) | instskip(SKIP_1) | instid1(VALU_DEP_1)
	v_ldexp_f32 v59, v59, v61
	s_wait_alu 0xfffd
	v_cndmask_b32_e32 v59, 0, v59, vcc_lo
	v_cmp_nlt_f32_e32 vcc_lo, 0x42b17218, v29
	s_wait_alu 0xfffd
	s_delay_alu instid0(VALU_DEP_2) | instskip(SKIP_1) | instid1(VALU_DEP_2)
	v_cndmask_b32_e32 v59, 0x7f800000, v59, vcc_lo
	v_cmp_ngt_f32_e32 vcc_lo, 0xc2ce8ed0, v44
	v_add_f32_e32 v29, v50, v59
	v_cvt_f16_f32_e32 v50, v59
	v_mul_f32_e32 v59, 0x3fb8aa3b, v44
	s_delay_alu instid0(VALU_DEP_2) | instskip(NEXT) | instid1(VALU_DEP_2)
	v_pack_b32_f16 v53, v53, v50
	v_fma_f32 v61, 0x3fb8aa3b, v44, -v59
	v_rndne_f32_e32 v62, v59
	v_fma_f32 v50, 0x3fb8aa3b, v32, -v48
	s_delay_alu instid0(VALU_DEP_3) | instskip(NEXT) | instid1(VALU_DEP_2)
	v_fmac_f32_e32 v61, 0x32a5705f, v44
	v_dual_sub_f32 v59, v59, v62 :: v_dual_fmac_f32 v50, 0x32a5705f, v32
	s_delay_alu instid0(VALU_DEP_1) | instskip(SKIP_1) | instid1(VALU_DEP_2)
	v_add_f32_e32 v59, v59, v61
	v_cvt_i32_f32_e32 v61, v62
	v_exp_f32_e32 v59, v59
	s_delay_alu instid0(TRANS32_DEP_1) | instskip(SKIP_2) | instid1(VALU_DEP_2)
	v_ldexp_f32 v59, v59, v61
	v_mul_f32_e32 v61, 0x3fb8aa3b, v45
	s_wait_alu 0xfffd
	v_cndmask_b32_e32 v59, 0, v59, vcc_lo
	s_delay_alu instid0(VALU_DEP_2) | instskip(SKIP_2) | instid1(VALU_DEP_2)
	v_fma_f32 v62, 0x3fb8aa3b, v45, -v61
	v_rndne_f32_e32 v63, v61
	v_cmp_nlt_f32_e32 vcc_lo, 0x42b17218, v44
	v_dual_fmac_f32 v62, 0x32a5705f, v45 :: v_dual_sub_f32 v61, v61, v63
	s_wait_alu 0xfffd
	v_cndmask_b32_e32 v44, 0x7f800000, v59, vcc_lo
	v_cmp_ngt_f32_e32 vcc_lo, 0xc2ce8ed0, v45
	v_sub_f32_e32 v59, v175, v6
	v_add_f32_e32 v61, v61, v62
	v_cvt_i32_f32_e32 v62, v63
	s_delay_alu instid0(VALU_DEP_2) | instskip(NEXT) | instid1(TRANS32_DEP_1)
	v_exp_f32_e32 v61, v61
	v_ldexp_f32 v61, v61, v62
	s_wait_alu 0xfffd
	s_delay_alu instid0(VALU_DEP_1) | instskip(NEXT) | instid1(VALU_DEP_1)
	v_dual_mul_f32 v62, 0x3fb8aa3b, v30 :: v_dual_cndmask_b32 v61, 0, v61
	v_fma_f32 v63, 0x3fb8aa3b, v30, -v62
	v_rndne_f32_e32 v80, v62
	v_cmp_nlt_f32_e32 vcc_lo, 0x42b17218, v45
	s_delay_alu instid0(VALU_DEP_2) | instskip(SKIP_3) | instid1(VALU_DEP_3)
	v_dual_fmac_f32 v63, 0x32a5705f, v30 :: v_dual_sub_f32 v62, v62, v80
	s_wait_alu 0xfffd
	v_cndmask_b32_e32 v45, 0x7f800000, v61, vcc_lo
	v_cmp_ngt_f32_e32 vcc_lo, 0xc2ce8ed0, v30
	v_add_f32_e32 v62, v62, v63
	v_cvt_i32_f32_e32 v63, v80
	s_delay_alu instid0(VALU_DEP_4) | instskip(NEXT) | instid1(VALU_DEP_3)
	v_cvt_f16_f32_e32 v61, v45
	v_exp_f32_e32 v62, v62
	s_delay_alu instid0(TRANS32_DEP_1) | instskip(SKIP_1) | instid1(VALU_DEP_1)
	v_ldexp_f32 v62, v62, v63
	s_wait_alu 0xfffd
	v_cndmask_b32_e32 v62, 0, v62, vcc_lo
	v_cmp_nlt_f32_e32 vcc_lo, 0x42b17218, v30
	s_wait_alu 0xfffd
	s_delay_alu instid0(VALU_DEP_2) | instskip(SKIP_1) | instid1(VALU_DEP_2)
	v_cndmask_b32_e32 v62, 0x7f800000, v62, vcc_lo
	v_cmp_ngt_f32_e32 vcc_lo, 0xc2ce8ed0, v59
	v_dual_add_f32 v30, v45, v62 :: v_dual_mul_f32 v45, 0x3fb8aa3b, v59
	v_cvt_f16_f32_e32 v62, v62
	s_delay_alu instid0(VALU_DEP_2) | instskip(SKIP_1) | instid1(VALU_DEP_2)
	v_fma_f32 v63, 0x3fb8aa3b, v59, -v45
	v_rndne_f32_e32 v80, v45
	v_fmac_f32_e32 v63, 0x32a5705f, v59
	s_delay_alu instid0(VALU_DEP_2) | instskip(NEXT) | instid1(VALU_DEP_1)
	v_sub_f32_e32 v45, v45, v80
	v_add_f32_e32 v45, v45, v63
	v_cvt_i32_f32_e32 v63, v80
	s_delay_alu instid0(VALU_DEP_2) | instskip(NEXT) | instid1(TRANS32_DEP_1)
	v_exp_f32_e32 v45, v45
	v_ldexp_f32 v45, v45, v63
	v_mul_f32_e32 v63, 0x3fb8aa3b, v46
	s_wait_alu 0xfffd
	s_delay_alu instid0(VALU_DEP_2) | instskip(NEXT) | instid1(VALU_DEP_2)
	v_cndmask_b32_e32 v45, 0, v45, vcc_lo
	v_fma_f32 v80, 0x3fb8aa3b, v46, -v63
	v_rndne_f32_e32 v81, v63
	v_cmp_nlt_f32_e32 vcc_lo, 0x42b17218, v59
	s_delay_alu instid0(VALU_DEP_3) | instskip(NEXT) | instid1(VALU_DEP_3)
	v_dual_sub_f32 v59, v173, v7 :: v_dual_fmac_f32 v80, 0x32a5705f, v46
	v_sub_f32_e32 v63, v63, v81
	s_wait_alu 0xfffd
	v_cndmask_b32_e32 v45, 0x7f800000, v45, vcc_lo
	v_cmp_ngt_f32_e32 vcc_lo, 0xc2ce8ed0, v46
	s_delay_alu instid0(VALU_DEP_3) | instskip(SKIP_1) | instid1(VALU_DEP_2)
	v_add_f32_e32 v63, v63, v80
	v_cvt_i32_f32_e32 v80, v81
	v_exp_f32_e32 v63, v63
	s_delay_alu instid0(TRANS32_DEP_1) | instskip(SKIP_2) | instid1(VALU_DEP_2)
	v_ldexp_f32 v63, v63, v80
	v_mul_f32_e32 v80, 0x3fb8aa3b, v31
	s_wait_alu 0xfffd
	v_cndmask_b32_e32 v63, 0, v63, vcc_lo
	s_delay_alu instid0(VALU_DEP_2) | instskip(SKIP_2) | instid1(VALU_DEP_2)
	v_fma_f32 v81, 0x3fb8aa3b, v31, -v80
	v_rndne_f32_e32 v82, v80
	v_cmp_nlt_f32_e32 vcc_lo, 0x42b17218, v46
	v_dual_fmac_f32 v81, 0x32a5705f, v31 :: v_dual_sub_f32 v80, v80, v82
	s_wait_alu 0xfffd
	v_cndmask_b32_e32 v46, 0x7f800000, v63, vcc_lo
	v_cmp_ngt_f32_e32 vcc_lo, 0xc2ce8ed0, v31
	s_delay_alu instid0(VALU_DEP_3) | instskip(SKIP_1) | instid1(VALU_DEP_4)
	v_add_f32_e32 v80, v80, v81
	v_cvt_i32_f32_e32 v81, v82
	v_cvt_f16_f32_e32 v63, v46
	s_delay_alu instid0(VALU_DEP_3) | instskip(NEXT) | instid1(TRANS32_DEP_1)
	v_exp_f32_e32 v80, v80
	v_ldexp_f32 v80, v80, v81
	s_wait_alu 0xfffd
	s_delay_alu instid0(VALU_DEP_1) | instskip(SKIP_2) | instid1(VALU_DEP_2)
	v_cndmask_b32_e32 v80, 0, v80, vcc_lo
	v_cmp_nlt_f32_e32 vcc_lo, 0x42b17218, v31
	s_wait_alu 0xfffd
	v_cndmask_b32_e32 v80, 0x7f800000, v80, vcc_lo
	v_cmp_ngt_f32_e32 vcc_lo, 0xc2ce8ed0, v59
	s_delay_alu instid0(VALU_DEP_2) | instskip(SKIP_1) | instid1(VALU_DEP_2)
	v_dual_add_f32 v31, v46, v80 :: v_dual_mul_f32 v46, 0x3fb8aa3b, v59
	v_cvt_f16_f32_e32 v80, v80
	v_fma_f32 v81, 0x3fb8aa3b, v59, -v46
	v_rndne_f32_e32 v82, v46
	s_delay_alu instid0(VALU_DEP_3) | instskip(NEXT) | instid1(VALU_DEP_2)
	v_pack_b32_f16 v54, v62, v80
	v_dual_fmac_f32 v81, 0x32a5705f, v59 :: v_dual_sub_f32 v46, v46, v82
	ds_store_b128 v132, v[51:54] offset:512
	v_rndne_f32_e32 v51, v48
	v_add_f32_e32 v46, v46, v81
	v_cvt_i32_f32_e32 v81, v82
	s_delay_alu instid0(VALU_DEP_3) | instskip(NEXT) | instid1(VALU_DEP_3)
	v_sub_f32_e32 v48, v48, v51
	v_exp_f32_e32 v46, v46
	s_delay_alu instid0(VALU_DEP_1) | instskip(SKIP_1) | instid1(VALU_DEP_2)
	v_add_f32_e32 v48, v48, v50
	v_cvt_i32_f32_e32 v50, v51
	v_exp_f32_e32 v48, v48
	s_delay_alu instid0(TRANS32_DEP_2) | instskip(SKIP_1) | instid1(VALU_DEP_1)
	v_ldexp_f32 v46, v46, v81
	s_wait_alu 0xfffd
	v_cndmask_b32_e32 v46, 0, v46, vcc_lo
	v_cmp_nlt_f32_e32 vcc_lo, 0x42b17218, v59
	v_pack_b32_f16 v59, v61, v63
	s_delay_alu instid0(TRANS32_DEP_1)
	v_ldexp_f32 v48, v48, v50
	s_wait_alu 0xfffd
	v_cndmask_b32_e32 v46, 0x7f800000, v46, vcc_lo
	ds_store_b128 v132, v[56:59]
	v_cmp_ngt_f32_e32 vcc_lo, 0xc2ce8ed0, v32
	s_wait_alu 0xfffd
	v_cndmask_b32_e32 v48, 0, v48, vcc_lo
	v_cmp_nlt_f32_e32 vcc_lo, 0x42b17218, v32
	s_wait_alu 0xfffd
	s_delay_alu instid0(VALU_DEP_2) | instskip(SKIP_2) | instid1(VALU_DEP_3)
	v_cndmask_b32_e32 v32, 0x7f800000, v48, vcc_lo
	v_mul_f32_e32 v48, 0x3fb8aa3b, v47
	v_cmp_ngt_f32_e32 vcc_lo, 0xc2ce8ed0, v47
	v_cvt_f16_f32_e32 v57, v32
	s_delay_alu instid0(VALU_DEP_3) | instskip(SKIP_1) | instid1(VALU_DEP_2)
	v_fma_f32 v50, 0x3fb8aa3b, v47, -v48
	v_rndne_f32_e32 v51, v48
	v_fmac_f32_e32 v50, 0x32a5705f, v47
	s_delay_alu instid0(VALU_DEP_2) | instskip(NEXT) | instid1(VALU_DEP_1)
	v_sub_f32_e32 v48, v48, v51
	v_add_f32_e32 v48, v48, v50
	v_cvt_i32_f32_e32 v50, v51
	s_delay_alu instid0(VALU_DEP_2) | instskip(NEXT) | instid1(TRANS32_DEP_1)
	v_exp_f32_e32 v48, v48
	v_ldexp_f32 v48, v48, v50
	s_wait_alu 0xfffd
	s_delay_alu instid0(VALU_DEP_1) | instskip(SKIP_2) | instid1(VALU_DEP_2)
	v_cndmask_b32_e32 v48, 0, v48, vcc_lo
	v_cmp_nlt_f32_e32 vcc_lo, 0x42b17218, v47
	s_wait_alu 0xfffd
	v_cndmask_b32_e32 v47, 0x7f800000, v48, vcc_lo
	v_cmp_ngt_f32_e32 vcc_lo, 0xc2ce8ed0, v49
	v_fmac_f32_e32 v28, v176, v43
	v_cvt_f16_f32_e32 v43, v43
	s_delay_alu instid0(VALU_DEP_4) | instskip(SKIP_2) | instid1(VALU_DEP_4)
	v_add_f32_e32 v32, v32, v47
	v_cvt_f16_f32_e32 v55, v47
	v_mul_f32_e32 v47, 0x3fb8aa3b, v49
	v_and_b32_e32 v43, 0xffff, v43
	s_delay_alu instid0(VALU_DEP_2) | instskip(SKIP_1) | instid1(VALU_DEP_3)
	v_fma_f32 v48, 0x3fb8aa3b, v49, -v47
	v_rndne_f32_e32 v50, v47
	v_mul_u32_u24_e32 v43, 0x10001, v43
	s_delay_alu instid0(VALU_DEP_2) | instskip(NEXT) | instid1(VALU_DEP_2)
	v_dual_fmac_f32 v48, 0x32a5705f, v49 :: v_dual_sub_f32 v47, v47, v50
	v_pk_mul_f16 v43, v151, v43
	s_delay_alu instid0(VALU_DEP_2) | instskip(SKIP_1) | instid1(VALU_DEP_2)
	v_add_f32_e32 v47, v47, v48
	v_cvt_i32_f32_e32 v48, v50
	v_exp_f32_e32 v47, v47
	s_delay_alu instid0(TRANS32_DEP_1) | instskip(SKIP_1) | instid1(VALU_DEP_1)
	v_ldexp_f32 v47, v47, v48
	s_wait_alu 0xfffd
	v_dual_sub_f32 v48, v169, v9 :: v_dual_cndmask_b32 v47, 0, v47
	v_cmp_nlt_f32_e32 vcc_lo, 0x42b17218, v49
	v_mul_f32_e32 v49, 0x3fb8aa3b, v38
	s_wait_alu 0xfffd
	s_delay_alu instid0(VALU_DEP_3) | instskip(NEXT) | instid1(VALU_DEP_2)
	v_cndmask_b32_e32 v47, 0x7f800000, v47, vcc_lo
	v_fma_f32 v50, 0x3fb8aa3b, v38, -v49
	v_rndne_f32_e32 v51, v49
	v_cmp_ngt_f32_e32 vcc_lo, 0xc2ce8ed0, v38
	s_delay_alu instid0(VALU_DEP_2) | instskip(NEXT) | instid1(VALU_DEP_1)
	v_dual_fmac_f32 v50, 0x32a5705f, v38 :: v_dual_sub_f32 v49, v49, v51
	v_add_f32_e32 v49, v49, v50
	v_cvt_i32_f32_e32 v50, v51
	s_delay_alu instid0(VALU_DEP_2) | instskip(NEXT) | instid1(TRANS32_DEP_1)
	v_exp_f32_e32 v49, v49
	v_ldexp_f32 v49, v49, v50
	s_wait_alu 0xfffd
	s_delay_alu instid0(VALU_DEP_1) | instskip(SKIP_2) | instid1(VALU_DEP_2)
	v_cndmask_b32_e32 v49, 0, v49, vcc_lo
	v_cmp_nlt_f32_e32 vcc_lo, 0x42b17218, v38
	s_wait_alu 0xfffd
	v_cndmask_b32_e32 v38, 0x7f800000, v49, vcc_lo
	v_mul_f32_e32 v49, 0x3fb8aa3b, v33
	v_cmp_ngt_f32_e32 vcc_lo, 0xc2ce8ed0, v33
	s_delay_alu instid0(VALU_DEP_3) | instskip(NEXT) | instid1(VALU_DEP_3)
	v_cvt_f16_f32_e32 v59, v38
	v_fma_f32 v50, 0x3fb8aa3b, v33, -v49
	v_rndne_f32_e32 v51, v49
	s_delay_alu instid0(VALU_DEP_1) | instskip(NEXT) | instid1(VALU_DEP_1)
	v_dual_fmac_f32 v50, 0x32a5705f, v33 :: v_dual_sub_f32 v49, v49, v51
	v_add_f32_e32 v49, v49, v50
	v_cvt_i32_f32_e32 v50, v51
	v_fmac_f32_e32 v29, v174, v44
	v_cvt_f16_f32_e32 v44, v44
	s_delay_alu instid0(VALU_DEP_4) | instskip(NEXT) | instid1(TRANS32_DEP_1)
	v_exp_f32_e32 v49, v49
	v_ldexp_f32 v49, v49, v50
	s_wait_alu 0xfffd
	s_delay_alu instid0(VALU_DEP_1) | instskip(SKIP_2) | instid1(VALU_DEP_2)
	v_cndmask_b32_e32 v49, 0, v49, vcc_lo
	v_cmp_nlt_f32_e32 vcc_lo, 0x42b17218, v33
	s_wait_alu 0xfffd
	v_cndmask_b32_e32 v49, 0x7f800000, v49, vcc_lo
	v_cmp_ngt_f32_e32 vcc_lo, 0xc2ce8ed0, v48
	s_delay_alu instid0(VALU_DEP_2) | instskip(SKIP_1) | instid1(VALU_DEP_2)
	v_dual_add_f32 v33, v38, v49 :: v_dual_mul_f32 v38, 0x3fb8aa3b, v48
	v_cvt_f16_f32_e32 v56, v49
	v_fma_f32 v49, 0x3fb8aa3b, v48, -v38
	v_rndne_f32_e32 v50, v38
	s_delay_alu instid0(VALU_DEP_1) | instskip(NEXT) | instid1(VALU_DEP_1)
	v_dual_fmac_f32 v49, 0x32a5705f, v48 :: v_dual_sub_f32 v38, v38, v50
	v_add_f32_e32 v38, v38, v49
	v_cvt_i32_f32_e32 v49, v50
	s_delay_alu instid0(VALU_DEP_2) | instskip(NEXT) | instid1(TRANS32_DEP_1)
	v_exp_f32_e32 v38, v38
	v_ldexp_f32 v38, v38, v49
	s_wait_alu 0xfffd
	s_delay_alu instid0(VALU_DEP_1) | instskip(NEXT) | instid1(VALU_DEP_1)
	v_dual_mul_f32 v49, 0x3fb8aa3b, v37 :: v_dual_cndmask_b32 v38, 0, v38
	v_fma_f32 v50, 0x3fb8aa3b, v37, -v49
	v_rndne_f32_e32 v51, v49
	v_cmp_nlt_f32_e32 vcc_lo, 0x42b17218, v48
	s_delay_alu instid0(VALU_DEP_2) | instskip(SKIP_3) | instid1(VALU_DEP_3)
	v_dual_fmac_f32 v50, 0x32a5705f, v37 :: v_dual_sub_f32 v49, v49, v51
	s_wait_alu 0xfffd
	v_cndmask_b32_e32 v38, 0x7f800000, v38, vcc_lo
	v_cmp_ngt_f32_e32 vcc_lo, 0xc2ce8ed0, v37
	v_dual_add_f32 v49, v49, v50 :: v_dual_and_b32 v44, 0xffff, v44
	v_cvt_i32_f32_e32 v50, v51
	s_delay_alu instid0(VALU_DEP_4) | instskip(SKIP_1) | instid1(VALU_DEP_4)
	v_fmac_f32_e32 v33, v166, v38
	v_cvt_f16_f32_e32 v38, v38
	v_mul_u32_u24_e32 v44, 0x10001, v44
	v_exp_f32_e32 v49, v49
	s_delay_alu instid0(VALU_DEP_2) | instskip(NEXT) | instid1(VALU_DEP_2)
	v_and_b32_e32 v38, 0xffff, v38
	v_pk_mul_f16 v44, v150, v44
	s_delay_alu instid0(VALU_DEP_2) | instskip(NEXT) | instid1(TRANS32_DEP_1)
	v_mul_u32_u24_e32 v38, 0x10001, v38
	v_ldexp_f32 v49, v49, v50
	s_delay_alu instid0(VALU_DEP_2) | instskip(SKIP_1) | instid1(VALU_DEP_2)
	v_pk_mul_f16 v48, v146, v38
	s_wait_alu 0xfffd
	v_dual_sub_f32 v38, v167, v10 :: v_dual_cndmask_b32 v49, 0, v49
	v_cmp_nlt_f32_e32 vcc_lo, 0x42b17218, v37
	s_wait_alu 0xfffd
	s_delay_alu instid0(VALU_DEP_2) | instskip(SKIP_3) | instid1(VALU_DEP_4)
	v_cndmask_b32_e32 v37, 0x7f800000, v49, vcc_lo
	v_dual_fmac_f32 v30, v172, v45 :: v_dual_mul_f32 v49, 0x3fb8aa3b, v34
	v_cmp_ngt_f32_e32 vcc_lo, 0xc2ce8ed0, v34
	v_cvt_f16_f32_e32 v45, v45
	v_cvt_f16_f32_e32 v61, v37
	s_delay_alu instid0(VALU_DEP_4) | instskip(SKIP_1) | instid1(VALU_DEP_4)
	v_fma_f32 v50, 0x3fb8aa3b, v34, -v49
	v_rndne_f32_e32 v51, v49
	v_and_b32_e32 v45, 0xffff, v45
	s_delay_alu instid0(VALU_DEP_2) | instskip(NEXT) | instid1(VALU_DEP_2)
	v_dual_fmac_f32 v50, 0x32a5705f, v34 :: v_dual_sub_f32 v49, v49, v51
	v_mul_u32_u24_e32 v45, 0x10001, v45
	s_delay_alu instid0(VALU_DEP_2) | instskip(SKIP_1) | instid1(VALU_DEP_3)
	v_add_f32_e32 v49, v49, v50
	v_cvt_i32_f32_e32 v50, v51
	v_pk_mul_f16 v45, v149, v45
	s_delay_alu instid0(VALU_DEP_3) | instskip(NEXT) | instid1(TRANS32_DEP_1)
	v_exp_f32_e32 v49, v49
	v_ldexp_f32 v49, v49, v50
	s_wait_alu 0xfffd
	s_delay_alu instid0(VALU_DEP_1) | instskip(SKIP_2) | instid1(VALU_DEP_2)
	v_cndmask_b32_e32 v49, 0, v49, vcc_lo
	v_cmp_nlt_f32_e32 vcc_lo, 0x42b17218, v34
	s_wait_alu 0xfffd
	v_cndmask_b32_e32 v49, 0x7f800000, v49, vcc_lo
	v_cmp_ngt_f32_e32 vcc_lo, 0xc2ce8ed0, v38
	s_delay_alu instid0(VALU_DEP_2) | instskip(SKIP_1) | instid1(VALU_DEP_2)
	v_dual_add_f32 v34, v37, v49 :: v_dual_mul_f32 v37, 0x3fb8aa3b, v38
	v_cvt_f16_f32_e32 v58, v49
	v_fma_f32 v49, 0x3fb8aa3b, v38, -v37
	v_rndne_f32_e32 v50, v37
	s_delay_alu instid0(VALU_DEP_2) | instskip(NEXT) | instid1(VALU_DEP_2)
	v_fmac_f32_e32 v49, 0x32a5705f, v38
	v_sub_f32_e32 v37, v37, v50
	s_delay_alu instid0(VALU_DEP_1) | instskip(SKIP_1) | instid1(VALU_DEP_2)
	v_add_f32_e32 v37, v37, v49
	v_cvt_i32_f32_e32 v49, v50
	v_exp_f32_e32 v37, v37
	s_delay_alu instid0(TRANS32_DEP_1) | instskip(SKIP_1) | instid1(VALU_DEP_1)
	v_ldexp_f32 v37, v37, v49
	s_wait_alu 0xfffd
	v_cndmask_b32_e32 v37, 0, v37, vcc_lo
	v_cmp_nlt_f32_e32 vcc_lo, 0x42b17218, v38
	v_mul_f32_e32 v38, 0x3fb8aa3b, v36
	s_wait_alu 0xfffd
	s_delay_alu instid0(VALU_DEP_3) | instskip(NEXT) | instid1(VALU_DEP_2)
	v_cndmask_b32_e32 v37, 0x7f800000, v37, vcc_lo
	v_fma_f32 v50, 0x3fb8aa3b, v36, -v38
	v_rndne_f32_e32 v51, v38
	v_cmp_ngt_f32_e32 vcc_lo, 0xc2ce8ed0, v36
	s_delay_alu instid0(VALU_DEP_4) | instskip(NEXT) | instid1(VALU_DEP_4)
	v_fmac_f32_e32 v34, v164, v37
	v_fmac_f32_e32 v50, 0x32a5705f, v36
	s_delay_alu instid0(VALU_DEP_4) | instskip(SKIP_1) | instid1(VALU_DEP_2)
	v_sub_f32_e32 v38, v38, v51
	v_cvt_f16_f32_e32 v37, v37
	v_add_f32_e32 v38, v38, v50
	v_cvt_i32_f32_e32 v50, v51
	s_delay_alu instid0(VALU_DEP_3) | instskip(NEXT) | instid1(VALU_DEP_3)
	v_and_b32_e32 v37, 0xffff, v37
	v_exp_f32_e32 v38, v38
	s_delay_alu instid0(VALU_DEP_1) | instskip(NEXT) | instid1(VALU_DEP_1)
	v_mul_u32_u24_e32 v37, 0x10001, v37
	v_pk_mul_f16 v49, v145, v37
	v_sub_f32_e32 v37, v165, v11
	s_delay_alu instid0(TRANS32_DEP_1) | instskip(SKIP_1) | instid1(VALU_DEP_1)
	v_ldexp_f32 v38, v38, v50
	s_wait_alu 0xfffd
	v_cndmask_b32_e32 v38, 0, v38, vcc_lo
	v_cmp_nlt_f32_e32 vcc_lo, 0x42b17218, v36
	s_wait_alu 0xfffd
	s_delay_alu instid0(VALU_DEP_2) | instskip(SKIP_2) | instid1(VALU_DEP_3)
	v_cndmask_b32_e32 v36, 0x7f800000, v38, vcc_lo
	v_mul_f32_e32 v38, 0x3fb8aa3b, v35
	v_cmp_ngt_f32_e32 vcc_lo, 0xc2ce8ed0, v35
	v_cvt_f16_f32_e32 v62, v36
	s_delay_alu instid0(VALU_DEP_3) | instskip(SKIP_1) | instid1(VALU_DEP_2)
	v_fma_f32 v50, 0x3fb8aa3b, v35, -v38
	v_rndne_f32_e32 v51, v38
	v_fmac_f32_e32 v50, 0x32a5705f, v35
	s_delay_alu instid0(VALU_DEP_2) | instskip(NEXT) | instid1(VALU_DEP_1)
	v_sub_f32_e32 v38, v38, v51
	v_add_f32_e32 v38, v38, v50
	v_cvt_i32_f32_e32 v50, v51
	s_delay_alu instid0(VALU_DEP_2) | instskip(NEXT) | instid1(TRANS32_DEP_1)
	v_exp_f32_e32 v38, v38
	v_ldexp_f32 v38, v38, v50
	s_wait_alu 0xfffd
	s_delay_alu instid0(VALU_DEP_1) | instskip(SKIP_2) | instid1(VALU_DEP_2)
	v_cndmask_b32_e32 v38, 0, v38, vcc_lo
	v_cmp_nlt_f32_e32 vcc_lo, 0x42b17218, v35
	s_wait_alu 0xfffd
	v_cndmask_b32_e32 v38, 0x7f800000, v38, vcc_lo
	v_cmp_ngt_f32_e32 vcc_lo, 0xc2ce8ed0, v37
	s_delay_alu instid0(VALU_DEP_2) | instskip(SKIP_1) | instid1(VALU_DEP_2)
	v_dual_add_f32 v35, v36, v38 :: v_dual_mul_f32 v36, 0x3fb8aa3b, v37
	v_cvt_f16_f32_e32 v60, v38
	v_fma_f32 v38, 0x3fb8aa3b, v37, -v36
	v_rndne_f32_e32 v50, v36
	s_delay_alu instid0(VALU_DEP_2) | instskip(NEXT) | instid1(VALU_DEP_2)
	v_fmac_f32_e32 v38, 0x32a5705f, v37
	v_sub_f32_e32 v36, v36, v50
	s_delay_alu instid0(VALU_DEP_1) | instskip(SKIP_1) | instid1(VALU_DEP_2)
	v_add_f32_e32 v36, v36, v38
	v_cvt_i32_f32_e32 v38, v50
	v_exp_f32_e32 v36, v36
	s_delay_alu instid0(TRANS32_DEP_1) | instskip(SKIP_1) | instid1(VALU_DEP_1)
	v_ldexp_f32 v36, v36, v38
	s_wait_alu 0xfffd
	v_cndmask_b32_e32 v36, 0, v36, vcc_lo
	v_cmp_nlt_f32_e32 vcc_lo, 0x42b17218, v37
	v_sub_f32_e32 v37, v163, v12
	s_wait_alu 0xfffd
	s_delay_alu instid0(VALU_DEP_3) | instskip(SKIP_1) | instid1(VALU_DEP_2)
	v_cndmask_b32_e32 v36, 0x7f800000, v36, vcc_lo
	v_cmp_ngt_f32_e32 vcc_lo, 0xc2ce8ed0, v23
	v_fmac_f32_e32 v35, v162, v36
	v_cvt_f16_f32_e32 v36, v36
	v_fmac_f32_e32 v31, v171, v46
	v_cvt_f16_f32_e32 v46, v46
	s_delay_alu instid0(VALU_DEP_3) | instskip(NEXT) | instid1(VALU_DEP_2)
	v_and_b32_e32 v36, 0xffff, v36
	v_and_b32_e32 v46, 0xffff, v46
	s_delay_alu instid0(VALU_DEP_2) | instskip(NEXT) | instid1(VALU_DEP_2)
	v_mul_u32_u24_e32 v36, 0x10001, v36
	v_mul_u32_u24_e32 v46, 0x10001, v46
	s_delay_alu instid0(VALU_DEP_2) | instskip(SKIP_1) | instid1(VALU_DEP_3)
	v_pk_mul_f16 v50, v144, v36
	v_mul_f32_e32 v36, 0x3fb8aa3b, v23
	v_pk_mul_f16 v46, v148, v46
	s_delay_alu instid0(VALU_DEP_2) | instskip(SKIP_1) | instid1(VALU_DEP_2)
	v_fma_f32 v38, 0x3fb8aa3b, v23, -v36
	v_rndne_f32_e32 v51, v36
	v_fmac_f32_e32 v38, 0x32a5705f, v23
	s_delay_alu instid0(VALU_DEP_2) | instskip(NEXT) | instid1(VALU_DEP_1)
	v_sub_f32_e32 v36, v36, v51
	v_add_f32_e32 v36, v36, v38
	v_cvt_i32_f32_e32 v38, v51
	s_delay_alu instid0(VALU_DEP_2) | instskip(NEXT) | instid1(TRANS32_DEP_1)
	v_exp_f32_e32 v36, v36
	v_ldexp_f32 v36, v36, v38
	s_wait_alu 0xfffd
	s_delay_alu instid0(VALU_DEP_1) | instskip(SKIP_2) | instid1(VALU_DEP_2)
	v_cndmask_b32_e32 v36, 0, v36, vcc_lo
	v_cmp_nlt_f32_e32 vcc_lo, 0x42b17218, v23
	s_wait_alu 0xfffd
	v_cndmask_b32_e32 v23, 0x7f800000, v36, vcc_lo
	v_mul_f32_e32 v36, 0x3fb8aa3b, v22
	v_cmp_ngt_f32_e32 vcc_lo, 0xc2ce8ed0, v22
	s_delay_alu instid0(VALU_DEP_3) | instskip(NEXT) | instid1(VALU_DEP_3)
	v_cvt_f16_f32_e32 v63, v23
	v_fma_f32 v38, 0x3fb8aa3b, v22, -v36
	v_rndne_f32_e32 v51, v36
	s_delay_alu instid0(VALU_DEP_2) | instskip(NEXT) | instid1(VALU_DEP_2)
	v_fmac_f32_e32 v38, 0x32a5705f, v22
	v_sub_f32_e32 v36, v36, v51
	s_delay_alu instid0(VALU_DEP_1) | instskip(SKIP_1) | instid1(VALU_DEP_2)
	v_add_f32_e32 v36, v36, v38
	v_cvt_i32_f32_e32 v38, v51
	v_exp_f32_e32 v36, v36
	s_delay_alu instid0(TRANS32_DEP_1) | instskip(SKIP_1) | instid1(VALU_DEP_1)
	v_ldexp_f32 v36, v36, v38
	s_wait_alu 0xfffd
	v_cndmask_b32_e32 v36, 0, v36, vcc_lo
	v_cmp_nlt_f32_e32 vcc_lo, 0x42b17218, v22
	s_wait_alu 0xfffd
	s_delay_alu instid0(VALU_DEP_2) | instskip(SKIP_1) | instid1(VALU_DEP_2)
	v_cndmask_b32_e32 v22, 0x7f800000, v36, vcc_lo
	v_cmp_ngt_f32_e32 vcc_lo, 0xc2ce8ed0, v37
	v_dual_add_f32 v36, v23, v22 :: v_dual_mul_f32 v23, 0x3fb8aa3b, v37
	v_cvt_f16_f32_e32 v22, v22
	s_delay_alu instid0(VALU_DEP_2) | instskip(SKIP_1) | instid1(VALU_DEP_1)
	v_fma_f32 v38, 0x3fb8aa3b, v37, -v23
	v_rndne_f32_e32 v51, v23
	v_dual_fmac_f32 v38, 0x32a5705f, v37 :: v_dual_sub_f32 v23, v23, v51
	s_delay_alu instid0(VALU_DEP_1) | instskip(SKIP_1) | instid1(VALU_DEP_2)
	v_add_f32_e32 v23, v23, v38
	v_cvt_i32_f32_e32 v38, v51
	v_exp_f32_e32 v23, v23
	s_delay_alu instid0(TRANS32_DEP_1) | instskip(SKIP_1) | instid1(VALU_DEP_1)
	v_ldexp_f32 v23, v23, v38
	s_wait_alu 0xfffd
	v_cndmask_b32_e32 v23, 0, v23, vcc_lo
	v_cmp_nlt_f32_e32 vcc_lo, 0x42b17218, v37
	v_mul_f32_e32 v37, 0x3fb8aa3b, v21
	s_wait_alu 0xfffd
	s_delay_alu instid0(VALU_DEP_3) | instskip(NEXT) | instid1(VALU_DEP_2)
	v_cndmask_b32_e32 v23, 0x7f800000, v23, vcc_lo
	v_fma_f32 v38, 0x3fb8aa3b, v21, -v37
	v_rndne_f32_e32 v52, v37
	v_cmp_ngt_f32_e32 vcc_lo, 0xc2ce8ed0, v21
	s_delay_alu instid0(VALU_DEP_4) | instskip(NEXT) | instid1(VALU_DEP_3)
	v_fmac_f32_e32 v36, v160, v23
	v_dual_fmac_f32 v38, 0x32a5705f, v21 :: v_dual_sub_f32 v37, v37, v52
	v_cvt_f16_f32_e32 v23, v23
	s_delay_alu instid0(VALU_DEP_2) | instskip(SKIP_1) | instid1(VALU_DEP_3)
	v_add_f32_e32 v37, v37, v38
	v_cvt_i32_f32_e32 v38, v52
	v_and_b32_e32 v23, 0xffff, v23
	s_delay_alu instid0(VALU_DEP_3) | instskip(NEXT) | instid1(VALU_DEP_1)
	v_exp_f32_e32 v37, v37
	v_mul_u32_u24_e32 v23, 0x10001, v23
	s_delay_alu instid0(VALU_DEP_1) | instskip(SKIP_1) | instid1(TRANS32_DEP_1)
	v_pk_mul_f16 v51, v143, v23
	v_sub_f32_e32 v23, v161, v13
	v_ldexp_f32 v37, v37, v38
	v_fmac_f32_e32 v32, v168, v47
	v_cvt_f16_f32_e32 v47, v47
	s_wait_alu 0xfffd
	s_delay_alu instid0(VALU_DEP_3) | instskip(SKIP_1) | instid1(VALU_DEP_3)
	v_cndmask_b32_e32 v37, 0, v37, vcc_lo
	v_cmp_nlt_f32_e32 vcc_lo, 0x42b17218, v21
	v_and_b32_e32 v47, 0xffff, v47
	s_wait_alu 0xfffd
	s_delay_alu instid0(VALU_DEP_3) | instskip(SKIP_3) | instid1(VALU_DEP_4)
	v_cndmask_b32_e32 v21, 0x7f800000, v37, vcc_lo
	v_mul_f32_e32 v37, 0x3fb8aa3b, v20
	v_cmp_ngt_f32_e32 vcc_lo, 0xc2ce8ed0, v20
	v_mul_u32_u24_e32 v47, 0x10001, v47
	v_cvt_f16_f32_e32 v80, v21
	s_delay_alu instid0(VALU_DEP_4) | instskip(SKIP_1) | instid1(VALU_DEP_4)
	v_fma_f32 v38, 0x3fb8aa3b, v20, -v37
	v_rndne_f32_e32 v52, v37
	v_pk_mul_f16 v47, v147, v47
	s_delay_alu instid0(VALU_DEP_3) | instskip(NEXT) | instid1(VALU_DEP_3)
	v_fmac_f32_e32 v38, 0x32a5705f, v20
	v_sub_f32_e32 v37, v37, v52
	s_delay_alu instid0(VALU_DEP_1) | instskip(SKIP_1) | instid1(VALU_DEP_2)
	v_add_f32_e32 v37, v37, v38
	v_cvt_i32_f32_e32 v38, v52
	v_exp_f32_e32 v37, v37
	s_delay_alu instid0(TRANS32_DEP_1) | instskip(SKIP_1) | instid1(VALU_DEP_1)
	v_ldexp_f32 v37, v37, v38
	s_wait_alu 0xfffd
	v_cndmask_b32_e32 v37, 0, v37, vcc_lo
	v_cmp_nlt_f32_e32 vcc_lo, 0x42b17218, v20
	s_wait_alu 0xfffd
	s_delay_alu instid0(VALU_DEP_2) | instskip(SKIP_1) | instid1(VALU_DEP_2)
	v_cndmask_b32_e32 v20, 0x7f800000, v37, vcc_lo
	v_cmp_ngt_f32_e32 vcc_lo, 0xc2ce8ed0, v23
	v_add_f32_e32 v37, v21, v20
	v_mul_f32_e32 v21, 0x3fb8aa3b, v23
	v_cvt_f16_f32_e32 v20, v20
	s_delay_alu instid0(VALU_DEP_2) | instskip(SKIP_1) | instid1(VALU_DEP_1)
	v_fma_f32 v38, 0x3fb8aa3b, v23, -v21
	v_rndne_f32_e32 v52, v21
	v_dual_fmac_f32 v38, 0x32a5705f, v23 :: v_dual_sub_f32 v21, v21, v52
	s_delay_alu instid0(VALU_DEP_1) | instskip(SKIP_1) | instid1(VALU_DEP_2)
	v_add_f32_e32 v21, v21, v38
	v_cvt_i32_f32_e32 v38, v52
	v_exp_f32_e32 v21, v21
	s_delay_alu instid0(TRANS32_DEP_1) | instskip(SKIP_1) | instid1(VALU_DEP_1)
	v_ldexp_f32 v21, v21, v38
	s_wait_alu 0xfffd
	v_cndmask_b32_e32 v21, 0, v21, vcc_lo
	v_cmp_nlt_f32_e32 vcc_lo, 0x42b17218, v23
	v_mul_f32_e32 v23, 0x3fb8aa3b, v19
	s_wait_alu 0xfffd
	s_delay_alu instid0(VALU_DEP_3) | instskip(NEXT) | instid1(VALU_DEP_2)
	v_cndmask_b32_e32 v21, 0x7f800000, v21, vcc_lo
	v_fma_f32 v38, 0x3fb8aa3b, v19, -v23
	v_rndne_f32_e32 v53, v23
	v_cmp_ngt_f32_e32 vcc_lo, 0xc2ce8ed0, v19
	s_delay_alu instid0(VALU_DEP_3) | instskip(NEXT) | instid1(VALU_DEP_3)
	v_dual_fmac_f32 v37, v158, v21 :: v_dual_fmac_f32 v38, 0x32a5705f, v19
	v_sub_f32_e32 v23, v23, v53
	v_cvt_f16_f32_e32 v21, v21
	s_delay_alu instid0(VALU_DEP_2) | instskip(SKIP_1) | instid1(VALU_DEP_3)
	v_add_f32_e32 v23, v23, v38
	v_cvt_i32_f32_e32 v38, v53
	v_and_b32_e32 v21, 0xffff, v21
	s_delay_alu instid0(VALU_DEP_3) | instskip(NEXT) | instid1(VALU_DEP_1)
	v_exp_f32_e32 v23, v23
	v_mul_u32_u24_e32 v21, 0x10001, v21
	s_delay_alu instid0(VALU_DEP_1) | instskip(SKIP_1) | instid1(TRANS32_DEP_1)
	v_pk_mul_f16 v52, v142, v21
	v_sub_f32_e32 v21, v159, v14
	v_ldexp_f32 v23, v23, v38
	s_wait_alu 0xfffd
	s_delay_alu instid0(VALU_DEP_1) | instskip(NEXT) | instid1(VALU_DEP_1)
	v_dual_mul_f32 v38, 0x3fb8aa3b, v18 :: v_dual_cndmask_b32 v23, 0, v23
	v_fma_f32 v53, 0x3fb8aa3b, v18, -v38
	v_rndne_f32_e32 v54, v38
	v_cmp_nlt_f32_e32 vcc_lo, 0x42b17218, v19
	s_delay_alu instid0(VALU_DEP_3) | instskip(SKIP_1) | instid1(VALU_DEP_3)
	v_fmac_f32_e32 v53, 0x32a5705f, v18
	s_wait_alu 0xfffd
	v_dual_sub_f32 v38, v38, v54 :: v_dual_cndmask_b32 v19, 0x7f800000, v23
	v_cmp_ngt_f32_e32 vcc_lo, 0xc2ce8ed0, v18
	s_delay_alu instid0(VALU_DEP_2) | instskip(SKIP_1) | instid1(VALU_DEP_4)
	v_add_f32_e32 v38, v38, v53
	v_cvt_i32_f32_e32 v53, v54
	v_cvt_f16_f32_e32 v23, v19
	s_delay_alu instid0(VALU_DEP_3) | instskip(NEXT) | instid1(TRANS32_DEP_1)
	v_exp_f32_e32 v38, v38
	v_ldexp_f32 v38, v38, v53
	s_wait_alu 0xfffd
	s_delay_alu instid0(VALU_DEP_1) | instskip(SKIP_2) | instid1(VALU_DEP_2)
	v_cndmask_b32_e32 v38, 0, v38, vcc_lo
	v_cmp_nlt_f32_e32 vcc_lo, 0x42b17218, v18
	s_wait_alu 0xfffd
	v_cndmask_b32_e32 v18, 0x7f800000, v38, vcc_lo
	v_cmp_ngt_f32_e32 vcc_lo, 0xc2ce8ed0, v21
	s_delay_alu instid0(VALU_DEP_2) | instskip(SKIP_2) | instid1(VALU_DEP_1)
	v_add_f32_e32 v38, v19, v18
	v_cvt_f16_f32_e32 v81, v18
	v_mul_f32_e32 v18, 0x3fb8aa3b, v21
	v_fma_f32 v19, 0x3fb8aa3b, v21, -v18
	v_rndne_f32_e32 v53, v18
	s_delay_alu instid0(VALU_DEP_2) | instskip(NEXT) | instid1(VALU_DEP_2)
	v_fmac_f32_e32 v19, 0x32a5705f, v21
	v_sub_f32_e32 v18, v18, v53
	s_delay_alu instid0(VALU_DEP_1) | instskip(SKIP_1) | instid1(VALU_DEP_2)
	v_add_f32_e32 v18, v18, v19
	v_cvt_i32_f32_e32 v19, v53
	v_exp_f32_e32 v18, v18
	s_delay_alu instid0(TRANS32_DEP_1) | instskip(SKIP_1) | instid1(VALU_DEP_1)
	v_ldexp_f32 v18, v18, v19
	s_wait_alu 0xfffd
	v_dual_mul_f32 v19, 0x3fb8aa3b, v17 :: v_dual_cndmask_b32 v18, 0, v18
	v_cmp_nlt_f32_e32 vcc_lo, 0x42b17218, v21
	s_delay_alu instid0(VALU_DEP_2) | instskip(SKIP_3) | instid1(VALU_DEP_3)
	v_fma_f32 v21, 0x3fb8aa3b, v17, -v19
	v_rndne_f32_e32 v54, v19
	s_wait_alu 0xfffd
	v_cndmask_b32_e32 v18, 0x7f800000, v18, vcc_lo
	v_fmac_f32_e32 v21, 0x32a5705f, v17
	s_delay_alu instid0(VALU_DEP_3) | instskip(SKIP_1) | instid1(VALU_DEP_4)
	v_sub_f32_e32 v19, v19, v54
	v_cmp_ngt_f32_e32 vcc_lo, 0xc2ce8ed0, v17
	v_fmac_f32_e32 v38, v156, v18
	v_cvt_f16_f32_e32 v18, v18
	s_delay_alu instid0(VALU_DEP_4) | instskip(SKIP_1) | instid1(VALU_DEP_3)
	v_add_f32_e32 v19, v19, v21
	v_cvt_i32_f32_e32 v21, v54
	v_and_b32_e32 v18, 0xffff, v18
	s_delay_alu instid0(VALU_DEP_3) | instskip(NEXT) | instid1(VALU_DEP_1)
	v_exp_f32_e32 v19, v19
	v_mul_u32_u24_e32 v18, 0x10001, v18
	s_delay_alu instid0(VALU_DEP_1) | instskip(NEXT) | instid1(TRANS32_DEP_1)
	v_pk_mul_f16 v53, v141, v18
	v_ldexp_f32 v19, v19, v21
	v_dual_mul_f32 v21, 0x3fb8aa3b, v16 :: v_dual_sub_f32 v18, v157, v15
	s_wait_alu 0xfffd
	s_delay_alu instid0(VALU_DEP_2) | instskip(NEXT) | instid1(VALU_DEP_2)
	v_cndmask_b32_e32 v19, 0, v19, vcc_lo
	v_fma_f32 v54, 0x3fb8aa3b, v16, -v21
	v_rndne_f32_e32 v82, v21
	v_cmp_nlt_f32_e32 vcc_lo, 0x42b17218, v17
	s_delay_alu instid0(VALU_DEP_2) | instskip(SKIP_3) | instid1(VALU_DEP_3)
	v_dual_fmac_f32 v54, 0x32a5705f, v16 :: v_dual_sub_f32 v21, v21, v82
	s_wait_alu 0xfffd
	v_cndmask_b32_e32 v17, 0x7f800000, v19, vcc_lo
	v_cmp_ngt_f32_e32 vcc_lo, 0xc2ce8ed0, v16
	v_add_f32_e32 v21, v21, v54
	v_cvt_i32_f32_e32 v54, v82
	s_delay_alu instid0(VALU_DEP_4) | instskip(NEXT) | instid1(VALU_DEP_3)
	v_cvt_f16_f32_e32 v19, v17
	v_exp_f32_e32 v21, v21
	s_delay_alu instid0(VALU_DEP_1) | instskip(NEXT) | instid1(TRANS32_DEP_1)
	v_pack_b32_f16 v19, v23, v19
	v_ldexp_f32 v21, v21, v54
	s_wait_alu 0xfffd
	s_delay_alu instid0(VALU_DEP_1) | instskip(SKIP_2) | instid1(VALU_DEP_2)
	v_cndmask_b32_e32 v21, 0, v21, vcc_lo
	v_cmp_nlt_f32_e32 vcc_lo, 0x42b17218, v16
	s_wait_alu 0xfffd
	v_cndmask_b32_e32 v16, 0x7f800000, v21, vcc_lo
	v_cmp_ngt_f32_e32 vcc_lo, 0xc2ce8ed0, v18
	s_delay_alu instid0(VALU_DEP_2) | instskip(SKIP_2) | instid1(VALU_DEP_1)
	v_add_f32_e32 v17, v17, v16
	v_cvt_f16_f32_e32 v21, v16
	v_mul_f32_e32 v16, 0x3fb8aa3b, v18
	v_fma_f32 v54, 0x3fb8aa3b, v18, -v16
	v_rndne_f32_e32 v82, v16
	s_delay_alu instid0(VALU_DEP_2) | instskip(NEXT) | instid1(VALU_DEP_2)
	v_fmac_f32_e32 v54, 0x32a5705f, v18
	v_sub_f32_e32 v16, v16, v82
	s_delay_alu instid0(VALU_DEP_1) | instskip(SKIP_1) | instid1(VALU_DEP_2)
	v_add_f32_e32 v16, v16, v54
	v_cvt_i32_f32_e32 v54, v82
	v_exp_f32_e32 v16, v16
	s_delay_alu instid0(TRANS32_DEP_1) | instskip(SKIP_1) | instid1(VALU_DEP_1)
	v_ldexp_f32 v16, v16, v54
	s_wait_alu 0xfffd
	v_cndmask_b32_e32 v16, 0, v16, vcc_lo
	v_cmp_nlt_f32_e32 vcc_lo, 0x42b17218, v18
	v_mov_b32_e32 v18, v108
	v_mov_b32_e32 v108, v17
	v_pack_b32_f16 v17, v61, v62
	s_wait_alu 0xfffd
	v_cndmask_b32_e32 v16, 0x7f800000, v16, vcc_lo
	s_delay_alu instid0(VALU_DEP_1) | instskip(SKIP_2) | instid1(VALU_DEP_2)
	v_fmac_f32_e32 v108, v18, v16
	v_cvt_f16_f32_e32 v16, v16
	v_pack_b32_f16 v18, v63, v80
	v_and_b32_e32 v16, 0xffff, v16
	s_delay_alu instid0(VALU_DEP_1) | instskip(NEXT) | instid1(VALU_DEP_1)
	v_mul_u32_u24_e32 v16, 0x10001, v16
	v_pk_mul_f16 v54, v140, v16
	v_pack_b32_f16 v16, v57, v59
	ds_store_b128 v132, v[16:19] offset:1024
	v_pack_b32_f16 v19, v81, v21
	v_pack_b32_f16 v18, v22, v20
	v_pack_b32_f16 v17, v58, v60
	v_pack_b32_f16 v16, v55, v56
	ds_store_b128 v132, v[16:19] offset:1536
	s_wait_alu 0xfffe
	v_add_co_u32 v16, vcc_lo, s24, v72
	s_wait_alu 0xfffd
	v_add_co_ci_u32_e64 v17, null, s25, v73, vcc_lo
	s_delay_alu instid0(VALU_DEP_2) | instskip(SKIP_1) | instid1(VALU_DEP_2)
	v_add_co_u32 v22, vcc_lo, v16, v131
	s_wait_alu 0xfffd
	v_add_co_ci_u32_e64 v23, null, 0, v17, vcc_lo
	v_add_co_u32 v16, vcc_lo, s24, v74
	s_wait_alu 0xfffd
	v_add_co_ci_u32_e64 v17, null, s25, v75, vcc_lo
	global_load_b128 v[55:58], v[22:23], off
	v_add_co_u32 v20, vcc_lo, v16, v131
	s_wait_alu 0xfffd
	v_add_co_ci_u32_e64 v21, null, 0, v17, vcc_lo
	v_add_co_u32 v16, vcc_lo, s24, v76
	s_wait_alu 0xfffd
	v_add_co_ci_u32_e64 v17, null, s25, v77, vcc_lo
	global_load_b128 v[20:23], v[20:21], off
	v_add_co_u32 v18, vcc_lo, v16, v131
	s_wait_alu 0xfffd
	v_add_co_ci_u32_e64 v19, null, 0, v17, vcc_lo
	v_add_co_u32 v16, vcc_lo, s24, v78
	s_wait_alu 0xfffd
	v_add_co_ci_u32_e64 v17, null, s25, v79, vcc_lo
	s_delay_alu instid0(VALU_DEP_2) | instskip(SKIP_1) | instid1(VALU_DEP_2)
	v_add_co_u32 v16, vcc_lo, v16, v131
	s_wait_alu 0xfffd
	v_add_co_ci_u32_e64 v17, null, 0, v17, vcc_lo
	s_wait_loadcnt 0x1
	ds_store_b128 v126, v[55:58]
	s_wait_loadcnt 0x0
	ds_store_b128 v128, v[20:23]
	global_load_b128 v[18:21], v[18:19], off
	s_wait_loadcnt 0x0
	ds_store_b128 v129, v[18:21]
	global_load_b128 v[16:19], v[16:17], off
	s_wait_loadcnt 0x0
	ds_store_b128 v130, v[16:19]
	s_wait_dscnt 0x0
	s_barrier_signal -1
	s_barrier_wait -1
	global_inv scope:SCOPE_SE
	ds_load_2addr_b32 v[80:81], v115 offset1:32
	ds_load_b128 v[16:19], v127
	ds_load_b128 v[20:23], v127 offset:16
	ds_load_b128 v[55:58], v127 offset:32
	;; [unrolled: 1-line block ×3, first 2 shown]
	s_wait_dscnt 0x3
	v_lshrrev_b32_e32 v63, 16, v16
	v_and_b32_e32 v16, 0xffff, v16
	v_lshrrev_b32_e32 v82, 16, v17
	v_lshrrev_b32_e32 v83, 16, v18
	;; [unrolled: 1-line block ×3, first 2 shown]
	v_mul_u32_u24_e32 v63, 0x10001, v63
	v_mul_u32_u24_e32 v85, 0x10001, v16
	v_and_b32_e32 v16, 0xffff, v17
	v_mul_u32_u24_e32 v82, 0x10001, v82
	v_mul_u32_u24_e32 v83, 0x10001, v83
	v_pk_fma_f16 v40, v80, v63, v40
	v_mul_u32_u24_e32 v84, 0x10001, v84
	v_mul_u32_u24_e32 v86, 0x10001, v16
	v_and_b32_e32 v16, 0xffff, v18
	v_pk_fma_f16 v39, v80, v85, v39
	v_pk_fma_f16 v42, v80, v82, v42
	;; [unrolled: 1-line block ×4, first 2 shown]
	v_mul_u32_u24_e32 v87, 0x10001, v16
	v_and_b32_e32 v16, 0xffff, v19
	v_pk_fma_f16 v46, v80, v84, v46
	s_delay_alu instid0(VALU_DEP_3) | instskip(NEXT) | instid1(VALU_DEP_3)
	v_pk_fma_f16 v43, v80, v87, v43
	v_mul_u32_u24_e32 v88, 0x10001, v16
	ds_load_b128 v[16:19], v127 offset:1024
	v_pk_fma_f16 v45, v80, v88, v45
	s_wait_dscnt 0x0
	v_lshrrev_b32_e32 v89, 16, v16
	v_and_b32_e32 v16, 0xffff, v16
	v_lshrrev_b32_e32 v90, 16, v17
	v_and_b32_e32 v17, 0xffff, v17
	v_lshrrev_b32_e32 v91, 16, v18
	v_lshrrev_b32_e32 v140, 16, v19
	v_mul_u32_u24_e32 v16, 0x10001, v16
	v_and_b32_e32 v18, 0xffff, v18
	v_mul_u32_u24_e32 v17, 0x10001, v17
	v_and_b32_e32 v19, 0xffff, v19
	v_mul_u32_u24_e32 v89, 0x10001, v89
	v_pk_fma_f16 v47, v80, v16, v47
	v_lshrrev_b32_e32 v16, 16, v20
	v_mul_u32_u24_e32 v18, 0x10001, v18
	v_mul_u32_u24_e32 v19, 0x10001, v19
	v_pk_fma_f16 v49, v80, v17, v49
	v_lshrrev_b32_e32 v17, 16, v21
	v_mul_u32_u24_e32 v63, 0x10001, v16
	v_and_b32_e32 v16, 0xffff, v21
	v_mul_u32_u24_e32 v90, 0x10001, v90
	v_mul_u32_u24_e32 v91, 0x10001, v91
	;; [unrolled: 1-line block ×3, first 2 shown]
	v_pk_fma_f16 v51, v80, v18, v51
	v_mul_u32_u24_e32 v21, 0x10001, v16
	v_and_b32_e32 v16, 0xffff, v22
	v_pk_fma_f16 v53, v80, v19, v53
	v_lshrrev_b32_e32 v18, 16, v22
	v_lshrrev_b32_e32 v19, 16, v23
	v_pk_fma_f16 v48, v80, v89, v48
	v_mul_u32_u24_e32 v22, 0x10001, v16
	v_and_b32_e32 v16, 0xffff, v23
	v_pk_fma_f16 v50, v80, v90, v50
	v_pk_fma_f16 v52, v80, v91, v52
	;; [unrolled: 1-line block ×3, first 2 shown]
	v_mul_u32_u24_e32 v80, 0x10001, v17
	v_mul_u32_u24_e32 v82, 0x10001, v18
	;; [unrolled: 1-line block ×4, first 2 shown]
	ds_load_b128 v[16:19], v127 offset:1040
	v_pk_fma_f16 v22, v81, v22, v43
	v_pk_fma_f16 v43, v81, v82, v44
	;; [unrolled: 1-line block ×4, first 2 shown]
	v_and_b32_e32 v20, 0xffff, v20
	v_pk_fma_f16 v40, v81, v63, v40
	v_pk_fma_f16 v42, v81, v80, v42
	v_pk_fma_f16 v41, v81, v21, v41
	s_delay_alu instid0(VALU_DEP_4) | instskip(NEXT) | instid1(VALU_DEP_1)
	v_mul_u32_u24_e32 v20, 0x10001, v20
	v_pk_fma_f16 v39, v81, v20, v39
	ds_load_2addr_b32 v[20:21], v115 offset0:64 offset1:96
	s_wait_dscnt 0x1
	v_lshrrev_b32_e32 v84, 16, v16
	v_and_b32_e32 v16, 0xffff, v16
	v_lshrrev_b32_e32 v85, 16, v17
	v_lshrrev_b32_e32 v86, 16, v18
	;; [unrolled: 1-line block ×3, first 2 shown]
	v_mul_u32_u24_e32 v84, 0x10001, v84
	v_mul_u32_u24_e32 v16, 0x10001, v16
	v_and_b32_e32 v17, 0xffff, v17
	v_mul_u32_u24_e32 v85, 0x10001, v85
	v_and_b32_e32 v18, 0xffff, v18
	;; [unrolled: 2-line block ×3, first 2 shown]
	v_mul_u32_u24_e32 v87, 0x10001, v87
	v_pk_fma_f16 v45, v81, v16, v47
	v_lshrrev_b32_e32 v16, 16, v55
	v_mul_u32_u24_e32 v17, 0x10001, v17
	v_mul_u32_u24_e32 v18, 0x10001, v18
	;; [unrolled: 1-line block ×3, first 2 shown]
	v_pk_fma_f16 v46, v81, v84, v48
	v_pk_fma_f16 v48, v81, v85, v50
	;; [unrolled: 1-line block ×4, first 2 shown]
	v_mul_u32_u24_e32 v54, 0x10001, v16
	v_and_b32_e32 v16, 0xffff, v56
	v_pk_fma_f16 v47, v81, v17, v49
	v_pk_fma_f16 v49, v81, v18, v51
	;; [unrolled: 1-line block ×3, first 2 shown]
	v_and_b32_e32 v53, 0xffff, v55
	v_mul_u32_u24_e32 v55, 0x10001, v16
	v_and_b32_e32 v16, 0xffff, v57
	v_lshrrev_b32_e32 v17, 16, v56
	v_lshrrev_b32_e32 v18, 16, v57
	;; [unrolled: 1-line block ×3, first 2 shown]
	v_mul_u32_u24_e32 v53, 0x10001, v53
	v_mul_u32_u24_e32 v57, 0x10001, v16
	v_and_b32_e32 v16, 0xffff, v58
	v_mul_u32_u24_e32 v56, 0x10001, v17
	v_mul_u32_u24_e32 v63, 0x10001, v18
	;; [unrolled: 1-line block ×3, first 2 shown]
	s_wait_dscnt 0x0
	v_pk_fma_f16 v39, v20, v53, v39
	v_mul_u32_u24_e32 v58, 0x10001, v16
	ds_load_b128 v[16:19], v127 offset:1056
	v_pk_fma_f16 v40, v20, v54, v40
	v_pk_fma_f16 v42, v20, v56, v42
	;; [unrolled: 1-line block ×7, first 2 shown]
	s_wait_dscnt 0x0
	v_lshrrev_b32_e32 v81, 16, v16
	v_and_b32_e32 v16, 0xffff, v16
	v_lshrrev_b32_e32 v82, 16, v17
	v_lshrrev_b32_e32 v83, 16, v18
	;; [unrolled: 1-line block ×3, first 2 shown]
	v_and_b32_e32 v17, 0xffff, v17
	v_mul_u32_u24_e32 v16, 0x10001, v16
	v_and_b32_e32 v18, 0xffff, v18
	v_and_b32_e32 v19, 0xffff, v19
	v_mul_u32_u24_e32 v81, 0x10001, v81
	v_mul_u32_u24_e32 v17, 0x10001, v17
	v_pk_fma_f16 v45, v20, v16, v45
	v_lshrrev_b32_e32 v16, 16, v59
	v_mul_u32_u24_e32 v18, 0x10001, v18
	v_mul_u32_u24_e32 v19, 0x10001, v19
	v_mul_u32_u24_e32 v82, 0x10001, v82
	v_mul_u32_u24_e32 v83, 0x10001, v83
	v_mul_u32_u24_e32 v53, 0x10001, v16
	v_and_b32_e32 v16, 0xffff, v60
	v_mul_u32_u24_e32 v84, 0x10001, v84
	v_pk_fma_f16 v47, v20, v17, v47
	v_pk_fma_f16 v49, v20, v18, v49
	;; [unrolled: 1-line block ×3, first 2 shown]
	v_mul_u32_u24_e32 v54, 0x10001, v16
	v_and_b32_e32 v16, 0xffff, v61
	v_lshrrev_b32_e32 v17, 16, v60
	v_lshrrev_b32_e32 v18, 16, v61
	;; [unrolled: 1-line block ×3, first 2 shown]
	v_pk_fma_f16 v46, v20, v81, v46
	v_mul_u32_u24_e32 v56, 0x10001, v16
	v_and_b32_e32 v16, 0xffff, v62
	v_pk_fma_f16 v48, v20, v82, v48
	v_pk_fma_f16 v50, v20, v83, v50
	;; [unrolled: 1-line block ×3, first 2 shown]
	v_and_b32_e32 v52, 0xffff, v59
	v_mul_u32_u24_e32 v55, 0x10001, v17
	v_mul_u32_u24_e32 v57, 0x10001, v18
	;; [unrolled: 1-line block ×4, first 2 shown]
	ds_load_b128 v[16:19], v127 offset:1072
	v_mul_u32_u24_e32 v52, 0x10001, v52
	v_pk_fma_f16 v40, v21, v53, v40
	v_pk_fma_f16 v41, v21, v54, v41
	v_pk_fma_f16 v42, v21, v55, v42
	v_pk_fma_f16 v22, v21, v56, v22
	v_pk_fma_f16 v39, v21, v52, v39
	v_pk_fma_f16 v43, v21, v57, v43
	v_pk_fma_f16 v23, v21, v58, v23
	v_pk_fma_f16 v44, v21, v59, v44
	s_wait_dscnt 0x0
	v_lshrrev_b32_e32 v60, 16, v16
	v_lshrrev_b32_e32 v61, 16, v17
	v_lshrrev_b32_e32 v62, 16, v18
	v_lshrrev_b32_e32 v63, 16, v19
	v_and_b32_e32 v16, 0xffff, v16
	v_and_b32_e32 v17, 0xffff, v17
	;; [unrolled: 1-line block ×4, first 2 shown]
	v_mul_u32_u24_e32 v60, 0x10001, v60
	v_mul_u32_u24_e32 v16, 0x10001, v16
	;; [unrolled: 1-line block ×8, first 2 shown]
	v_pk_fma_f16 v45, v21, v16, v45
	v_pk_fma_f16 v46, v21, v60, v46
	;; [unrolled: 1-line block ×8, first 2 shown]
	ds_load_2addr_b32 v[20:21], v115 offset0:128 offset1:160
	ds_load_b128 v[16:19], v127 offset:64
	s_wait_dscnt 0x0
	v_lshrrev_b32_e32 v53, 16, v16
	v_and_b32_e32 v16, 0xffff, v16
	v_lshrrev_b32_e32 v54, 16, v17
	v_lshrrev_b32_e32 v55, 16, v18
	v_lshrrev_b32_e32 v56, 16, v19
	v_mul_u32_u24_e32 v53, 0x10001, v53
	v_mul_u32_u24_e32 v57, 0x10001, v16
	v_and_b32_e32 v16, 0xffff, v17
	v_mul_u32_u24_e32 v54, 0x10001, v54
	v_mul_u32_u24_e32 v55, 0x10001, v55
	;; [unrolled: 1-line block ×3, first 2 shown]
	v_pk_fma_f16 v39, v20, v57, v39
	v_mul_u32_u24_e32 v58, 0x10001, v16
	v_and_b32_e32 v16, 0xffff, v18
	v_pk_fma_f16 v40, v20, v53, v40
	v_pk_fma_f16 v42, v20, v54, v42
	;; [unrolled: 1-line block ×4, first 2 shown]
	v_mul_u32_u24_e32 v59, 0x10001, v16
	v_and_b32_e32 v16, 0xffff, v19
	v_pk_fma_f16 v44, v20, v56, v44
	s_delay_alu instid0(VALU_DEP_3) | instskip(NEXT) | instid1(VALU_DEP_3)
	v_pk_fma_f16 v22, v20, v59, v22
	v_mul_u32_u24_e32 v60, 0x10001, v16
	ds_load_b128 v[16:19], v127 offset:1088
	v_pk_fma_f16 v23, v20, v60, v23
	s_wait_dscnt 0x0
	v_lshrrev_b32_e32 v61, 16, v16
	v_lshrrev_b32_e32 v62, 16, v17
	;; [unrolled: 1-line block ×4, first 2 shown]
	v_and_b32_e32 v16, 0xffff, v16
	v_and_b32_e32 v17, 0xffff, v17
	;; [unrolled: 1-line block ×4, first 2 shown]
	v_mul_u32_u24_e32 v61, 0x10001, v61
	v_mul_u32_u24_e32 v16, 0x10001, v16
	;; [unrolled: 1-line block ×6, first 2 shown]
	v_pk_fma_f16 v45, v20, v16, v45
	v_pk_fma_f16 v47, v20, v17, v47
	;; [unrolled: 1-line block ×4, first 2 shown]
	ds_load_b128 v[16:19], v127 offset:80
	v_mul_u32_u24_e32 v63, 0x10001, v63
	v_mul_u32_u24_e32 v80, 0x10001, v80
	v_pk_fma_f16 v46, v20, v61, v46
	v_pk_fma_f16 v48, v20, v62, v48
	s_delay_alu instid0(VALU_DEP_4) | instskip(NEXT) | instid1(VALU_DEP_4)
	v_pk_fma_f16 v50, v20, v63, v50
	v_pk_fma_f16 v20, v20, v80, v52
	s_wait_dscnt 0x0
	v_lshrrev_b32_e32 v52, 16, v16
	v_and_b32_e32 v16, 0xffff, v16
	v_lshrrev_b32_e32 v53, 16, v17
	v_lshrrev_b32_e32 v54, 16, v18
	;; [unrolled: 1-line block ×3, first 2 shown]
	v_mul_u32_u24_e32 v52, 0x10001, v52
	v_mul_u32_u24_e32 v56, 0x10001, v16
	v_and_b32_e32 v16, 0xffff, v17
	v_mul_u32_u24_e32 v53, 0x10001, v53
	v_mul_u32_u24_e32 v54, 0x10001, v54
	;; [unrolled: 1-line block ×3, first 2 shown]
	v_pk_fma_f16 v39, v21, v56, v39
	v_mul_u32_u24_e32 v57, 0x10001, v16
	v_and_b32_e32 v16, 0xffff, v18
	v_pk_fma_f16 v40, v21, v52, v40
	v_pk_fma_f16 v42, v21, v53, v42
	;; [unrolled: 1-line block ×4, first 2 shown]
	v_mul_u32_u24_e32 v58, 0x10001, v16
	v_and_b32_e32 v16, 0xffff, v19
	v_pk_fma_f16 v44, v21, v55, v44
	s_delay_alu instid0(VALU_DEP_3) | instskip(NEXT) | instid1(VALU_DEP_3)
	v_pk_fma_f16 v22, v21, v58, v22
	v_mul_u32_u24_e32 v59, 0x10001, v16
	ds_load_b128 v[16:19], v127 offset:1104
	v_pk_fma_f16 v23, v21, v59, v23
	s_wait_dscnt 0x0
	v_lshrrev_b32_e32 v60, 16, v16
	v_lshrrev_b32_e32 v61, 16, v17
	;; [unrolled: 1-line block ×4, first 2 shown]
	v_and_b32_e32 v16, 0xffff, v16
	v_and_b32_e32 v17, 0xffff, v17
	;; [unrolled: 1-line block ×4, first 2 shown]
	v_mul_u32_u24_e32 v60, 0x10001, v60
	v_mul_u32_u24_e32 v16, 0x10001, v16
	;; [unrolled: 1-line block ×8, first 2 shown]
	v_pk_fma_f16 v45, v21, v16, v45
	v_pk_fma_f16 v46, v21, v60, v46
	;; [unrolled: 1-line block ×8, first 2 shown]
	ds_load_2addr_b32 v[20:21], v115 offset0:192 offset1:224
	ds_load_b128 v[16:19], v127 offset:96
	s_wait_dscnt 0x0
	v_lshrrev_b32_e32 v53, 16, v16
	v_and_b32_e32 v16, 0xffff, v16
	v_lshrrev_b32_e32 v54, 16, v17
	v_lshrrev_b32_e32 v55, 16, v18
	;; [unrolled: 1-line block ×3, first 2 shown]
	v_mul_u32_u24_e32 v53, 0x10001, v53
	v_mul_u32_u24_e32 v57, 0x10001, v16
	v_and_b32_e32 v16, 0xffff, v17
	v_mul_u32_u24_e32 v54, 0x10001, v54
	v_mul_u32_u24_e32 v55, 0x10001, v55
	;; [unrolled: 1-line block ×3, first 2 shown]
	v_pk_fma_f16 v39, v20, v57, v39
	v_mul_u32_u24_e32 v58, 0x10001, v16
	v_and_b32_e32 v16, 0xffff, v18
	v_pk_fma_f16 v40, v20, v53, v40
	v_pk_fma_f16 v42, v20, v54, v42
	;; [unrolled: 1-line block ×4, first 2 shown]
	v_mul_u32_u24_e32 v59, 0x10001, v16
	v_and_b32_e32 v16, 0xffff, v19
	v_pk_fma_f16 v44, v20, v56, v44
	s_delay_alu instid0(VALU_DEP_3) | instskip(NEXT) | instid1(VALU_DEP_3)
	v_pk_fma_f16 v22, v20, v59, v22
	v_mul_u32_u24_e32 v60, 0x10001, v16
	ds_load_b128 v[16:19], v127 offset:1120
	v_pk_fma_f16 v23, v20, v60, v23
	s_wait_dscnt 0x0
	v_lshrrev_b32_e32 v61, 16, v16
	v_lshrrev_b32_e32 v62, 16, v17
	;; [unrolled: 1-line block ×4, first 2 shown]
	v_and_b32_e32 v16, 0xffff, v16
	v_and_b32_e32 v17, 0xffff, v17
	;; [unrolled: 1-line block ×4, first 2 shown]
	v_mul_u32_u24_e32 v61, 0x10001, v61
	v_mul_u32_u24_e32 v16, 0x10001, v16
	v_mul_u32_u24_e32 v17, 0x10001, v17
	v_mul_u32_u24_e32 v18, 0x10001, v18
	v_mul_u32_u24_e32 v19, 0x10001, v19
	v_mul_u32_u24_e32 v62, 0x10001, v62
	v_pk_fma_f16 v45, v20, v16, v45
	v_pk_fma_f16 v47, v20, v17, v47
	;; [unrolled: 1-line block ×4, first 2 shown]
	ds_load_b128 v[16:19], v127 offset:112
	v_mul_u32_u24_e32 v63, 0x10001, v63
	v_mul_u32_u24_e32 v80, 0x10001, v80
	v_pk_fma_f16 v46, v20, v61, v46
	v_pk_fma_f16 v48, v20, v62, v48
	s_delay_alu instid0(VALU_DEP_4) | instskip(NEXT) | instid1(VALU_DEP_4)
	v_pk_fma_f16 v50, v20, v63, v50
	v_pk_fma_f16 v20, v20, v80, v52
	s_wait_dscnt 0x0
	v_lshrrev_b32_e32 v52, 16, v16
	v_and_b32_e32 v16, 0xffff, v16
	v_lshrrev_b32_e32 v53, 16, v17
	v_lshrrev_b32_e32 v54, 16, v18
	;; [unrolled: 1-line block ×3, first 2 shown]
	v_mul_u32_u24_e32 v52, 0x10001, v52
	v_mul_u32_u24_e32 v56, 0x10001, v16
	v_and_b32_e32 v16, 0xffff, v17
	v_mul_u32_u24_e32 v53, 0x10001, v53
	v_mul_u32_u24_e32 v54, 0x10001, v54
	;; [unrolled: 1-line block ×3, first 2 shown]
	v_pk_fma_f16 v39, v21, v56, v39
	v_mul_u32_u24_e32 v57, 0x10001, v16
	v_and_b32_e32 v16, 0xffff, v18
	v_pk_fma_f16 v40, v21, v52, v40
	v_pk_fma_f16 v42, v21, v53, v42
	;; [unrolled: 1-line block ×4, first 2 shown]
	v_mul_u32_u24_e32 v58, 0x10001, v16
	v_and_b32_e32 v16, 0xffff, v19
	v_pk_fma_f16 v44, v21, v55, v44
	s_delay_alu instid0(VALU_DEP_3) | instskip(NEXT) | instid1(VALU_DEP_3)
	v_pk_fma_f16 v22, v21, v58, v22
	v_mul_u32_u24_e32 v59, 0x10001, v16
	ds_load_b128 v[16:19], v127 offset:1136
	v_pk_fma_f16 v23, v21, v59, v23
	s_wait_dscnt 0x0
	v_lshrrev_b32_e32 v60, 16, v16
	v_lshrrev_b32_e32 v61, 16, v17
	;; [unrolled: 1-line block ×4, first 2 shown]
	v_and_b32_e32 v16, 0xffff, v16
	v_and_b32_e32 v17, 0xffff, v17
	v_and_b32_e32 v18, 0xffff, v18
	v_and_b32_e32 v19, 0xffff, v19
	v_mul_u32_u24_e32 v60, 0x10001, v60
	v_mul_u32_u24_e32 v16, 0x10001, v16
	;; [unrolled: 1-line block ×8, first 2 shown]
	v_pk_fma_f16 v45, v21, v16, v45
	v_pk_fma_f16 v46, v21, v60, v46
	;; [unrolled: 1-line block ×8, first 2 shown]
	ds_load_2addr_b32 v[20:21], v133 offset1:32
	ds_load_b128 v[16:19], v127 offset:128
	s_wait_dscnt 0x0
	v_lshrrev_b32_e32 v53, 16, v16
	v_and_b32_e32 v16, 0xffff, v16
	v_lshrrev_b32_e32 v54, 16, v17
	v_lshrrev_b32_e32 v55, 16, v18
	;; [unrolled: 1-line block ×3, first 2 shown]
	v_mul_u32_u24_e32 v53, 0x10001, v53
	v_mul_u32_u24_e32 v57, 0x10001, v16
	v_and_b32_e32 v16, 0xffff, v17
	v_mul_u32_u24_e32 v54, 0x10001, v54
	v_mul_u32_u24_e32 v55, 0x10001, v55
	;; [unrolled: 1-line block ×3, first 2 shown]
	v_pk_fma_f16 v39, v20, v57, v39
	v_mul_u32_u24_e32 v58, 0x10001, v16
	v_and_b32_e32 v16, 0xffff, v18
	v_pk_fma_f16 v40, v20, v53, v40
	v_pk_fma_f16 v42, v20, v54, v42
	;; [unrolled: 1-line block ×4, first 2 shown]
	v_mul_u32_u24_e32 v59, 0x10001, v16
	v_and_b32_e32 v16, 0xffff, v19
	v_pk_fma_f16 v44, v20, v56, v44
	s_delay_alu instid0(VALU_DEP_3) | instskip(NEXT) | instid1(VALU_DEP_3)
	v_pk_fma_f16 v22, v20, v59, v22
	v_mul_u32_u24_e32 v60, 0x10001, v16
	ds_load_b128 v[16:19], v127 offset:1152
	v_pk_fma_f16 v23, v20, v60, v23
	s_wait_dscnt 0x0
	v_lshrrev_b32_e32 v61, 16, v16
	v_lshrrev_b32_e32 v62, 16, v17
	;; [unrolled: 1-line block ×4, first 2 shown]
	v_and_b32_e32 v16, 0xffff, v16
	v_and_b32_e32 v17, 0xffff, v17
	;; [unrolled: 1-line block ×4, first 2 shown]
	v_mul_u32_u24_e32 v61, 0x10001, v61
	v_mul_u32_u24_e32 v16, 0x10001, v16
	;; [unrolled: 1-line block ×6, first 2 shown]
	v_pk_fma_f16 v45, v20, v16, v45
	v_pk_fma_f16 v47, v20, v17, v47
	;; [unrolled: 1-line block ×4, first 2 shown]
	ds_load_b128 v[16:19], v127 offset:144
	v_mul_u32_u24_e32 v63, 0x10001, v63
	v_mul_u32_u24_e32 v80, 0x10001, v80
	v_pk_fma_f16 v46, v20, v61, v46
	v_pk_fma_f16 v48, v20, v62, v48
	s_delay_alu instid0(VALU_DEP_4) | instskip(NEXT) | instid1(VALU_DEP_4)
	v_pk_fma_f16 v50, v20, v63, v50
	v_pk_fma_f16 v20, v20, v80, v52
	s_wait_dscnt 0x0
	v_lshrrev_b32_e32 v52, 16, v16
	v_and_b32_e32 v16, 0xffff, v16
	v_lshrrev_b32_e32 v53, 16, v17
	v_lshrrev_b32_e32 v54, 16, v18
	;; [unrolled: 1-line block ×3, first 2 shown]
	v_mul_u32_u24_e32 v52, 0x10001, v52
	v_mul_u32_u24_e32 v56, 0x10001, v16
	v_and_b32_e32 v16, 0xffff, v17
	v_mul_u32_u24_e32 v53, 0x10001, v53
	v_mul_u32_u24_e32 v54, 0x10001, v54
	;; [unrolled: 1-line block ×3, first 2 shown]
	v_pk_fma_f16 v39, v21, v56, v39
	v_mul_u32_u24_e32 v57, 0x10001, v16
	v_and_b32_e32 v16, 0xffff, v18
	v_pk_fma_f16 v40, v21, v52, v40
	v_pk_fma_f16 v42, v21, v53, v42
	;; [unrolled: 1-line block ×4, first 2 shown]
	v_mul_u32_u24_e32 v58, 0x10001, v16
	v_and_b32_e32 v16, 0xffff, v19
	v_pk_fma_f16 v44, v21, v55, v44
	s_delay_alu instid0(VALU_DEP_3) | instskip(NEXT) | instid1(VALU_DEP_3)
	v_pk_fma_f16 v22, v21, v58, v22
	v_mul_u32_u24_e32 v59, 0x10001, v16
	ds_load_b128 v[16:19], v127 offset:1168
	v_pk_fma_f16 v23, v21, v59, v23
	s_wait_dscnt 0x0
	v_lshrrev_b32_e32 v60, 16, v16
	v_lshrrev_b32_e32 v61, 16, v17
	;; [unrolled: 1-line block ×4, first 2 shown]
	v_and_b32_e32 v16, 0xffff, v16
	v_and_b32_e32 v17, 0xffff, v17
	;; [unrolled: 1-line block ×4, first 2 shown]
	v_mul_u32_u24_e32 v60, 0x10001, v60
	v_mul_u32_u24_e32 v16, 0x10001, v16
	;; [unrolled: 1-line block ×8, first 2 shown]
	v_pk_fma_f16 v45, v21, v16, v45
	v_pk_fma_f16 v46, v21, v60, v46
	;; [unrolled: 1-line block ×8, first 2 shown]
	ds_load_2addr_b32 v[20:21], v133 offset0:64 offset1:96
	ds_load_b128 v[16:19], v127 offset:160
	s_wait_dscnt 0x0
	v_lshrrev_b32_e32 v53, 16, v16
	v_and_b32_e32 v16, 0xffff, v16
	v_lshrrev_b32_e32 v54, 16, v17
	v_lshrrev_b32_e32 v55, 16, v18
	;; [unrolled: 1-line block ×3, first 2 shown]
	v_mul_u32_u24_e32 v53, 0x10001, v53
	v_mul_u32_u24_e32 v57, 0x10001, v16
	v_and_b32_e32 v16, 0xffff, v17
	v_mul_u32_u24_e32 v54, 0x10001, v54
	v_mul_u32_u24_e32 v55, 0x10001, v55
	;; [unrolled: 1-line block ×3, first 2 shown]
	v_pk_fma_f16 v39, v20, v57, v39
	v_mul_u32_u24_e32 v58, 0x10001, v16
	v_and_b32_e32 v16, 0xffff, v18
	v_pk_fma_f16 v40, v20, v53, v40
	v_pk_fma_f16 v42, v20, v54, v42
	;; [unrolled: 1-line block ×4, first 2 shown]
	v_mul_u32_u24_e32 v59, 0x10001, v16
	v_and_b32_e32 v16, 0xffff, v19
	v_pk_fma_f16 v44, v20, v56, v44
	s_delay_alu instid0(VALU_DEP_3) | instskip(NEXT) | instid1(VALU_DEP_3)
	v_pk_fma_f16 v22, v20, v59, v22
	v_mul_u32_u24_e32 v60, 0x10001, v16
	ds_load_b128 v[16:19], v127 offset:1184
	v_pk_fma_f16 v23, v20, v60, v23
	s_wait_dscnt 0x0
	v_lshrrev_b32_e32 v61, 16, v16
	v_lshrrev_b32_e32 v62, 16, v17
	;; [unrolled: 1-line block ×4, first 2 shown]
	v_and_b32_e32 v16, 0xffff, v16
	v_and_b32_e32 v17, 0xffff, v17
	;; [unrolled: 1-line block ×4, first 2 shown]
	v_mul_u32_u24_e32 v61, 0x10001, v61
	v_mul_u32_u24_e32 v16, 0x10001, v16
	;; [unrolled: 1-line block ×6, first 2 shown]
	v_pk_fma_f16 v45, v20, v16, v45
	v_pk_fma_f16 v47, v20, v17, v47
	;; [unrolled: 1-line block ×4, first 2 shown]
	ds_load_b128 v[16:19], v127 offset:176
	v_mul_u32_u24_e32 v63, 0x10001, v63
	v_mul_u32_u24_e32 v80, 0x10001, v80
	v_pk_fma_f16 v46, v20, v61, v46
	v_pk_fma_f16 v48, v20, v62, v48
	s_delay_alu instid0(VALU_DEP_4) | instskip(NEXT) | instid1(VALU_DEP_4)
	v_pk_fma_f16 v50, v20, v63, v50
	v_pk_fma_f16 v20, v20, v80, v52
	s_wait_dscnt 0x0
	v_lshrrev_b32_e32 v52, 16, v16
	v_and_b32_e32 v16, 0xffff, v16
	v_lshrrev_b32_e32 v53, 16, v17
	v_lshrrev_b32_e32 v54, 16, v18
	v_lshrrev_b32_e32 v55, 16, v19
	v_mul_u32_u24_e32 v52, 0x10001, v52
	v_mul_u32_u24_e32 v56, 0x10001, v16
	v_and_b32_e32 v16, 0xffff, v17
	v_mul_u32_u24_e32 v53, 0x10001, v53
	v_mul_u32_u24_e32 v54, 0x10001, v54
	;; [unrolled: 1-line block ×3, first 2 shown]
	v_pk_fma_f16 v39, v21, v56, v39
	v_mul_u32_u24_e32 v57, 0x10001, v16
	v_and_b32_e32 v16, 0xffff, v18
	v_pk_fma_f16 v40, v21, v52, v40
	v_pk_fma_f16 v42, v21, v53, v42
	;; [unrolled: 1-line block ×4, first 2 shown]
	v_mul_u32_u24_e32 v58, 0x10001, v16
	v_and_b32_e32 v16, 0xffff, v19
	v_pk_fma_f16 v44, v21, v55, v44
	s_delay_alu instid0(VALU_DEP_3) | instskip(NEXT) | instid1(VALU_DEP_3)
	v_pk_fma_f16 v22, v21, v58, v22
	v_mul_u32_u24_e32 v59, 0x10001, v16
	ds_load_b128 v[16:19], v127 offset:1200
	v_pk_fma_f16 v23, v21, v59, v23
	s_wait_dscnt 0x0
	v_lshrrev_b32_e32 v60, 16, v16
	v_lshrrev_b32_e32 v61, 16, v17
	v_lshrrev_b32_e32 v62, 16, v18
	v_lshrrev_b32_e32 v63, 16, v19
	v_and_b32_e32 v16, 0xffff, v16
	v_and_b32_e32 v17, 0xffff, v17
	;; [unrolled: 1-line block ×4, first 2 shown]
	v_mul_u32_u24_e32 v60, 0x10001, v60
	v_mul_u32_u24_e32 v16, 0x10001, v16
	;; [unrolled: 1-line block ×8, first 2 shown]
	v_pk_fma_f16 v45, v21, v16, v45
	v_pk_fma_f16 v46, v21, v60, v46
	;; [unrolled: 1-line block ×8, first 2 shown]
	ds_load_2addr_b32 v[20:21], v133 offset0:128 offset1:160
	ds_load_b128 v[16:19], v127 offset:192
	s_wait_dscnt 0x0
	v_lshrrev_b32_e32 v53, 16, v16
	v_and_b32_e32 v16, 0xffff, v16
	v_lshrrev_b32_e32 v54, 16, v17
	v_lshrrev_b32_e32 v55, 16, v18
	;; [unrolled: 1-line block ×3, first 2 shown]
	v_mul_u32_u24_e32 v53, 0x10001, v53
	v_mul_u32_u24_e32 v57, 0x10001, v16
	v_and_b32_e32 v16, 0xffff, v17
	v_mul_u32_u24_e32 v54, 0x10001, v54
	v_mul_u32_u24_e32 v55, 0x10001, v55
	;; [unrolled: 1-line block ×3, first 2 shown]
	v_pk_fma_f16 v39, v20, v57, v39
	v_mul_u32_u24_e32 v58, 0x10001, v16
	v_and_b32_e32 v16, 0xffff, v18
	v_pk_fma_f16 v40, v20, v53, v40
	v_pk_fma_f16 v42, v20, v54, v42
	;; [unrolled: 1-line block ×4, first 2 shown]
	v_mul_u32_u24_e32 v59, 0x10001, v16
	v_and_b32_e32 v16, 0xffff, v19
	v_pk_fma_f16 v44, v20, v56, v44
	s_delay_alu instid0(VALU_DEP_3) | instskip(NEXT) | instid1(VALU_DEP_3)
	v_pk_fma_f16 v22, v20, v59, v22
	v_mul_u32_u24_e32 v60, 0x10001, v16
	ds_load_b128 v[16:19], v127 offset:1216
	v_pk_fma_f16 v23, v20, v60, v23
	s_wait_dscnt 0x0
	v_lshrrev_b32_e32 v61, 16, v16
	v_lshrrev_b32_e32 v62, 16, v17
	;; [unrolled: 1-line block ×4, first 2 shown]
	v_and_b32_e32 v16, 0xffff, v16
	v_and_b32_e32 v17, 0xffff, v17
	;; [unrolled: 1-line block ×4, first 2 shown]
	v_mul_u32_u24_e32 v61, 0x10001, v61
	v_mul_u32_u24_e32 v16, 0x10001, v16
	;; [unrolled: 1-line block ×6, first 2 shown]
	v_pk_fma_f16 v45, v20, v16, v45
	v_pk_fma_f16 v47, v20, v17, v47
	;; [unrolled: 1-line block ×4, first 2 shown]
	ds_load_b128 v[16:19], v127 offset:208
	v_mul_u32_u24_e32 v63, 0x10001, v63
	v_mul_u32_u24_e32 v80, 0x10001, v80
	v_pk_fma_f16 v46, v20, v61, v46
	v_pk_fma_f16 v48, v20, v62, v48
	s_delay_alu instid0(VALU_DEP_4) | instskip(NEXT) | instid1(VALU_DEP_4)
	v_pk_fma_f16 v50, v20, v63, v50
	v_pk_fma_f16 v20, v20, v80, v52
	s_wait_dscnt 0x0
	v_lshrrev_b32_e32 v52, 16, v16
	v_and_b32_e32 v16, 0xffff, v16
	v_lshrrev_b32_e32 v53, 16, v17
	v_lshrrev_b32_e32 v54, 16, v18
	;; [unrolled: 1-line block ×3, first 2 shown]
	v_mul_u32_u24_e32 v52, 0x10001, v52
	v_mul_u32_u24_e32 v56, 0x10001, v16
	v_and_b32_e32 v16, 0xffff, v17
	v_mul_u32_u24_e32 v53, 0x10001, v53
	v_mul_u32_u24_e32 v54, 0x10001, v54
	;; [unrolled: 1-line block ×3, first 2 shown]
	v_pk_fma_f16 v39, v21, v56, v39
	v_mul_u32_u24_e32 v57, 0x10001, v16
	v_and_b32_e32 v16, 0xffff, v18
	v_pk_fma_f16 v40, v21, v52, v40
	v_pk_fma_f16 v42, v21, v53, v42
	v_pk_fma_f16 v43, v21, v54, v43
	v_pk_fma_f16 v41, v21, v57, v41
	v_mul_u32_u24_e32 v58, 0x10001, v16
	v_and_b32_e32 v16, 0xffff, v19
	v_pk_fma_f16 v44, v21, v55, v44
	s_delay_alu instid0(VALU_DEP_3) | instskip(NEXT) | instid1(VALU_DEP_3)
	v_pk_fma_f16 v22, v21, v58, v22
	v_mul_u32_u24_e32 v59, 0x10001, v16
	ds_load_b128 v[16:19], v127 offset:1232
	v_pk_fma_f16 v23, v21, v59, v23
	s_wait_dscnt 0x0
	v_lshrrev_b32_e32 v60, 16, v16
	v_lshrrev_b32_e32 v61, 16, v17
	;; [unrolled: 1-line block ×4, first 2 shown]
	v_and_b32_e32 v16, 0xffff, v16
	v_and_b32_e32 v17, 0xffff, v17
	;; [unrolled: 1-line block ×4, first 2 shown]
	v_mul_u32_u24_e32 v60, 0x10001, v60
	v_mul_u32_u24_e32 v16, 0x10001, v16
	v_mul_u32_u24_e32 v17, 0x10001, v17
	v_mul_u32_u24_e32 v61, 0x10001, v61
	v_mul_u32_u24_e32 v18, 0x10001, v18
	v_mul_u32_u24_e32 v62, 0x10001, v62
	v_mul_u32_u24_e32 v19, 0x10001, v19
	v_mul_u32_u24_e32 v63, 0x10001, v63
	v_pk_fma_f16 v45, v21, v16, v45
	v_pk_fma_f16 v46, v21, v60, v46
	;; [unrolled: 1-line block ×8, first 2 shown]
	ds_load_2addr_b32 v[20:21], v133 offset0:192 offset1:224
	ds_load_b128 v[16:19], v127 offset:224
	s_wait_dscnt 0x0
	v_lshrrev_b32_e32 v53, 16, v16
	v_and_b32_e32 v16, 0xffff, v16
	v_lshrrev_b32_e32 v54, 16, v17
	v_lshrrev_b32_e32 v55, 16, v18
	;; [unrolled: 1-line block ×3, first 2 shown]
	v_mul_u32_u24_e32 v53, 0x10001, v53
	v_mul_u32_u24_e32 v57, 0x10001, v16
	v_and_b32_e32 v16, 0xffff, v17
	v_mul_u32_u24_e32 v54, 0x10001, v54
	v_mul_u32_u24_e32 v55, 0x10001, v55
	;; [unrolled: 1-line block ×3, first 2 shown]
	v_pk_fma_f16 v39, v20, v57, v39
	v_mul_u32_u24_e32 v58, 0x10001, v16
	v_and_b32_e32 v16, 0xffff, v18
	v_pk_fma_f16 v40, v20, v53, v40
	v_pk_fma_f16 v42, v20, v54, v42
	;; [unrolled: 1-line block ×4, first 2 shown]
	v_mul_u32_u24_e32 v59, 0x10001, v16
	v_and_b32_e32 v16, 0xffff, v19
	v_pk_fma_f16 v44, v20, v56, v44
	s_delay_alu instid0(VALU_DEP_3) | instskip(NEXT) | instid1(VALU_DEP_3)
	v_pk_fma_f16 v22, v20, v59, v22
	v_mul_u32_u24_e32 v60, 0x10001, v16
	ds_load_b128 v[16:19], v127 offset:1248
	v_pk_fma_f16 v23, v20, v60, v23
	s_wait_dscnt 0x0
	v_lshrrev_b32_e32 v61, 16, v16
	v_lshrrev_b32_e32 v62, 16, v17
	v_lshrrev_b32_e32 v63, 16, v18
	v_lshrrev_b32_e32 v80, 16, v19
	v_and_b32_e32 v16, 0xffff, v16
	v_and_b32_e32 v17, 0xffff, v17
	;; [unrolled: 1-line block ×4, first 2 shown]
	v_mul_u32_u24_e32 v61, 0x10001, v61
	v_mul_u32_u24_e32 v16, 0x10001, v16
	;; [unrolled: 1-line block ×6, first 2 shown]
	v_pk_fma_f16 v45, v20, v16, v45
	v_pk_fma_f16 v47, v20, v17, v47
	;; [unrolled: 1-line block ×4, first 2 shown]
	ds_load_b128 v[16:19], v127 offset:240
	v_mul_u32_u24_e32 v63, 0x10001, v63
	v_mul_u32_u24_e32 v80, 0x10001, v80
	v_pk_fma_f16 v46, v20, v61, v46
	v_pk_fma_f16 v48, v20, v62, v48
	s_delay_alu instid0(VALU_DEP_4) | instskip(NEXT) | instid1(VALU_DEP_4)
	v_pk_fma_f16 v50, v20, v63, v50
	v_pk_fma_f16 v20, v20, v80, v52
	s_wait_dscnt 0x0
	v_lshrrev_b32_e32 v52, 16, v16
	v_and_b32_e32 v16, 0xffff, v16
	v_lshrrev_b32_e32 v53, 16, v17
	v_lshrrev_b32_e32 v54, 16, v18
	;; [unrolled: 1-line block ×3, first 2 shown]
	v_mul_u32_u24_e32 v52, 0x10001, v52
	v_mul_u32_u24_e32 v56, 0x10001, v16
	v_and_b32_e32 v16, 0xffff, v17
	v_mul_u32_u24_e32 v53, 0x10001, v53
	v_mul_u32_u24_e32 v54, 0x10001, v54
	;; [unrolled: 1-line block ×3, first 2 shown]
	v_pk_fma_f16 v39, v21, v56, v39
	v_mul_u32_u24_e32 v57, 0x10001, v16
	v_and_b32_e32 v16, 0xffff, v18
	v_pk_fma_f16 v40, v21, v52, v40
	v_pk_fma_f16 v42, v21, v53, v42
	v_pk_fma_f16 v43, v21, v54, v43
	v_pk_fma_f16 v41, v21, v57, v41
	v_mul_u32_u24_e32 v58, 0x10001, v16
	v_and_b32_e32 v16, 0xffff, v19
	v_pk_fma_f16 v44, v21, v55, v44
	s_delay_alu instid0(VALU_DEP_3) | instskip(NEXT) | instid1(VALU_DEP_3)
	v_pk_fma_f16 v22, v21, v58, v22
	v_mul_u32_u24_e32 v59, 0x10001, v16
	ds_load_b128 v[16:19], v127 offset:1264
	v_pk_fma_f16 v23, v21, v59, v23
	s_wait_dscnt 0x0
	v_lshrrev_b32_e32 v60, 16, v16
	v_lshrrev_b32_e32 v61, 16, v17
	;; [unrolled: 1-line block ×4, first 2 shown]
	v_and_b32_e32 v16, 0xffff, v16
	v_and_b32_e32 v17, 0xffff, v17
	;; [unrolled: 1-line block ×4, first 2 shown]
	v_mul_u32_u24_e32 v60, 0x10001, v60
	v_mul_u32_u24_e32 v16, 0x10001, v16
	;; [unrolled: 1-line block ×8, first 2 shown]
	v_pk_fma_f16 v45, v21, v16, v45
	v_pk_fma_f16 v46, v21, v60, v46
	;; [unrolled: 1-line block ×8, first 2 shown]
	ds_load_2addr_b32 v[20:21], v134 offset1:32
	ds_load_b128 v[16:19], v127 offset:256
	s_wait_dscnt 0x0
	v_lshrrev_b32_e32 v53, 16, v16
	v_and_b32_e32 v16, 0xffff, v16
	v_lshrrev_b32_e32 v54, 16, v17
	v_lshrrev_b32_e32 v55, 16, v18
	;; [unrolled: 1-line block ×3, first 2 shown]
	v_mul_u32_u24_e32 v53, 0x10001, v53
	v_mul_u32_u24_e32 v57, 0x10001, v16
	v_and_b32_e32 v16, 0xffff, v17
	v_mul_u32_u24_e32 v54, 0x10001, v54
	v_mul_u32_u24_e32 v55, 0x10001, v55
	;; [unrolled: 1-line block ×3, first 2 shown]
	v_pk_fma_f16 v39, v20, v57, v39
	v_mul_u32_u24_e32 v58, 0x10001, v16
	v_and_b32_e32 v16, 0xffff, v18
	v_pk_fma_f16 v40, v20, v53, v40
	v_pk_fma_f16 v42, v20, v54, v42
	;; [unrolled: 1-line block ×4, first 2 shown]
	v_mul_u32_u24_e32 v59, 0x10001, v16
	v_and_b32_e32 v16, 0xffff, v19
	v_pk_fma_f16 v44, v20, v56, v44
	s_delay_alu instid0(VALU_DEP_3) | instskip(NEXT) | instid1(VALU_DEP_3)
	v_pk_fma_f16 v22, v20, v59, v22
	v_mul_u32_u24_e32 v60, 0x10001, v16
	ds_load_b128 v[16:19], v127 offset:1280
	v_pk_fma_f16 v23, v20, v60, v23
	s_wait_dscnt 0x0
	v_lshrrev_b32_e32 v61, 16, v16
	v_lshrrev_b32_e32 v62, 16, v17
	;; [unrolled: 1-line block ×4, first 2 shown]
	v_and_b32_e32 v16, 0xffff, v16
	v_and_b32_e32 v17, 0xffff, v17
	;; [unrolled: 1-line block ×4, first 2 shown]
	v_mul_u32_u24_e32 v61, 0x10001, v61
	v_mul_u32_u24_e32 v16, 0x10001, v16
	;; [unrolled: 1-line block ×6, first 2 shown]
	v_pk_fma_f16 v45, v20, v16, v45
	v_pk_fma_f16 v47, v20, v17, v47
	;; [unrolled: 1-line block ×4, first 2 shown]
	ds_load_b128 v[16:19], v127 offset:272
	v_mul_u32_u24_e32 v63, 0x10001, v63
	v_mul_u32_u24_e32 v80, 0x10001, v80
	v_pk_fma_f16 v46, v20, v61, v46
	v_pk_fma_f16 v48, v20, v62, v48
	s_delay_alu instid0(VALU_DEP_4) | instskip(NEXT) | instid1(VALU_DEP_4)
	v_pk_fma_f16 v50, v20, v63, v50
	v_pk_fma_f16 v20, v20, v80, v52
	s_wait_dscnt 0x0
	v_lshrrev_b32_e32 v52, 16, v16
	v_and_b32_e32 v16, 0xffff, v16
	v_lshrrev_b32_e32 v53, 16, v17
	v_lshrrev_b32_e32 v54, 16, v18
	;; [unrolled: 1-line block ×3, first 2 shown]
	v_mul_u32_u24_e32 v52, 0x10001, v52
	v_mul_u32_u24_e32 v56, 0x10001, v16
	v_and_b32_e32 v16, 0xffff, v17
	v_mul_u32_u24_e32 v53, 0x10001, v53
	v_mul_u32_u24_e32 v54, 0x10001, v54
	v_mul_u32_u24_e32 v55, 0x10001, v55
	v_pk_fma_f16 v39, v21, v56, v39
	v_mul_u32_u24_e32 v57, 0x10001, v16
	v_and_b32_e32 v16, 0xffff, v18
	v_pk_fma_f16 v40, v21, v52, v40
	v_pk_fma_f16 v42, v21, v53, v42
	;; [unrolled: 1-line block ×4, first 2 shown]
	v_mul_u32_u24_e32 v58, 0x10001, v16
	v_and_b32_e32 v16, 0xffff, v19
	v_pk_fma_f16 v44, v21, v55, v44
	s_delay_alu instid0(VALU_DEP_3) | instskip(NEXT) | instid1(VALU_DEP_3)
	v_pk_fma_f16 v22, v21, v58, v22
	v_mul_u32_u24_e32 v59, 0x10001, v16
	ds_load_b128 v[16:19], v127 offset:1296
	v_pk_fma_f16 v23, v21, v59, v23
	s_wait_dscnt 0x0
	v_lshrrev_b32_e32 v60, 16, v16
	v_lshrrev_b32_e32 v61, 16, v17
	;; [unrolled: 1-line block ×4, first 2 shown]
	v_and_b32_e32 v16, 0xffff, v16
	v_and_b32_e32 v17, 0xffff, v17
	;; [unrolled: 1-line block ×4, first 2 shown]
	v_mul_u32_u24_e32 v60, 0x10001, v60
	v_mul_u32_u24_e32 v16, 0x10001, v16
	;; [unrolled: 1-line block ×8, first 2 shown]
	v_pk_fma_f16 v45, v21, v16, v45
	v_pk_fma_f16 v46, v21, v60, v46
	;; [unrolled: 1-line block ×8, first 2 shown]
	ds_load_2addr_b32 v[20:21], v134 offset0:64 offset1:96
	ds_load_b128 v[16:19], v127 offset:288
	s_wait_dscnt 0x0
	v_lshrrev_b32_e32 v53, 16, v16
	v_and_b32_e32 v16, 0xffff, v16
	v_lshrrev_b32_e32 v54, 16, v17
	v_lshrrev_b32_e32 v55, 16, v18
	;; [unrolled: 1-line block ×3, first 2 shown]
	v_mul_u32_u24_e32 v53, 0x10001, v53
	v_mul_u32_u24_e32 v57, 0x10001, v16
	v_and_b32_e32 v16, 0xffff, v17
	v_mul_u32_u24_e32 v54, 0x10001, v54
	v_mul_u32_u24_e32 v55, 0x10001, v55
	;; [unrolled: 1-line block ×3, first 2 shown]
	v_pk_fma_f16 v39, v20, v57, v39
	v_mul_u32_u24_e32 v58, 0x10001, v16
	v_and_b32_e32 v16, 0xffff, v18
	v_pk_fma_f16 v40, v20, v53, v40
	v_pk_fma_f16 v42, v20, v54, v42
	;; [unrolled: 1-line block ×4, first 2 shown]
	v_mul_u32_u24_e32 v59, 0x10001, v16
	v_and_b32_e32 v16, 0xffff, v19
	v_pk_fma_f16 v44, v20, v56, v44
	s_delay_alu instid0(VALU_DEP_3) | instskip(NEXT) | instid1(VALU_DEP_3)
	v_pk_fma_f16 v22, v20, v59, v22
	v_mul_u32_u24_e32 v60, 0x10001, v16
	ds_load_b128 v[16:19], v127 offset:1312
	v_pk_fma_f16 v23, v20, v60, v23
	s_wait_dscnt 0x0
	v_lshrrev_b32_e32 v61, 16, v16
	v_lshrrev_b32_e32 v62, 16, v17
	;; [unrolled: 1-line block ×4, first 2 shown]
	v_and_b32_e32 v16, 0xffff, v16
	v_and_b32_e32 v17, 0xffff, v17
	;; [unrolled: 1-line block ×4, first 2 shown]
	v_mul_u32_u24_e32 v61, 0x10001, v61
	v_mul_u32_u24_e32 v16, 0x10001, v16
	;; [unrolled: 1-line block ×6, first 2 shown]
	v_pk_fma_f16 v45, v20, v16, v45
	v_pk_fma_f16 v47, v20, v17, v47
	;; [unrolled: 1-line block ×4, first 2 shown]
	ds_load_b128 v[16:19], v127 offset:304
	v_mul_u32_u24_e32 v63, 0x10001, v63
	v_mul_u32_u24_e32 v80, 0x10001, v80
	v_pk_fma_f16 v46, v20, v61, v46
	v_pk_fma_f16 v48, v20, v62, v48
	s_delay_alu instid0(VALU_DEP_4) | instskip(NEXT) | instid1(VALU_DEP_4)
	v_pk_fma_f16 v50, v20, v63, v50
	v_pk_fma_f16 v20, v20, v80, v52
	s_wait_dscnt 0x0
	v_lshrrev_b32_e32 v52, 16, v16
	v_and_b32_e32 v16, 0xffff, v16
	v_lshrrev_b32_e32 v53, 16, v17
	v_lshrrev_b32_e32 v54, 16, v18
	;; [unrolled: 1-line block ×3, first 2 shown]
	v_mul_u32_u24_e32 v52, 0x10001, v52
	v_mul_u32_u24_e32 v56, 0x10001, v16
	v_and_b32_e32 v16, 0xffff, v17
	v_mul_u32_u24_e32 v53, 0x10001, v53
	v_mul_u32_u24_e32 v54, 0x10001, v54
	;; [unrolled: 1-line block ×3, first 2 shown]
	v_pk_fma_f16 v39, v21, v56, v39
	v_mul_u32_u24_e32 v57, 0x10001, v16
	v_and_b32_e32 v16, 0xffff, v18
	v_pk_fma_f16 v40, v21, v52, v40
	v_pk_fma_f16 v42, v21, v53, v42
	;; [unrolled: 1-line block ×4, first 2 shown]
	v_mul_u32_u24_e32 v58, 0x10001, v16
	v_and_b32_e32 v16, 0xffff, v19
	v_pk_fma_f16 v44, v21, v55, v44
	s_delay_alu instid0(VALU_DEP_3) | instskip(NEXT) | instid1(VALU_DEP_3)
	v_pk_fma_f16 v22, v21, v58, v22
	v_mul_u32_u24_e32 v59, 0x10001, v16
	ds_load_b128 v[16:19], v127 offset:1328
	v_pk_fma_f16 v23, v21, v59, v23
	s_wait_dscnt 0x0
	v_lshrrev_b32_e32 v60, 16, v16
	v_lshrrev_b32_e32 v61, 16, v17
	;; [unrolled: 1-line block ×4, first 2 shown]
	v_and_b32_e32 v16, 0xffff, v16
	v_and_b32_e32 v17, 0xffff, v17
	;; [unrolled: 1-line block ×4, first 2 shown]
	v_mul_u32_u24_e32 v60, 0x10001, v60
	v_mul_u32_u24_e32 v16, 0x10001, v16
	;; [unrolled: 1-line block ×8, first 2 shown]
	v_pk_fma_f16 v45, v21, v16, v45
	v_pk_fma_f16 v46, v21, v60, v46
	;; [unrolled: 1-line block ×8, first 2 shown]
	ds_load_2addr_b32 v[20:21], v134 offset0:128 offset1:160
	ds_load_b128 v[16:19], v127 offset:320
	s_wait_dscnt 0x0
	v_lshrrev_b32_e32 v53, 16, v16
	v_and_b32_e32 v16, 0xffff, v16
	v_lshrrev_b32_e32 v54, 16, v17
	v_lshrrev_b32_e32 v55, 16, v18
	;; [unrolled: 1-line block ×3, first 2 shown]
	v_mul_u32_u24_e32 v53, 0x10001, v53
	v_mul_u32_u24_e32 v57, 0x10001, v16
	v_and_b32_e32 v16, 0xffff, v17
	v_mul_u32_u24_e32 v54, 0x10001, v54
	v_mul_u32_u24_e32 v55, 0x10001, v55
	;; [unrolled: 1-line block ×3, first 2 shown]
	v_pk_fma_f16 v39, v20, v57, v39
	v_mul_u32_u24_e32 v58, 0x10001, v16
	v_and_b32_e32 v16, 0xffff, v18
	v_pk_fma_f16 v40, v20, v53, v40
	v_pk_fma_f16 v42, v20, v54, v42
	;; [unrolled: 1-line block ×4, first 2 shown]
	v_mul_u32_u24_e32 v59, 0x10001, v16
	v_and_b32_e32 v16, 0xffff, v19
	v_pk_fma_f16 v44, v20, v56, v44
	s_delay_alu instid0(VALU_DEP_3) | instskip(NEXT) | instid1(VALU_DEP_3)
	v_pk_fma_f16 v22, v20, v59, v22
	v_mul_u32_u24_e32 v60, 0x10001, v16
	ds_load_b128 v[16:19], v127 offset:1344
	v_pk_fma_f16 v23, v20, v60, v23
	s_wait_dscnt 0x0
	v_lshrrev_b32_e32 v61, 16, v16
	v_lshrrev_b32_e32 v62, 16, v17
	;; [unrolled: 1-line block ×4, first 2 shown]
	v_and_b32_e32 v16, 0xffff, v16
	v_and_b32_e32 v17, 0xffff, v17
	;; [unrolled: 1-line block ×4, first 2 shown]
	v_mul_u32_u24_e32 v61, 0x10001, v61
	v_mul_u32_u24_e32 v16, 0x10001, v16
	;; [unrolled: 1-line block ×6, first 2 shown]
	v_pk_fma_f16 v45, v20, v16, v45
	v_pk_fma_f16 v47, v20, v17, v47
	;; [unrolled: 1-line block ×4, first 2 shown]
	ds_load_b128 v[16:19], v127 offset:336
	v_mul_u32_u24_e32 v63, 0x10001, v63
	v_mul_u32_u24_e32 v80, 0x10001, v80
	v_pk_fma_f16 v46, v20, v61, v46
	v_pk_fma_f16 v48, v20, v62, v48
	s_delay_alu instid0(VALU_DEP_4) | instskip(NEXT) | instid1(VALU_DEP_4)
	v_pk_fma_f16 v50, v20, v63, v50
	v_pk_fma_f16 v20, v20, v80, v52
	s_wait_dscnt 0x0
	v_lshrrev_b32_e32 v52, 16, v16
	v_and_b32_e32 v16, 0xffff, v16
	v_lshrrev_b32_e32 v53, 16, v17
	v_lshrrev_b32_e32 v54, 16, v18
	;; [unrolled: 1-line block ×3, first 2 shown]
	v_mul_u32_u24_e32 v52, 0x10001, v52
	v_mul_u32_u24_e32 v56, 0x10001, v16
	v_and_b32_e32 v16, 0xffff, v17
	v_mul_u32_u24_e32 v53, 0x10001, v53
	v_mul_u32_u24_e32 v54, 0x10001, v54
	;; [unrolled: 1-line block ×3, first 2 shown]
	v_pk_fma_f16 v39, v21, v56, v39
	v_mul_u32_u24_e32 v57, 0x10001, v16
	v_and_b32_e32 v16, 0xffff, v18
	v_pk_fma_f16 v40, v21, v52, v40
	v_pk_fma_f16 v42, v21, v53, v42
	;; [unrolled: 1-line block ×4, first 2 shown]
	v_mul_u32_u24_e32 v58, 0x10001, v16
	v_and_b32_e32 v16, 0xffff, v19
	v_pk_fma_f16 v44, v21, v55, v44
	s_delay_alu instid0(VALU_DEP_3) | instskip(NEXT) | instid1(VALU_DEP_3)
	v_pk_fma_f16 v22, v21, v58, v22
	v_mul_u32_u24_e32 v59, 0x10001, v16
	ds_load_b128 v[16:19], v127 offset:1360
	v_pk_fma_f16 v23, v21, v59, v23
	s_wait_dscnt 0x0
	v_lshrrev_b32_e32 v60, 16, v16
	v_lshrrev_b32_e32 v61, 16, v17
	;; [unrolled: 1-line block ×4, first 2 shown]
	v_and_b32_e32 v16, 0xffff, v16
	v_and_b32_e32 v17, 0xffff, v17
	;; [unrolled: 1-line block ×4, first 2 shown]
	v_mul_u32_u24_e32 v60, 0x10001, v60
	v_mul_u32_u24_e32 v16, 0x10001, v16
	;; [unrolled: 1-line block ×8, first 2 shown]
	v_pk_fma_f16 v45, v21, v16, v45
	v_pk_fma_f16 v46, v21, v60, v46
	;; [unrolled: 1-line block ×8, first 2 shown]
	ds_load_2addr_b32 v[20:21], v134 offset0:192 offset1:224
	ds_load_b128 v[16:19], v127 offset:352
	s_wait_dscnt 0x0
	v_lshrrev_b32_e32 v53, 16, v16
	v_and_b32_e32 v16, 0xffff, v16
	v_lshrrev_b32_e32 v54, 16, v17
	v_lshrrev_b32_e32 v55, 16, v18
	;; [unrolled: 1-line block ×3, first 2 shown]
	v_mul_u32_u24_e32 v53, 0x10001, v53
	v_mul_u32_u24_e32 v57, 0x10001, v16
	v_and_b32_e32 v16, 0xffff, v17
	v_mul_u32_u24_e32 v54, 0x10001, v54
	v_mul_u32_u24_e32 v55, 0x10001, v55
	;; [unrolled: 1-line block ×3, first 2 shown]
	v_pk_fma_f16 v39, v20, v57, v39
	v_mul_u32_u24_e32 v58, 0x10001, v16
	v_and_b32_e32 v16, 0xffff, v18
	v_pk_fma_f16 v40, v20, v53, v40
	v_pk_fma_f16 v42, v20, v54, v42
	;; [unrolled: 1-line block ×4, first 2 shown]
	v_mul_u32_u24_e32 v59, 0x10001, v16
	v_and_b32_e32 v16, 0xffff, v19
	v_pk_fma_f16 v44, v20, v56, v44
	s_delay_alu instid0(VALU_DEP_3) | instskip(NEXT) | instid1(VALU_DEP_3)
	v_pk_fma_f16 v22, v20, v59, v22
	v_mul_u32_u24_e32 v60, 0x10001, v16
	ds_load_b128 v[16:19], v127 offset:1376
	v_pk_fma_f16 v23, v20, v60, v23
	s_wait_dscnt 0x0
	v_lshrrev_b32_e32 v61, 16, v16
	v_lshrrev_b32_e32 v62, 16, v17
	;; [unrolled: 1-line block ×4, first 2 shown]
	v_and_b32_e32 v16, 0xffff, v16
	v_and_b32_e32 v17, 0xffff, v17
	;; [unrolled: 1-line block ×4, first 2 shown]
	v_mul_u32_u24_e32 v61, 0x10001, v61
	v_mul_u32_u24_e32 v16, 0x10001, v16
	v_mul_u32_u24_e32 v17, 0x10001, v17
	v_mul_u32_u24_e32 v18, 0x10001, v18
	v_mul_u32_u24_e32 v19, 0x10001, v19
	v_mul_u32_u24_e32 v62, 0x10001, v62
	v_pk_fma_f16 v45, v20, v16, v45
	v_pk_fma_f16 v47, v20, v17, v47
	v_pk_fma_f16 v49, v20, v18, v49
	v_pk_fma_f16 v51, v20, v19, v51
	ds_load_b128 v[16:19], v127 offset:368
	v_mul_u32_u24_e32 v63, 0x10001, v63
	v_mul_u32_u24_e32 v80, 0x10001, v80
	v_pk_fma_f16 v46, v20, v61, v46
	v_pk_fma_f16 v48, v20, v62, v48
	s_delay_alu instid0(VALU_DEP_4) | instskip(NEXT) | instid1(VALU_DEP_4)
	v_pk_fma_f16 v50, v20, v63, v50
	v_pk_fma_f16 v20, v20, v80, v52
	s_wait_dscnt 0x0
	v_lshrrev_b32_e32 v52, 16, v16
	v_and_b32_e32 v16, 0xffff, v16
	v_lshrrev_b32_e32 v53, 16, v17
	v_lshrrev_b32_e32 v54, 16, v18
	v_lshrrev_b32_e32 v55, 16, v19
	v_mul_u32_u24_e32 v52, 0x10001, v52
	v_mul_u32_u24_e32 v56, 0x10001, v16
	v_and_b32_e32 v16, 0xffff, v17
	v_mul_u32_u24_e32 v53, 0x10001, v53
	v_mul_u32_u24_e32 v54, 0x10001, v54
	;; [unrolled: 1-line block ×3, first 2 shown]
	v_pk_fma_f16 v39, v21, v56, v39
	v_mul_u32_u24_e32 v57, 0x10001, v16
	v_and_b32_e32 v16, 0xffff, v18
	v_pk_fma_f16 v40, v21, v52, v40
	v_pk_fma_f16 v42, v21, v53, v42
	;; [unrolled: 1-line block ×4, first 2 shown]
	v_mul_u32_u24_e32 v58, 0x10001, v16
	v_and_b32_e32 v16, 0xffff, v19
	v_pk_fma_f16 v44, v21, v55, v44
	s_delay_alu instid0(VALU_DEP_3) | instskip(NEXT) | instid1(VALU_DEP_3)
	v_pk_fma_f16 v22, v21, v58, v22
	v_mul_u32_u24_e32 v59, 0x10001, v16
	ds_load_b128 v[16:19], v127 offset:1392
	v_pk_fma_f16 v23, v21, v59, v23
	s_wait_dscnt 0x0
	v_lshrrev_b32_e32 v60, 16, v16
	v_lshrrev_b32_e32 v61, 16, v17
	;; [unrolled: 1-line block ×4, first 2 shown]
	v_and_b32_e32 v16, 0xffff, v16
	v_and_b32_e32 v17, 0xffff, v17
	v_and_b32_e32 v18, 0xffff, v18
	v_and_b32_e32 v19, 0xffff, v19
	v_mul_u32_u24_e32 v60, 0x10001, v60
	v_mul_u32_u24_e32 v16, 0x10001, v16
	;; [unrolled: 1-line block ×8, first 2 shown]
	v_pk_fma_f16 v45, v21, v16, v45
	v_pk_fma_f16 v46, v21, v60, v46
	;; [unrolled: 1-line block ×8, first 2 shown]
	ds_load_2addr_b32 v[20:21], v135 offset1:32
	ds_load_b128 v[16:19], v127 offset:384
	s_wait_dscnt 0x0
	v_lshrrev_b32_e32 v53, 16, v16
	v_and_b32_e32 v16, 0xffff, v16
	v_lshrrev_b32_e32 v54, 16, v17
	v_lshrrev_b32_e32 v55, 16, v18
	;; [unrolled: 1-line block ×3, first 2 shown]
	v_mul_u32_u24_e32 v53, 0x10001, v53
	v_mul_u32_u24_e32 v57, 0x10001, v16
	v_and_b32_e32 v16, 0xffff, v17
	v_mul_u32_u24_e32 v54, 0x10001, v54
	v_mul_u32_u24_e32 v55, 0x10001, v55
	;; [unrolled: 1-line block ×3, first 2 shown]
	v_pk_fma_f16 v39, v20, v57, v39
	v_mul_u32_u24_e32 v58, 0x10001, v16
	v_and_b32_e32 v16, 0xffff, v18
	v_pk_fma_f16 v40, v20, v53, v40
	v_pk_fma_f16 v42, v20, v54, v42
	;; [unrolled: 1-line block ×4, first 2 shown]
	v_mul_u32_u24_e32 v59, 0x10001, v16
	v_and_b32_e32 v16, 0xffff, v19
	v_pk_fma_f16 v44, v20, v56, v44
	s_delay_alu instid0(VALU_DEP_3) | instskip(NEXT) | instid1(VALU_DEP_3)
	v_pk_fma_f16 v22, v20, v59, v22
	v_mul_u32_u24_e32 v60, 0x10001, v16
	ds_load_b128 v[16:19], v127 offset:1408
	v_pk_fma_f16 v23, v20, v60, v23
	s_wait_dscnt 0x0
	v_lshrrev_b32_e32 v61, 16, v16
	v_lshrrev_b32_e32 v62, 16, v17
	;; [unrolled: 1-line block ×4, first 2 shown]
	v_and_b32_e32 v16, 0xffff, v16
	v_and_b32_e32 v17, 0xffff, v17
	;; [unrolled: 1-line block ×4, first 2 shown]
	v_mul_u32_u24_e32 v61, 0x10001, v61
	v_mul_u32_u24_e32 v16, 0x10001, v16
	;; [unrolled: 1-line block ×6, first 2 shown]
	v_pk_fma_f16 v45, v20, v16, v45
	v_pk_fma_f16 v47, v20, v17, v47
	;; [unrolled: 1-line block ×4, first 2 shown]
	ds_load_b128 v[16:19], v127 offset:400
	v_mul_u32_u24_e32 v63, 0x10001, v63
	v_mul_u32_u24_e32 v80, 0x10001, v80
	v_pk_fma_f16 v46, v20, v61, v46
	v_pk_fma_f16 v48, v20, v62, v48
	s_delay_alu instid0(VALU_DEP_4) | instskip(NEXT) | instid1(VALU_DEP_4)
	v_pk_fma_f16 v50, v20, v63, v50
	v_pk_fma_f16 v20, v20, v80, v52
	s_wait_dscnt 0x0
	v_lshrrev_b32_e32 v52, 16, v16
	v_and_b32_e32 v16, 0xffff, v16
	v_lshrrev_b32_e32 v53, 16, v17
	v_lshrrev_b32_e32 v54, 16, v18
	;; [unrolled: 1-line block ×3, first 2 shown]
	v_mul_u32_u24_e32 v52, 0x10001, v52
	v_mul_u32_u24_e32 v56, 0x10001, v16
	v_and_b32_e32 v16, 0xffff, v17
	v_mul_u32_u24_e32 v53, 0x10001, v53
	v_mul_u32_u24_e32 v54, 0x10001, v54
	;; [unrolled: 1-line block ×3, first 2 shown]
	v_pk_fma_f16 v39, v21, v56, v39
	v_mul_u32_u24_e32 v57, 0x10001, v16
	v_and_b32_e32 v16, 0xffff, v18
	v_pk_fma_f16 v40, v21, v52, v40
	v_pk_fma_f16 v42, v21, v53, v42
	;; [unrolled: 1-line block ×4, first 2 shown]
	v_mul_u32_u24_e32 v58, 0x10001, v16
	v_and_b32_e32 v16, 0xffff, v19
	v_pk_fma_f16 v44, v21, v55, v44
	s_delay_alu instid0(VALU_DEP_3) | instskip(NEXT) | instid1(VALU_DEP_3)
	v_pk_fma_f16 v22, v21, v58, v22
	v_mul_u32_u24_e32 v59, 0x10001, v16
	ds_load_b128 v[16:19], v127 offset:1424
	v_pk_fma_f16 v23, v21, v59, v23
	s_wait_dscnt 0x0
	v_lshrrev_b32_e32 v60, 16, v16
	v_lshrrev_b32_e32 v61, 16, v17
	;; [unrolled: 1-line block ×4, first 2 shown]
	v_and_b32_e32 v16, 0xffff, v16
	v_and_b32_e32 v17, 0xffff, v17
	v_and_b32_e32 v18, 0xffff, v18
	v_and_b32_e32 v19, 0xffff, v19
	v_mul_u32_u24_e32 v60, 0x10001, v60
	v_mul_u32_u24_e32 v16, 0x10001, v16
	;; [unrolled: 1-line block ×8, first 2 shown]
	v_pk_fma_f16 v45, v21, v16, v45
	v_pk_fma_f16 v46, v21, v60, v46
	;; [unrolled: 1-line block ×8, first 2 shown]
	ds_load_2addr_b32 v[20:21], v135 offset0:64 offset1:96
	ds_load_b128 v[16:19], v127 offset:416
	s_wait_dscnt 0x0
	v_lshrrev_b32_e32 v53, 16, v16
	v_and_b32_e32 v16, 0xffff, v16
	v_lshrrev_b32_e32 v54, 16, v17
	v_lshrrev_b32_e32 v55, 16, v18
	;; [unrolled: 1-line block ×3, first 2 shown]
	v_mul_u32_u24_e32 v53, 0x10001, v53
	v_mul_u32_u24_e32 v57, 0x10001, v16
	v_and_b32_e32 v16, 0xffff, v17
	v_mul_u32_u24_e32 v54, 0x10001, v54
	v_mul_u32_u24_e32 v55, 0x10001, v55
	;; [unrolled: 1-line block ×3, first 2 shown]
	v_pk_fma_f16 v39, v20, v57, v39
	v_mul_u32_u24_e32 v58, 0x10001, v16
	v_and_b32_e32 v16, 0xffff, v18
	v_pk_fma_f16 v40, v20, v53, v40
	v_pk_fma_f16 v42, v20, v54, v42
	;; [unrolled: 1-line block ×4, first 2 shown]
	v_mul_u32_u24_e32 v59, 0x10001, v16
	v_and_b32_e32 v16, 0xffff, v19
	v_pk_fma_f16 v44, v20, v56, v44
	s_delay_alu instid0(VALU_DEP_3) | instskip(NEXT) | instid1(VALU_DEP_3)
	v_pk_fma_f16 v22, v20, v59, v22
	v_mul_u32_u24_e32 v60, 0x10001, v16
	ds_load_b128 v[16:19], v127 offset:1440
	v_pk_fma_f16 v23, v20, v60, v23
	s_wait_dscnt 0x0
	v_lshrrev_b32_e32 v61, 16, v16
	v_lshrrev_b32_e32 v62, 16, v17
	;; [unrolled: 1-line block ×4, first 2 shown]
	v_and_b32_e32 v16, 0xffff, v16
	v_and_b32_e32 v17, 0xffff, v17
	;; [unrolled: 1-line block ×4, first 2 shown]
	v_mul_u32_u24_e32 v61, 0x10001, v61
	v_mul_u32_u24_e32 v16, 0x10001, v16
	;; [unrolled: 1-line block ×6, first 2 shown]
	v_pk_fma_f16 v45, v20, v16, v45
	v_pk_fma_f16 v47, v20, v17, v47
	;; [unrolled: 1-line block ×4, first 2 shown]
	ds_load_b128 v[16:19], v127 offset:432
	v_mul_u32_u24_e32 v63, 0x10001, v63
	v_mul_u32_u24_e32 v80, 0x10001, v80
	v_pk_fma_f16 v46, v20, v61, v46
	v_pk_fma_f16 v48, v20, v62, v48
	s_delay_alu instid0(VALU_DEP_4) | instskip(NEXT) | instid1(VALU_DEP_4)
	v_pk_fma_f16 v50, v20, v63, v50
	v_pk_fma_f16 v20, v20, v80, v52
	s_wait_dscnt 0x0
	v_lshrrev_b32_e32 v52, 16, v16
	v_and_b32_e32 v16, 0xffff, v16
	v_lshrrev_b32_e32 v53, 16, v17
	v_lshrrev_b32_e32 v54, 16, v18
	;; [unrolled: 1-line block ×3, first 2 shown]
	v_mul_u32_u24_e32 v52, 0x10001, v52
	v_mul_u32_u24_e32 v56, 0x10001, v16
	v_and_b32_e32 v16, 0xffff, v17
	v_mul_u32_u24_e32 v53, 0x10001, v53
	v_mul_u32_u24_e32 v54, 0x10001, v54
	;; [unrolled: 1-line block ×3, first 2 shown]
	v_pk_fma_f16 v39, v21, v56, v39
	v_mul_u32_u24_e32 v57, 0x10001, v16
	v_and_b32_e32 v16, 0xffff, v18
	v_pk_fma_f16 v40, v21, v52, v40
	v_pk_fma_f16 v42, v21, v53, v42
	;; [unrolled: 1-line block ×4, first 2 shown]
	v_mul_u32_u24_e32 v58, 0x10001, v16
	v_and_b32_e32 v16, 0xffff, v19
	v_pk_fma_f16 v44, v21, v55, v44
	s_delay_alu instid0(VALU_DEP_3) | instskip(NEXT) | instid1(VALU_DEP_3)
	v_pk_fma_f16 v22, v21, v58, v22
	v_mul_u32_u24_e32 v59, 0x10001, v16
	ds_load_b128 v[16:19], v127 offset:1456
	v_pk_fma_f16 v23, v21, v59, v23
	s_wait_dscnt 0x0
	v_lshrrev_b32_e32 v60, 16, v16
	v_lshrrev_b32_e32 v61, 16, v17
	;; [unrolled: 1-line block ×4, first 2 shown]
	v_and_b32_e32 v16, 0xffff, v16
	v_and_b32_e32 v17, 0xffff, v17
	;; [unrolled: 1-line block ×4, first 2 shown]
	v_mul_u32_u24_e32 v60, 0x10001, v60
	v_mul_u32_u24_e32 v16, 0x10001, v16
	v_mul_u32_u24_e32 v17, 0x10001, v17
	v_mul_u32_u24_e32 v61, 0x10001, v61
	v_mul_u32_u24_e32 v18, 0x10001, v18
	v_mul_u32_u24_e32 v62, 0x10001, v62
	v_mul_u32_u24_e32 v19, 0x10001, v19
	v_mul_u32_u24_e32 v63, 0x10001, v63
	v_pk_fma_f16 v45, v21, v16, v45
	v_pk_fma_f16 v46, v21, v60, v46
	;; [unrolled: 1-line block ×8, first 2 shown]
	ds_load_2addr_b32 v[20:21], v135 offset0:128 offset1:160
	ds_load_b128 v[16:19], v127 offset:448
	s_wait_dscnt 0x0
	v_lshrrev_b32_e32 v53, 16, v16
	v_and_b32_e32 v16, 0xffff, v16
	v_lshrrev_b32_e32 v54, 16, v17
	v_lshrrev_b32_e32 v55, 16, v18
	;; [unrolled: 1-line block ×3, first 2 shown]
	v_mul_u32_u24_e32 v53, 0x10001, v53
	v_mul_u32_u24_e32 v57, 0x10001, v16
	v_and_b32_e32 v16, 0xffff, v17
	v_mul_u32_u24_e32 v54, 0x10001, v54
	v_mul_u32_u24_e32 v55, 0x10001, v55
	;; [unrolled: 1-line block ×3, first 2 shown]
	v_pk_fma_f16 v39, v20, v57, v39
	v_mul_u32_u24_e32 v58, 0x10001, v16
	v_and_b32_e32 v16, 0xffff, v18
	v_pk_fma_f16 v40, v20, v53, v40
	v_pk_fma_f16 v42, v20, v54, v42
	;; [unrolled: 1-line block ×4, first 2 shown]
	v_mul_u32_u24_e32 v59, 0x10001, v16
	v_and_b32_e32 v16, 0xffff, v19
	v_pk_fma_f16 v44, v20, v56, v44
	s_delay_alu instid0(VALU_DEP_3) | instskip(NEXT) | instid1(VALU_DEP_3)
	v_pk_fma_f16 v22, v20, v59, v22
	v_mul_u32_u24_e32 v60, 0x10001, v16
	ds_load_b128 v[16:19], v127 offset:1472
	v_pk_fma_f16 v23, v20, v60, v23
	s_wait_dscnt 0x0
	v_lshrrev_b32_e32 v61, 16, v16
	v_lshrrev_b32_e32 v62, 16, v17
	;; [unrolled: 1-line block ×4, first 2 shown]
	v_and_b32_e32 v16, 0xffff, v16
	v_and_b32_e32 v17, 0xffff, v17
	;; [unrolled: 1-line block ×4, first 2 shown]
	v_mul_u32_u24_e32 v61, 0x10001, v61
	v_mul_u32_u24_e32 v16, 0x10001, v16
	;; [unrolled: 1-line block ×6, first 2 shown]
	v_pk_fma_f16 v45, v20, v16, v45
	v_pk_fma_f16 v47, v20, v17, v47
	;; [unrolled: 1-line block ×4, first 2 shown]
	ds_load_b128 v[16:19], v127 offset:464
	v_mul_u32_u24_e32 v63, 0x10001, v63
	v_mul_u32_u24_e32 v80, 0x10001, v80
	v_pk_fma_f16 v46, v20, v61, v46
	v_pk_fma_f16 v48, v20, v62, v48
	s_delay_alu instid0(VALU_DEP_4) | instskip(NEXT) | instid1(VALU_DEP_4)
	v_pk_fma_f16 v50, v20, v63, v50
	v_pk_fma_f16 v20, v20, v80, v52
	s_wait_dscnt 0x0
	v_lshrrev_b32_e32 v52, 16, v16
	v_and_b32_e32 v16, 0xffff, v16
	v_lshrrev_b32_e32 v53, 16, v17
	v_lshrrev_b32_e32 v54, 16, v18
	;; [unrolled: 1-line block ×3, first 2 shown]
	v_mul_u32_u24_e32 v52, 0x10001, v52
	v_mul_u32_u24_e32 v56, 0x10001, v16
	v_and_b32_e32 v16, 0xffff, v17
	v_mul_u32_u24_e32 v53, 0x10001, v53
	v_mul_u32_u24_e32 v54, 0x10001, v54
	;; [unrolled: 1-line block ×3, first 2 shown]
	v_pk_fma_f16 v39, v21, v56, v39
	v_mul_u32_u24_e32 v57, 0x10001, v16
	v_and_b32_e32 v16, 0xffff, v18
	v_pk_fma_f16 v40, v21, v52, v40
	v_pk_fma_f16 v42, v21, v53, v42
	;; [unrolled: 1-line block ×4, first 2 shown]
	v_mul_u32_u24_e32 v58, 0x10001, v16
	v_and_b32_e32 v16, 0xffff, v19
	v_pk_fma_f16 v44, v21, v55, v44
	s_delay_alu instid0(VALU_DEP_3) | instskip(NEXT) | instid1(VALU_DEP_3)
	v_pk_fma_f16 v22, v21, v58, v22
	v_mul_u32_u24_e32 v59, 0x10001, v16
	ds_load_b128 v[16:19], v127 offset:1488
	v_pk_fma_f16 v23, v21, v59, v23
	s_wait_dscnt 0x0
	v_lshrrev_b32_e32 v60, 16, v16
	v_lshrrev_b32_e32 v61, 16, v17
	;; [unrolled: 1-line block ×4, first 2 shown]
	v_and_b32_e32 v16, 0xffff, v16
	v_and_b32_e32 v17, 0xffff, v17
	;; [unrolled: 1-line block ×4, first 2 shown]
	v_mul_u32_u24_e32 v60, 0x10001, v60
	v_mul_u32_u24_e32 v16, 0x10001, v16
	;; [unrolled: 1-line block ×8, first 2 shown]
	v_pk_fma_f16 v45, v21, v16, v45
	v_pk_fma_f16 v46, v21, v60, v46
	;; [unrolled: 1-line block ×8, first 2 shown]
	ds_load_2addr_b32 v[20:21], v135 offset0:192 offset1:224
	ds_load_b128 v[16:19], v127 offset:480
	s_wait_dscnt 0x0
	v_lshrrev_b32_e32 v53, 16, v16
	v_and_b32_e32 v16, 0xffff, v16
	v_lshrrev_b32_e32 v54, 16, v17
	v_lshrrev_b32_e32 v55, 16, v18
	;; [unrolled: 1-line block ×3, first 2 shown]
	v_mul_u32_u24_e32 v53, 0x10001, v53
	v_mul_u32_u24_e32 v57, 0x10001, v16
	v_and_b32_e32 v16, 0xffff, v17
	v_mul_u32_u24_e32 v54, 0x10001, v54
	v_mul_u32_u24_e32 v55, 0x10001, v55
	;; [unrolled: 1-line block ×3, first 2 shown]
	v_pk_fma_f16 v39, v20, v57, v39
	v_mul_u32_u24_e32 v58, 0x10001, v16
	v_and_b32_e32 v16, 0xffff, v18
	v_pk_fma_f16 v40, v20, v53, v40
	v_pk_fma_f16 v42, v20, v54, v42
	v_pk_fma_f16 v43, v20, v55, v43
	v_pk_fma_f16 v41, v20, v58, v41
	v_mul_u32_u24_e32 v59, 0x10001, v16
	v_and_b32_e32 v16, 0xffff, v19
	v_pk_fma_f16 v44, v20, v56, v44
	s_delay_alu instid0(VALU_DEP_3) | instskip(NEXT) | instid1(VALU_DEP_3)
	v_pk_fma_f16 v22, v20, v59, v22
	v_mul_u32_u24_e32 v60, 0x10001, v16
	ds_load_b128 v[16:19], v127 offset:1504
	v_pk_fma_f16 v23, v20, v60, v23
	s_wait_dscnt 0x0
	v_lshrrev_b32_e32 v61, 16, v16
	v_lshrrev_b32_e32 v62, 16, v17
	;; [unrolled: 1-line block ×4, first 2 shown]
	v_and_b32_e32 v16, 0xffff, v16
	v_and_b32_e32 v17, 0xffff, v17
	;; [unrolled: 1-line block ×4, first 2 shown]
	v_mul_u32_u24_e32 v61, 0x10001, v61
	v_mul_u32_u24_e32 v16, 0x10001, v16
	v_mul_u32_u24_e32 v17, 0x10001, v17
	v_mul_u32_u24_e32 v18, 0x10001, v18
	v_mul_u32_u24_e32 v19, 0x10001, v19
	v_mul_u32_u24_e32 v62, 0x10001, v62
	v_pk_fma_f16 v45, v20, v16, v45
	v_pk_fma_f16 v47, v20, v17, v47
	v_pk_fma_f16 v49, v20, v18, v49
	v_pk_fma_f16 v51, v20, v19, v51
	ds_load_b128 v[16:19], v127 offset:496
	v_mul_u32_u24_e32 v63, 0x10001, v63
	v_mul_u32_u24_e32 v80, 0x10001, v80
	v_pk_fma_f16 v46, v20, v61, v46
	v_pk_fma_f16 v48, v20, v62, v48
	s_delay_alu instid0(VALU_DEP_4) | instskip(NEXT) | instid1(VALU_DEP_4)
	v_pk_fma_f16 v50, v20, v63, v50
	v_pk_fma_f16 v20, v20, v80, v52
	s_wait_dscnt 0x0
	v_lshrrev_b32_e32 v52, 16, v16
	v_and_b32_e32 v16, 0xffff, v16
	v_lshrrev_b32_e32 v53, 16, v17
	v_lshrrev_b32_e32 v54, 16, v18
	;; [unrolled: 1-line block ×3, first 2 shown]
	v_mul_u32_u24_e32 v52, 0x10001, v52
	v_mul_u32_u24_e32 v56, 0x10001, v16
	v_and_b32_e32 v16, 0xffff, v17
	v_mul_u32_u24_e32 v53, 0x10001, v53
	v_mul_u32_u24_e32 v54, 0x10001, v54
	;; [unrolled: 1-line block ×3, first 2 shown]
	v_pk_fma_f16 v39, v21, v56, v39
	v_mul_u32_u24_e32 v57, 0x10001, v16
	v_and_b32_e32 v16, 0xffff, v18
	v_pk_fma_f16 v40, v21, v52, v40
	v_pk_fma_f16 v42, v21, v53, v42
	;; [unrolled: 1-line block ×4, first 2 shown]
	v_mul_u32_u24_e32 v58, 0x10001, v16
	v_and_b32_e32 v16, 0xffff, v19
	v_pk_fma_f16 v44, v21, v55, v44
	s_delay_alu instid0(VALU_DEP_3) | instskip(NEXT) | instid1(VALU_DEP_3)
	v_pk_fma_f16 v22, v21, v58, v22
	v_mul_u32_u24_e32 v59, 0x10001, v16
	ds_load_b128 v[16:19], v127 offset:1520
	v_pk_fma_f16 v23, v21, v59, v23
	s_wait_dscnt 0x0
	v_lshrrev_b32_e32 v60, 16, v16
	v_lshrrev_b32_e32 v61, 16, v17
	;; [unrolled: 1-line block ×4, first 2 shown]
	v_and_b32_e32 v16, 0xffff, v16
	v_and_b32_e32 v17, 0xffff, v17
	;; [unrolled: 1-line block ×4, first 2 shown]
	v_mul_u32_u24_e32 v60, 0x10001, v60
	v_mul_u32_u24_e32 v16, 0x10001, v16
	;; [unrolled: 1-line block ×8, first 2 shown]
	v_pk_fma_f16 v45, v21, v16, v45
	v_pk_fma_f16 v46, v21, v60, v46
	v_pk_fma_f16 v47, v21, v17, v47
	v_pk_fma_f16 v48, v21, v61, v48
	v_pk_fma_f16 v49, v21, v18, v49
	v_pk_fma_f16 v50, v21, v62, v50
	v_pk_fma_f16 v51, v21, v19, v51
	v_pk_fma_f16 v52, v21, v63, v20
	ds_load_2addr_b32 v[20:21], v136 offset1:32
	ds_load_b128 v[16:19], v127 offset:512
	s_wait_dscnt 0x0
	v_lshrrev_b32_e32 v53, 16, v16
	v_and_b32_e32 v16, 0xffff, v16
	v_lshrrev_b32_e32 v54, 16, v17
	v_lshrrev_b32_e32 v55, 16, v18
	;; [unrolled: 1-line block ×3, first 2 shown]
	v_mul_u32_u24_e32 v53, 0x10001, v53
	v_mul_u32_u24_e32 v57, 0x10001, v16
	v_and_b32_e32 v16, 0xffff, v17
	v_mul_u32_u24_e32 v54, 0x10001, v54
	v_mul_u32_u24_e32 v55, 0x10001, v55
	;; [unrolled: 1-line block ×3, first 2 shown]
	v_pk_fma_f16 v39, v20, v57, v39
	v_mul_u32_u24_e32 v58, 0x10001, v16
	v_and_b32_e32 v16, 0xffff, v18
	v_pk_fma_f16 v40, v20, v53, v40
	v_pk_fma_f16 v42, v20, v54, v42
	;; [unrolled: 1-line block ×4, first 2 shown]
	v_mul_u32_u24_e32 v59, 0x10001, v16
	v_and_b32_e32 v16, 0xffff, v19
	v_pk_fma_f16 v44, v20, v56, v44
	s_delay_alu instid0(VALU_DEP_3) | instskip(NEXT) | instid1(VALU_DEP_3)
	v_pk_fma_f16 v22, v20, v59, v22
	v_mul_u32_u24_e32 v60, 0x10001, v16
	ds_load_b128 v[16:19], v127 offset:1536
	v_pk_fma_f16 v23, v20, v60, v23
	s_wait_dscnt 0x0
	v_lshrrev_b32_e32 v61, 16, v16
	v_lshrrev_b32_e32 v62, 16, v17
	;; [unrolled: 1-line block ×4, first 2 shown]
	v_and_b32_e32 v16, 0xffff, v16
	v_and_b32_e32 v17, 0xffff, v17
	;; [unrolled: 1-line block ×4, first 2 shown]
	v_mul_u32_u24_e32 v61, 0x10001, v61
	v_mul_u32_u24_e32 v16, 0x10001, v16
	;; [unrolled: 1-line block ×6, first 2 shown]
	v_pk_fma_f16 v45, v20, v16, v45
	v_pk_fma_f16 v47, v20, v17, v47
	;; [unrolled: 1-line block ×4, first 2 shown]
	ds_load_b128 v[16:19], v127 offset:528
	v_mul_u32_u24_e32 v63, 0x10001, v63
	v_mul_u32_u24_e32 v80, 0x10001, v80
	v_pk_fma_f16 v46, v20, v61, v46
	v_pk_fma_f16 v48, v20, v62, v48
	s_delay_alu instid0(VALU_DEP_4) | instskip(NEXT) | instid1(VALU_DEP_4)
	v_pk_fma_f16 v50, v20, v63, v50
	v_pk_fma_f16 v20, v20, v80, v52
	s_wait_dscnt 0x0
	v_lshrrev_b32_e32 v52, 16, v16
	v_and_b32_e32 v16, 0xffff, v16
	v_lshrrev_b32_e32 v53, 16, v17
	v_lshrrev_b32_e32 v54, 16, v18
	;; [unrolled: 1-line block ×3, first 2 shown]
	v_mul_u32_u24_e32 v52, 0x10001, v52
	v_mul_u32_u24_e32 v56, 0x10001, v16
	v_and_b32_e32 v16, 0xffff, v17
	v_mul_u32_u24_e32 v53, 0x10001, v53
	v_mul_u32_u24_e32 v54, 0x10001, v54
	;; [unrolled: 1-line block ×3, first 2 shown]
	v_pk_fma_f16 v39, v21, v56, v39
	v_mul_u32_u24_e32 v57, 0x10001, v16
	v_and_b32_e32 v16, 0xffff, v18
	v_pk_fma_f16 v40, v21, v52, v40
	v_pk_fma_f16 v42, v21, v53, v42
	;; [unrolled: 1-line block ×4, first 2 shown]
	v_mul_u32_u24_e32 v58, 0x10001, v16
	v_and_b32_e32 v16, 0xffff, v19
	v_pk_fma_f16 v44, v21, v55, v44
	s_delay_alu instid0(VALU_DEP_3) | instskip(NEXT) | instid1(VALU_DEP_3)
	v_pk_fma_f16 v22, v21, v58, v22
	v_mul_u32_u24_e32 v59, 0x10001, v16
	ds_load_b128 v[16:19], v127 offset:1552
	v_pk_fma_f16 v23, v21, v59, v23
	s_wait_dscnt 0x0
	v_lshrrev_b32_e32 v60, 16, v16
	v_lshrrev_b32_e32 v61, 16, v17
	;; [unrolled: 1-line block ×4, first 2 shown]
	v_and_b32_e32 v16, 0xffff, v16
	v_and_b32_e32 v17, 0xffff, v17
	;; [unrolled: 1-line block ×4, first 2 shown]
	v_mul_u32_u24_e32 v60, 0x10001, v60
	v_mul_u32_u24_e32 v16, 0x10001, v16
	;; [unrolled: 1-line block ×8, first 2 shown]
	v_pk_fma_f16 v45, v21, v16, v45
	v_pk_fma_f16 v46, v21, v60, v46
	;; [unrolled: 1-line block ×8, first 2 shown]
	ds_load_2addr_b32 v[20:21], v136 offset0:64 offset1:96
	ds_load_b128 v[16:19], v127 offset:544
	s_wait_dscnt 0x0
	v_lshrrev_b32_e32 v53, 16, v16
	v_and_b32_e32 v16, 0xffff, v16
	v_lshrrev_b32_e32 v54, 16, v17
	v_lshrrev_b32_e32 v55, 16, v18
	;; [unrolled: 1-line block ×3, first 2 shown]
	v_mul_u32_u24_e32 v53, 0x10001, v53
	v_mul_u32_u24_e32 v57, 0x10001, v16
	v_and_b32_e32 v16, 0xffff, v17
	v_mul_u32_u24_e32 v54, 0x10001, v54
	v_mul_u32_u24_e32 v55, 0x10001, v55
	;; [unrolled: 1-line block ×3, first 2 shown]
	v_pk_fma_f16 v39, v20, v57, v39
	v_mul_u32_u24_e32 v58, 0x10001, v16
	v_and_b32_e32 v16, 0xffff, v18
	v_pk_fma_f16 v40, v20, v53, v40
	v_pk_fma_f16 v42, v20, v54, v42
	;; [unrolled: 1-line block ×4, first 2 shown]
	v_mul_u32_u24_e32 v59, 0x10001, v16
	v_and_b32_e32 v16, 0xffff, v19
	v_pk_fma_f16 v44, v20, v56, v44
	s_delay_alu instid0(VALU_DEP_3) | instskip(NEXT) | instid1(VALU_DEP_3)
	v_pk_fma_f16 v22, v20, v59, v22
	v_mul_u32_u24_e32 v60, 0x10001, v16
	ds_load_b128 v[16:19], v127 offset:1568
	v_pk_fma_f16 v23, v20, v60, v23
	s_wait_dscnt 0x0
	v_lshrrev_b32_e32 v61, 16, v16
	v_lshrrev_b32_e32 v62, 16, v17
	;; [unrolled: 1-line block ×4, first 2 shown]
	v_and_b32_e32 v16, 0xffff, v16
	v_and_b32_e32 v17, 0xffff, v17
	;; [unrolled: 1-line block ×4, first 2 shown]
	v_mul_u32_u24_e32 v61, 0x10001, v61
	v_mul_u32_u24_e32 v16, 0x10001, v16
	;; [unrolled: 1-line block ×6, first 2 shown]
	v_pk_fma_f16 v45, v20, v16, v45
	v_pk_fma_f16 v47, v20, v17, v47
	;; [unrolled: 1-line block ×4, first 2 shown]
	ds_load_b128 v[16:19], v127 offset:560
	v_mul_u32_u24_e32 v63, 0x10001, v63
	v_mul_u32_u24_e32 v80, 0x10001, v80
	v_pk_fma_f16 v46, v20, v61, v46
	v_pk_fma_f16 v48, v20, v62, v48
	s_delay_alu instid0(VALU_DEP_4) | instskip(NEXT) | instid1(VALU_DEP_4)
	v_pk_fma_f16 v50, v20, v63, v50
	v_pk_fma_f16 v20, v20, v80, v52
	s_wait_dscnt 0x0
	v_lshrrev_b32_e32 v52, 16, v16
	v_and_b32_e32 v16, 0xffff, v16
	v_lshrrev_b32_e32 v53, 16, v17
	v_lshrrev_b32_e32 v54, 16, v18
	;; [unrolled: 1-line block ×3, first 2 shown]
	v_mul_u32_u24_e32 v52, 0x10001, v52
	v_mul_u32_u24_e32 v56, 0x10001, v16
	v_and_b32_e32 v16, 0xffff, v17
	v_mul_u32_u24_e32 v53, 0x10001, v53
	v_mul_u32_u24_e32 v54, 0x10001, v54
	;; [unrolled: 1-line block ×3, first 2 shown]
	v_pk_fma_f16 v39, v21, v56, v39
	v_mul_u32_u24_e32 v57, 0x10001, v16
	v_and_b32_e32 v16, 0xffff, v18
	v_pk_fma_f16 v40, v21, v52, v40
	v_pk_fma_f16 v42, v21, v53, v42
	;; [unrolled: 1-line block ×4, first 2 shown]
	v_mul_u32_u24_e32 v58, 0x10001, v16
	v_and_b32_e32 v16, 0xffff, v19
	v_pk_fma_f16 v44, v21, v55, v44
	s_delay_alu instid0(VALU_DEP_3) | instskip(NEXT) | instid1(VALU_DEP_3)
	v_pk_fma_f16 v22, v21, v58, v22
	v_mul_u32_u24_e32 v59, 0x10001, v16
	ds_load_b128 v[16:19], v127 offset:1584
	v_pk_fma_f16 v23, v21, v59, v23
	s_wait_dscnt 0x0
	v_lshrrev_b32_e32 v60, 16, v16
	v_lshrrev_b32_e32 v61, 16, v17
	;; [unrolled: 1-line block ×4, first 2 shown]
	v_and_b32_e32 v16, 0xffff, v16
	v_and_b32_e32 v17, 0xffff, v17
	;; [unrolled: 1-line block ×4, first 2 shown]
	v_mul_u32_u24_e32 v60, 0x10001, v60
	v_mul_u32_u24_e32 v16, 0x10001, v16
	v_mul_u32_u24_e32 v17, 0x10001, v17
	v_mul_u32_u24_e32 v61, 0x10001, v61
	v_mul_u32_u24_e32 v18, 0x10001, v18
	v_mul_u32_u24_e32 v62, 0x10001, v62
	v_mul_u32_u24_e32 v19, 0x10001, v19
	v_mul_u32_u24_e32 v63, 0x10001, v63
	v_pk_fma_f16 v45, v21, v16, v45
	v_pk_fma_f16 v46, v21, v60, v46
	v_pk_fma_f16 v47, v21, v17, v47
	v_pk_fma_f16 v48, v21, v61, v48
	v_pk_fma_f16 v49, v21, v18, v49
	v_pk_fma_f16 v50, v21, v62, v50
	v_pk_fma_f16 v51, v21, v19, v51
	v_pk_fma_f16 v52, v21, v63, v20
	ds_load_2addr_b32 v[20:21], v136 offset0:128 offset1:160
	ds_load_b128 v[16:19], v127 offset:576
	s_wait_dscnt 0x0
	v_lshrrev_b32_e32 v53, 16, v16
	v_and_b32_e32 v16, 0xffff, v16
	v_lshrrev_b32_e32 v54, 16, v17
	v_lshrrev_b32_e32 v55, 16, v18
	;; [unrolled: 1-line block ×3, first 2 shown]
	v_mul_u32_u24_e32 v53, 0x10001, v53
	v_mul_u32_u24_e32 v57, 0x10001, v16
	v_and_b32_e32 v16, 0xffff, v17
	v_mul_u32_u24_e32 v54, 0x10001, v54
	v_mul_u32_u24_e32 v55, 0x10001, v55
	;; [unrolled: 1-line block ×3, first 2 shown]
	v_pk_fma_f16 v39, v20, v57, v39
	v_mul_u32_u24_e32 v58, 0x10001, v16
	v_and_b32_e32 v16, 0xffff, v18
	v_pk_fma_f16 v40, v20, v53, v40
	v_pk_fma_f16 v42, v20, v54, v42
	v_pk_fma_f16 v43, v20, v55, v43
	v_pk_fma_f16 v41, v20, v58, v41
	v_mul_u32_u24_e32 v59, 0x10001, v16
	v_and_b32_e32 v16, 0xffff, v19
	v_pk_fma_f16 v44, v20, v56, v44
	s_delay_alu instid0(VALU_DEP_3) | instskip(NEXT) | instid1(VALU_DEP_3)
	v_pk_fma_f16 v22, v20, v59, v22
	v_mul_u32_u24_e32 v60, 0x10001, v16
	ds_load_b128 v[16:19], v127 offset:1600
	v_pk_fma_f16 v23, v20, v60, v23
	s_wait_dscnt 0x0
	v_lshrrev_b32_e32 v61, 16, v16
	v_lshrrev_b32_e32 v62, 16, v17
	;; [unrolled: 1-line block ×4, first 2 shown]
	v_and_b32_e32 v16, 0xffff, v16
	v_and_b32_e32 v17, 0xffff, v17
	v_and_b32_e32 v18, 0xffff, v18
	v_and_b32_e32 v19, 0xffff, v19
	v_mul_u32_u24_e32 v61, 0x10001, v61
	v_mul_u32_u24_e32 v16, 0x10001, v16
	;; [unrolled: 1-line block ×6, first 2 shown]
	v_pk_fma_f16 v45, v20, v16, v45
	v_pk_fma_f16 v47, v20, v17, v47
	;; [unrolled: 1-line block ×4, first 2 shown]
	ds_load_b128 v[16:19], v127 offset:592
	v_mul_u32_u24_e32 v63, 0x10001, v63
	v_mul_u32_u24_e32 v80, 0x10001, v80
	v_pk_fma_f16 v46, v20, v61, v46
	v_pk_fma_f16 v48, v20, v62, v48
	s_delay_alu instid0(VALU_DEP_4) | instskip(NEXT) | instid1(VALU_DEP_4)
	v_pk_fma_f16 v50, v20, v63, v50
	v_pk_fma_f16 v20, v20, v80, v52
	s_wait_dscnt 0x0
	v_lshrrev_b32_e32 v52, 16, v16
	v_and_b32_e32 v16, 0xffff, v16
	v_lshrrev_b32_e32 v53, 16, v17
	v_lshrrev_b32_e32 v54, 16, v18
	;; [unrolled: 1-line block ×3, first 2 shown]
	v_mul_u32_u24_e32 v52, 0x10001, v52
	v_mul_u32_u24_e32 v56, 0x10001, v16
	v_and_b32_e32 v16, 0xffff, v17
	v_mul_u32_u24_e32 v53, 0x10001, v53
	v_mul_u32_u24_e32 v54, 0x10001, v54
	v_mul_u32_u24_e32 v55, 0x10001, v55
	v_pk_fma_f16 v39, v21, v56, v39
	v_mul_u32_u24_e32 v57, 0x10001, v16
	v_and_b32_e32 v16, 0xffff, v18
	v_pk_fma_f16 v40, v21, v52, v40
	v_pk_fma_f16 v42, v21, v53, v42
	;; [unrolled: 1-line block ×4, first 2 shown]
	v_mul_u32_u24_e32 v58, 0x10001, v16
	v_and_b32_e32 v16, 0xffff, v19
	v_pk_fma_f16 v44, v21, v55, v44
	s_delay_alu instid0(VALU_DEP_3) | instskip(NEXT) | instid1(VALU_DEP_3)
	v_pk_fma_f16 v22, v21, v58, v22
	v_mul_u32_u24_e32 v59, 0x10001, v16
	ds_load_b128 v[16:19], v127 offset:1616
	v_pk_fma_f16 v23, v21, v59, v23
	s_wait_dscnt 0x0
	v_lshrrev_b32_e32 v60, 16, v16
	v_lshrrev_b32_e32 v61, 16, v17
	v_lshrrev_b32_e32 v62, 16, v18
	v_lshrrev_b32_e32 v63, 16, v19
	v_and_b32_e32 v16, 0xffff, v16
	v_and_b32_e32 v17, 0xffff, v17
	v_and_b32_e32 v18, 0xffff, v18
	v_and_b32_e32 v19, 0xffff, v19
	v_mul_u32_u24_e32 v60, 0x10001, v60
	v_mul_u32_u24_e32 v16, 0x10001, v16
	;; [unrolled: 1-line block ×8, first 2 shown]
	v_pk_fma_f16 v45, v21, v16, v45
	v_pk_fma_f16 v46, v21, v60, v46
	;; [unrolled: 1-line block ×8, first 2 shown]
	ds_load_2addr_b32 v[20:21], v136 offset0:192 offset1:224
	ds_load_b128 v[16:19], v127 offset:608
	s_wait_dscnt 0x0
	v_lshrrev_b32_e32 v53, 16, v16
	v_and_b32_e32 v16, 0xffff, v16
	v_lshrrev_b32_e32 v54, 16, v17
	v_lshrrev_b32_e32 v55, 16, v18
	;; [unrolled: 1-line block ×3, first 2 shown]
	v_mul_u32_u24_e32 v53, 0x10001, v53
	v_mul_u32_u24_e32 v57, 0x10001, v16
	v_and_b32_e32 v16, 0xffff, v17
	v_mul_u32_u24_e32 v54, 0x10001, v54
	v_mul_u32_u24_e32 v55, 0x10001, v55
	;; [unrolled: 1-line block ×3, first 2 shown]
	v_pk_fma_f16 v39, v20, v57, v39
	v_mul_u32_u24_e32 v58, 0x10001, v16
	v_and_b32_e32 v16, 0xffff, v18
	v_pk_fma_f16 v40, v20, v53, v40
	v_pk_fma_f16 v42, v20, v54, v42
	;; [unrolled: 1-line block ×4, first 2 shown]
	v_mul_u32_u24_e32 v59, 0x10001, v16
	v_and_b32_e32 v16, 0xffff, v19
	v_pk_fma_f16 v44, v20, v56, v44
	s_delay_alu instid0(VALU_DEP_3) | instskip(NEXT) | instid1(VALU_DEP_3)
	v_pk_fma_f16 v22, v20, v59, v22
	v_mul_u32_u24_e32 v60, 0x10001, v16
	ds_load_b128 v[16:19], v127 offset:1632
	v_pk_fma_f16 v23, v20, v60, v23
	s_wait_dscnt 0x0
	v_lshrrev_b32_e32 v61, 16, v16
	v_lshrrev_b32_e32 v62, 16, v17
	;; [unrolled: 1-line block ×4, first 2 shown]
	v_and_b32_e32 v16, 0xffff, v16
	v_and_b32_e32 v17, 0xffff, v17
	;; [unrolled: 1-line block ×4, first 2 shown]
	v_mul_u32_u24_e32 v61, 0x10001, v61
	v_mul_u32_u24_e32 v16, 0x10001, v16
	;; [unrolled: 1-line block ×6, first 2 shown]
	v_pk_fma_f16 v45, v20, v16, v45
	v_pk_fma_f16 v47, v20, v17, v47
	;; [unrolled: 1-line block ×4, first 2 shown]
	ds_load_b128 v[16:19], v127 offset:624
	v_mul_u32_u24_e32 v63, 0x10001, v63
	v_mul_u32_u24_e32 v80, 0x10001, v80
	v_pk_fma_f16 v46, v20, v61, v46
	v_pk_fma_f16 v48, v20, v62, v48
	s_delay_alu instid0(VALU_DEP_4) | instskip(NEXT) | instid1(VALU_DEP_4)
	v_pk_fma_f16 v50, v20, v63, v50
	v_pk_fma_f16 v20, v20, v80, v52
	s_wait_dscnt 0x0
	v_lshrrev_b32_e32 v52, 16, v16
	v_and_b32_e32 v16, 0xffff, v16
	v_lshrrev_b32_e32 v53, 16, v17
	v_lshrrev_b32_e32 v54, 16, v18
	;; [unrolled: 1-line block ×3, first 2 shown]
	v_mul_u32_u24_e32 v52, 0x10001, v52
	v_mul_u32_u24_e32 v56, 0x10001, v16
	v_and_b32_e32 v16, 0xffff, v17
	v_mul_u32_u24_e32 v53, 0x10001, v53
	v_mul_u32_u24_e32 v54, 0x10001, v54
	;; [unrolled: 1-line block ×3, first 2 shown]
	v_pk_fma_f16 v39, v21, v56, v39
	v_mul_u32_u24_e32 v57, 0x10001, v16
	v_and_b32_e32 v16, 0xffff, v18
	v_pk_fma_f16 v40, v21, v52, v40
	v_pk_fma_f16 v42, v21, v53, v42
	;; [unrolled: 1-line block ×4, first 2 shown]
	v_mul_u32_u24_e32 v58, 0x10001, v16
	v_and_b32_e32 v16, 0xffff, v19
	v_pk_fma_f16 v44, v21, v55, v44
	s_delay_alu instid0(VALU_DEP_3) | instskip(NEXT) | instid1(VALU_DEP_3)
	v_pk_fma_f16 v22, v21, v58, v22
	v_mul_u32_u24_e32 v59, 0x10001, v16
	ds_load_b128 v[16:19], v127 offset:1648
	v_pk_fma_f16 v23, v21, v59, v23
	s_wait_dscnt 0x0
	v_lshrrev_b32_e32 v60, 16, v16
	v_lshrrev_b32_e32 v61, 16, v17
	;; [unrolled: 1-line block ×4, first 2 shown]
	v_and_b32_e32 v16, 0xffff, v16
	v_and_b32_e32 v17, 0xffff, v17
	v_and_b32_e32 v18, 0xffff, v18
	v_and_b32_e32 v19, 0xffff, v19
	v_mul_u32_u24_e32 v60, 0x10001, v60
	v_mul_u32_u24_e32 v16, 0x10001, v16
	;; [unrolled: 1-line block ×8, first 2 shown]
	v_pk_fma_f16 v45, v21, v16, v45
	v_pk_fma_f16 v46, v21, v60, v46
	v_pk_fma_f16 v47, v21, v17, v47
	v_pk_fma_f16 v48, v21, v61, v48
	v_pk_fma_f16 v49, v21, v18, v49
	v_pk_fma_f16 v50, v21, v62, v50
	v_pk_fma_f16 v51, v21, v19, v51
	v_pk_fma_f16 v52, v21, v63, v20
	ds_load_2addr_b32 v[20:21], v137 offset1:32
	ds_load_b128 v[16:19], v127 offset:640
	s_wait_dscnt 0x0
	v_lshrrev_b32_e32 v53, 16, v16
	v_and_b32_e32 v16, 0xffff, v16
	v_lshrrev_b32_e32 v54, 16, v17
	v_lshrrev_b32_e32 v55, 16, v18
	;; [unrolled: 1-line block ×3, first 2 shown]
	v_mul_u32_u24_e32 v53, 0x10001, v53
	v_mul_u32_u24_e32 v57, 0x10001, v16
	v_and_b32_e32 v16, 0xffff, v17
	v_mul_u32_u24_e32 v54, 0x10001, v54
	v_mul_u32_u24_e32 v55, 0x10001, v55
	;; [unrolled: 1-line block ×3, first 2 shown]
	v_pk_fma_f16 v39, v20, v57, v39
	v_mul_u32_u24_e32 v58, 0x10001, v16
	v_and_b32_e32 v16, 0xffff, v18
	v_pk_fma_f16 v40, v20, v53, v40
	v_pk_fma_f16 v42, v20, v54, v42
	;; [unrolled: 1-line block ×4, first 2 shown]
	v_mul_u32_u24_e32 v59, 0x10001, v16
	v_and_b32_e32 v16, 0xffff, v19
	v_pk_fma_f16 v44, v20, v56, v44
	s_delay_alu instid0(VALU_DEP_3) | instskip(NEXT) | instid1(VALU_DEP_3)
	v_pk_fma_f16 v22, v20, v59, v22
	v_mul_u32_u24_e32 v60, 0x10001, v16
	ds_load_b128 v[16:19], v127 offset:1664
	v_pk_fma_f16 v23, v20, v60, v23
	s_wait_dscnt 0x0
	v_lshrrev_b32_e32 v61, 16, v16
	v_lshrrev_b32_e32 v62, 16, v17
	;; [unrolled: 1-line block ×4, first 2 shown]
	v_and_b32_e32 v16, 0xffff, v16
	v_and_b32_e32 v17, 0xffff, v17
	;; [unrolled: 1-line block ×4, first 2 shown]
	v_mul_u32_u24_e32 v61, 0x10001, v61
	v_mul_u32_u24_e32 v16, 0x10001, v16
	;; [unrolled: 1-line block ×6, first 2 shown]
	v_pk_fma_f16 v45, v20, v16, v45
	v_pk_fma_f16 v47, v20, v17, v47
	;; [unrolled: 1-line block ×4, first 2 shown]
	ds_load_b128 v[16:19], v127 offset:656
	v_mul_u32_u24_e32 v63, 0x10001, v63
	v_mul_u32_u24_e32 v80, 0x10001, v80
	v_pk_fma_f16 v46, v20, v61, v46
	v_pk_fma_f16 v48, v20, v62, v48
	s_delay_alu instid0(VALU_DEP_4) | instskip(NEXT) | instid1(VALU_DEP_4)
	v_pk_fma_f16 v50, v20, v63, v50
	v_pk_fma_f16 v20, v20, v80, v52
	s_wait_dscnt 0x0
	v_lshrrev_b32_e32 v52, 16, v16
	v_and_b32_e32 v16, 0xffff, v16
	v_lshrrev_b32_e32 v53, 16, v17
	v_lshrrev_b32_e32 v54, 16, v18
	;; [unrolled: 1-line block ×3, first 2 shown]
	v_mul_u32_u24_e32 v52, 0x10001, v52
	v_mul_u32_u24_e32 v56, 0x10001, v16
	v_and_b32_e32 v16, 0xffff, v17
	v_mul_u32_u24_e32 v53, 0x10001, v53
	v_mul_u32_u24_e32 v54, 0x10001, v54
	;; [unrolled: 1-line block ×3, first 2 shown]
	v_pk_fma_f16 v39, v21, v56, v39
	v_mul_u32_u24_e32 v57, 0x10001, v16
	v_and_b32_e32 v16, 0xffff, v18
	v_pk_fma_f16 v40, v21, v52, v40
	v_pk_fma_f16 v42, v21, v53, v42
	;; [unrolled: 1-line block ×4, first 2 shown]
	v_mul_u32_u24_e32 v58, 0x10001, v16
	v_and_b32_e32 v16, 0xffff, v19
	v_pk_fma_f16 v44, v21, v55, v44
	s_delay_alu instid0(VALU_DEP_3) | instskip(NEXT) | instid1(VALU_DEP_3)
	v_pk_fma_f16 v22, v21, v58, v22
	v_mul_u32_u24_e32 v59, 0x10001, v16
	ds_load_b128 v[16:19], v127 offset:1680
	v_pk_fma_f16 v23, v21, v59, v23
	s_wait_dscnt 0x0
	v_lshrrev_b32_e32 v60, 16, v16
	v_lshrrev_b32_e32 v61, 16, v17
	;; [unrolled: 1-line block ×4, first 2 shown]
	v_and_b32_e32 v16, 0xffff, v16
	v_and_b32_e32 v17, 0xffff, v17
	;; [unrolled: 1-line block ×4, first 2 shown]
	v_mul_u32_u24_e32 v60, 0x10001, v60
	v_mul_u32_u24_e32 v16, 0x10001, v16
	v_mul_u32_u24_e32 v17, 0x10001, v17
	v_mul_u32_u24_e32 v61, 0x10001, v61
	v_mul_u32_u24_e32 v18, 0x10001, v18
	v_mul_u32_u24_e32 v62, 0x10001, v62
	v_mul_u32_u24_e32 v19, 0x10001, v19
	v_mul_u32_u24_e32 v63, 0x10001, v63
	v_pk_fma_f16 v45, v21, v16, v45
	v_pk_fma_f16 v46, v21, v60, v46
	;; [unrolled: 1-line block ×8, first 2 shown]
	ds_load_2addr_b32 v[20:21], v137 offset0:64 offset1:96
	ds_load_b128 v[16:19], v127 offset:672
	s_wait_dscnt 0x0
	v_lshrrev_b32_e32 v53, 16, v16
	v_and_b32_e32 v16, 0xffff, v16
	v_lshrrev_b32_e32 v54, 16, v17
	v_lshrrev_b32_e32 v55, 16, v18
	;; [unrolled: 1-line block ×3, first 2 shown]
	v_mul_u32_u24_e32 v53, 0x10001, v53
	v_mul_u32_u24_e32 v57, 0x10001, v16
	v_and_b32_e32 v16, 0xffff, v17
	v_mul_u32_u24_e32 v54, 0x10001, v54
	v_mul_u32_u24_e32 v55, 0x10001, v55
	;; [unrolled: 1-line block ×3, first 2 shown]
	v_pk_fma_f16 v39, v20, v57, v39
	v_mul_u32_u24_e32 v58, 0x10001, v16
	v_and_b32_e32 v16, 0xffff, v18
	v_pk_fma_f16 v40, v20, v53, v40
	v_pk_fma_f16 v42, v20, v54, v42
	;; [unrolled: 1-line block ×4, first 2 shown]
	v_mul_u32_u24_e32 v59, 0x10001, v16
	v_and_b32_e32 v16, 0xffff, v19
	v_pk_fma_f16 v44, v20, v56, v44
	s_delay_alu instid0(VALU_DEP_3) | instskip(NEXT) | instid1(VALU_DEP_3)
	v_pk_fma_f16 v22, v20, v59, v22
	v_mul_u32_u24_e32 v60, 0x10001, v16
	ds_load_b128 v[16:19], v127 offset:1696
	v_pk_fma_f16 v23, v20, v60, v23
	s_wait_dscnt 0x0
	v_lshrrev_b32_e32 v61, 16, v16
	v_lshrrev_b32_e32 v62, 16, v17
	;; [unrolled: 1-line block ×4, first 2 shown]
	v_and_b32_e32 v16, 0xffff, v16
	v_and_b32_e32 v17, 0xffff, v17
	;; [unrolled: 1-line block ×4, first 2 shown]
	v_mul_u32_u24_e32 v61, 0x10001, v61
	v_mul_u32_u24_e32 v16, 0x10001, v16
	v_mul_u32_u24_e32 v17, 0x10001, v17
	v_mul_u32_u24_e32 v18, 0x10001, v18
	v_mul_u32_u24_e32 v19, 0x10001, v19
	v_mul_u32_u24_e32 v62, 0x10001, v62
	v_pk_fma_f16 v45, v20, v16, v45
	v_pk_fma_f16 v47, v20, v17, v47
	;; [unrolled: 1-line block ×4, first 2 shown]
	ds_load_b128 v[16:19], v127 offset:688
	v_mul_u32_u24_e32 v63, 0x10001, v63
	v_mul_u32_u24_e32 v80, 0x10001, v80
	v_pk_fma_f16 v46, v20, v61, v46
	v_pk_fma_f16 v48, v20, v62, v48
	s_delay_alu instid0(VALU_DEP_4) | instskip(NEXT) | instid1(VALU_DEP_4)
	v_pk_fma_f16 v50, v20, v63, v50
	v_pk_fma_f16 v20, v20, v80, v52
	s_wait_dscnt 0x0
	v_lshrrev_b32_e32 v52, 16, v16
	v_and_b32_e32 v16, 0xffff, v16
	v_lshrrev_b32_e32 v53, 16, v17
	v_lshrrev_b32_e32 v54, 16, v18
	;; [unrolled: 1-line block ×3, first 2 shown]
	v_mul_u32_u24_e32 v52, 0x10001, v52
	v_mul_u32_u24_e32 v56, 0x10001, v16
	v_and_b32_e32 v16, 0xffff, v17
	v_mul_u32_u24_e32 v53, 0x10001, v53
	v_mul_u32_u24_e32 v54, 0x10001, v54
	;; [unrolled: 1-line block ×3, first 2 shown]
	v_pk_fma_f16 v39, v21, v56, v39
	v_mul_u32_u24_e32 v57, 0x10001, v16
	v_and_b32_e32 v16, 0xffff, v18
	v_pk_fma_f16 v40, v21, v52, v40
	v_pk_fma_f16 v42, v21, v53, v42
	;; [unrolled: 1-line block ×4, first 2 shown]
	v_mul_u32_u24_e32 v58, 0x10001, v16
	v_and_b32_e32 v16, 0xffff, v19
	v_pk_fma_f16 v44, v21, v55, v44
	s_delay_alu instid0(VALU_DEP_3) | instskip(NEXT) | instid1(VALU_DEP_3)
	v_pk_fma_f16 v22, v21, v58, v22
	v_mul_u32_u24_e32 v59, 0x10001, v16
	ds_load_b128 v[16:19], v127 offset:1712
	v_pk_fma_f16 v23, v21, v59, v23
	s_wait_dscnt 0x0
	v_lshrrev_b32_e32 v60, 16, v16
	v_lshrrev_b32_e32 v61, 16, v17
	;; [unrolled: 1-line block ×4, first 2 shown]
	v_and_b32_e32 v16, 0xffff, v16
	v_and_b32_e32 v17, 0xffff, v17
	;; [unrolled: 1-line block ×4, first 2 shown]
	v_mul_u32_u24_e32 v60, 0x10001, v60
	v_mul_u32_u24_e32 v16, 0x10001, v16
	;; [unrolled: 1-line block ×8, first 2 shown]
	v_pk_fma_f16 v45, v21, v16, v45
	v_pk_fma_f16 v46, v21, v60, v46
	;; [unrolled: 1-line block ×8, first 2 shown]
	ds_load_2addr_b32 v[20:21], v137 offset0:128 offset1:160
	ds_load_b128 v[16:19], v127 offset:704
	s_wait_dscnt 0x0
	v_lshrrev_b32_e32 v53, 16, v16
	v_and_b32_e32 v16, 0xffff, v16
	v_lshrrev_b32_e32 v54, 16, v17
	v_lshrrev_b32_e32 v55, 16, v18
	;; [unrolled: 1-line block ×3, first 2 shown]
	v_mul_u32_u24_e32 v53, 0x10001, v53
	v_mul_u32_u24_e32 v57, 0x10001, v16
	v_and_b32_e32 v16, 0xffff, v17
	v_mul_u32_u24_e32 v54, 0x10001, v54
	v_mul_u32_u24_e32 v55, 0x10001, v55
	;; [unrolled: 1-line block ×3, first 2 shown]
	v_pk_fma_f16 v39, v20, v57, v39
	v_mul_u32_u24_e32 v58, 0x10001, v16
	v_and_b32_e32 v16, 0xffff, v18
	v_pk_fma_f16 v40, v20, v53, v40
	v_pk_fma_f16 v42, v20, v54, v42
	;; [unrolled: 1-line block ×4, first 2 shown]
	v_mul_u32_u24_e32 v59, 0x10001, v16
	v_and_b32_e32 v16, 0xffff, v19
	v_pk_fma_f16 v44, v20, v56, v44
	s_delay_alu instid0(VALU_DEP_3) | instskip(NEXT) | instid1(VALU_DEP_3)
	v_pk_fma_f16 v22, v20, v59, v22
	v_mul_u32_u24_e32 v60, 0x10001, v16
	ds_load_b128 v[16:19], v127 offset:1728
	v_pk_fma_f16 v23, v20, v60, v23
	s_wait_dscnt 0x0
	v_lshrrev_b32_e32 v61, 16, v16
	v_lshrrev_b32_e32 v62, 16, v17
	v_lshrrev_b32_e32 v63, 16, v18
	v_lshrrev_b32_e32 v80, 16, v19
	v_and_b32_e32 v16, 0xffff, v16
	v_and_b32_e32 v17, 0xffff, v17
	;; [unrolled: 1-line block ×4, first 2 shown]
	v_mul_u32_u24_e32 v61, 0x10001, v61
	v_mul_u32_u24_e32 v16, 0x10001, v16
	;; [unrolled: 1-line block ×6, first 2 shown]
	v_pk_fma_f16 v45, v20, v16, v45
	v_pk_fma_f16 v47, v20, v17, v47
	v_pk_fma_f16 v49, v20, v18, v49
	v_pk_fma_f16 v51, v20, v19, v51
	ds_load_b128 v[16:19], v127 offset:720
	v_mul_u32_u24_e32 v63, 0x10001, v63
	v_mul_u32_u24_e32 v80, 0x10001, v80
	v_pk_fma_f16 v46, v20, v61, v46
	v_pk_fma_f16 v48, v20, v62, v48
	s_delay_alu instid0(VALU_DEP_4) | instskip(NEXT) | instid1(VALU_DEP_4)
	v_pk_fma_f16 v50, v20, v63, v50
	v_pk_fma_f16 v20, v20, v80, v52
	s_wait_dscnt 0x0
	v_lshrrev_b32_e32 v52, 16, v16
	v_and_b32_e32 v16, 0xffff, v16
	v_lshrrev_b32_e32 v53, 16, v17
	v_lshrrev_b32_e32 v54, 16, v18
	;; [unrolled: 1-line block ×3, first 2 shown]
	v_mul_u32_u24_e32 v52, 0x10001, v52
	v_mul_u32_u24_e32 v56, 0x10001, v16
	v_and_b32_e32 v16, 0xffff, v17
	v_mul_u32_u24_e32 v53, 0x10001, v53
	v_mul_u32_u24_e32 v54, 0x10001, v54
	v_pk_fma_f16 v40, v21, v52, v40
	v_mul_u32_u24_e32 v55, 0x10001, v55
	v_mul_u32_u24_e32 v57, 0x10001, v16
	v_and_b32_e32 v16, 0xffff, v18
	v_pk_fma_f16 v42, v21, v53, v42
	v_pk_fma_f16 v39, v21, v56, v39
	;; [unrolled: 1-line block ×4, first 2 shown]
	v_mul_u32_u24_e32 v58, 0x10001, v16
	v_and_b32_e32 v16, 0xffff, v19
	v_pk_fma_f16 v44, v21, v55, v44
	s_delay_alu instid0(VALU_DEP_3) | instskip(NEXT) | instid1(VALU_DEP_3)
	v_pk_fma_f16 v22, v21, v58, v22
	v_mul_u32_u24_e32 v59, 0x10001, v16
	ds_load_b128 v[16:19], v127 offset:1744
	v_pk_fma_f16 v23, v21, v59, v23
	s_wait_dscnt 0x0
	v_lshrrev_b32_e32 v60, 16, v16
	v_lshrrev_b32_e32 v61, 16, v17
	;; [unrolled: 1-line block ×4, first 2 shown]
	v_and_b32_e32 v16, 0xffff, v16
	v_and_b32_e32 v17, 0xffff, v17
	;; [unrolled: 1-line block ×4, first 2 shown]
	v_mul_u32_u24_e32 v61, 0x10001, v61
	v_mul_u32_u24_e32 v16, 0x10001, v16
	;; [unrolled: 1-line block ×5, first 2 shown]
	v_pk_fma_f16 v53, v21, v61, v48
	v_pk_fma_f16 v45, v21, v16, v45
	;; [unrolled: 1-line block ×5, first 2 shown]
	ds_load_2addr_b32 v[47:48], v137 offset0:192 offset1:224
	ds_load_b128 v[16:19], v127 offset:736
	v_mul_u32_u24_e32 v60, 0x10001, v60
	v_mul_u32_u24_e32 v62, 0x10001, v62
	v_mul_u32_u24_e32 v63, 0x10001, v63
	s_delay_alu instid0(VALU_DEP_3) | instskip(NEXT) | instid1(VALU_DEP_3)
	v_pk_fma_f16 v46, v21, v60, v46
	v_pk_fma_f16 v50, v21, v62, v50
	s_delay_alu instid0(VALU_DEP_3)
	v_pk_fma_f16 v20, v21, v63, v20
	s_wait_dscnt 0x0
	v_lshrrev_b32_e32 v21, 16, v16
	v_and_b32_e32 v16, 0xffff, v16
	v_lshrrev_b32_e32 v54, 16, v17
	v_lshrrev_b32_e32 v55, 16, v18
	;; [unrolled: 1-line block ×3, first 2 shown]
	v_mul_u32_u24_e32 v21, 0x10001, v21
	v_mul_u32_u24_e32 v57, 0x10001, v16
	v_and_b32_e32 v16, 0xffff, v17
	v_mul_u32_u24_e32 v54, 0x10001, v54
	v_mul_u32_u24_e32 v55, 0x10001, v55
	;; [unrolled: 1-line block ×3, first 2 shown]
	v_pk_fma_f16 v21, v47, v21, v40
	v_mul_u32_u24_e32 v58, 0x10001, v16
	v_and_b32_e32 v16, 0xffff, v18
	v_pk_fma_f16 v39, v47, v57, v39
	v_pk_fma_f16 v44, v47, v56, v44
	s_delay_alu instid0(VALU_DEP_4) | instskip(NEXT) | instid1(VALU_DEP_4)
	v_pk_fma_f16 v40, v47, v58, v41
	v_mul_u32_u24_e32 v59, 0x10001, v16
	v_and_b32_e32 v16, 0xffff, v19
	v_pk_fma_f16 v41, v47, v54, v42
	v_pk_fma_f16 v42, v47, v55, v43
	s_delay_alu instid0(VALU_DEP_4) | instskip(NEXT) | instid1(VALU_DEP_4)
	v_pk_fma_f16 v22, v47, v59, v22
	v_mul_u32_u24_e32 v60, 0x10001, v16
	ds_load_b128 v[16:19], v127 offset:1760
	v_pk_fma_f16 v43, v47, v60, v23
	s_wait_dscnt 0x0
	v_lshrrev_b32_e32 v61, 16, v16
	v_lshrrev_b32_e32 v62, 16, v17
	;; [unrolled: 1-line block ×4, first 2 shown]
	v_and_b32_e32 v16, 0xffff, v16
	v_and_b32_e32 v17, 0xffff, v17
	;; [unrolled: 1-line block ×4, first 2 shown]
	v_mul_u32_u24_e32 v61, 0x10001, v61
	v_mul_u32_u24_e32 v16, 0x10001, v16
	;; [unrolled: 1-line block ×6, first 2 shown]
	v_pk_fma_f16 v45, v47, v16, v45
	v_pk_fma_f16 v52, v47, v17, v52
	;; [unrolled: 1-line block ×4, first 2 shown]
	ds_load_b128 v[16:19], v127 offset:752
	v_mul_u32_u24_e32 v63, 0x10001, v63
	v_mul_u32_u24_e32 v80, 0x10001, v80
	v_pk_fma_f16 v46, v47, v61, v46
	v_pk_fma_f16 v53, v47, v62, v53
	s_delay_alu instid0(VALU_DEP_4) | instskip(NEXT) | instid1(VALU_DEP_4)
	v_pk_fma_f16 v50, v47, v63, v50
	v_pk_fma_f16 v20, v47, v80, v20
	s_wait_dscnt 0x0
	v_lshrrev_b32_e32 v23, 16, v16
	v_and_b32_e32 v16, 0xffff, v16
	v_lshrrev_b32_e32 v47, 16, v17
	v_lshrrev_b32_e32 v54, 16, v18
	;; [unrolled: 1-line block ×3, first 2 shown]
	v_mul_u32_u24_e32 v23, 0x10001, v23
	v_mul_u32_u24_e32 v56, 0x10001, v16
	v_and_b32_e32 v16, 0xffff, v17
	v_mul_u32_u24_e32 v47, 0x10001, v47
	v_mul_u32_u24_e32 v54, 0x10001, v54
	;; [unrolled: 1-line block ×3, first 2 shown]
	s_delay_alu instid0(VALU_DEP_4) | instskip(SKIP_1) | instid1(VALU_DEP_1)
	v_mul_u32_u24_e32 v57, 0x10001, v16
	v_and_b32_e32 v16, 0xffff, v18
	v_mul_u32_u24_e32 v58, 0x10001, v16
	v_and_b32_e32 v16, 0xffff, v19
	s_delay_alu instid0(VALU_DEP_2) | instskip(NEXT) | instid1(VALU_DEP_2)
	v_pk_fma_f16 v22, v48, v58, v22
	v_mul_u32_u24_e32 v59, 0x10001, v16
	ds_load_b128 v[16:19], v127 offset:1776
	s_wait_dscnt 0x0
	v_lshrrev_b32_e32 v60, 16, v16
	v_and_b32_e32 v16, 0xffff, v16
	v_lshrrev_b32_e32 v61, 16, v17
	v_lshrrev_b32_e32 v62, 16, v18
	;; [unrolled: 1-line block ×3, first 2 shown]
	v_mul_u32_u24_e32 v60, 0x10001, v60
	v_mul_u32_u24_e32 v80, 0x10001, v16
	v_and_b32_e32 v16, 0xffff, v17
	v_mul_u32_u24_e32 v61, 0x10001, v61
	v_mul_u32_u24_e32 v62, 0x10001, v62
	;; [unrolled: 1-line block ×3, first 2 shown]
	v_pk_fma_f16 v17, v48, v23, v21
	v_mul_u32_u24_e32 v81, 0x10001, v16
	v_and_b32_e32 v16, 0xffff, v18
	v_pk_fma_f16 v18, v48, v57, v40
	v_pk_fma_f16 v21, v48, v47, v41
	;; [unrolled: 1-line block ×4, first 2 shown]
	v_mul_u32_u24_e32 v82, 0x10001, v16
	v_and_b32_e32 v16, 0xffff, v19
	v_pk_fma_f16 v41, v48, v80, v45
	v_pk_fma_f16 v42, v48, v60, v46
	;; [unrolled: 1-line block ×4, first 2 shown]
	v_mul_u32_u24_e32 v19, 0x10001, v16
	v_pk_fma_f16 v16, v48, v56, v39
	v_pk_fma_f16 v39, v48, v59, v43
	;; [unrolled: 1-line block ×6, first 2 shown]
	ds_load_2addr_b32 v[19:20], v138 offset1:32
	ds_load_b128 v[52:55], v127 offset:768
	s_wait_dscnt 0x0
	v_lshrrev_b32_e32 v56, 16, v53
	v_lshrrev_b32_e32 v57, 16, v54
	;; [unrolled: 1-line block ×4, first 2 shown]
	v_and_b32_e32 v49, 0xffff, v52
	v_and_b32_e32 v51, 0xffff, v53
	v_mul_u32_u24_e32 v52, 0x10001, v56
	v_and_b32_e32 v53, 0xffff, v54
	v_mul_u32_u24_e32 v54, 0x10001, v57
	v_mul_u32_u24_e32 v56, 0x10001, v58
	ds_load_b128 v[57:60], v127 offset:1792
	v_and_b32_e32 v55, 0xffff, v55
	v_mul_u32_u24_e32 v49, 0x10001, v49
	v_mul_u32_u24_e32 v50, 0x10001, v50
	;; [unrolled: 1-line block ×5, first 2 shown]
	v_pk_fma_f16 v49, v19, v49, v16
	v_pk_fma_f16 v50, v19, v50, v17
	;; [unrolled: 1-line block ×8, first 2 shown]
	s_wait_dscnt 0x0
	v_lshrrev_b32_e32 v61, 16, v57
	v_lshrrev_b32_e32 v62, 16, v58
	;; [unrolled: 1-line block ×4, first 2 shown]
	v_and_b32_e32 v57, 0xffff, v57
	v_and_b32_e32 v58, 0xffff, v58
	;; [unrolled: 1-line block ×4, first 2 shown]
	v_mul_u32_u24_e32 v61, 0x10001, v61
	v_mul_u32_u24_e32 v57, 0x10001, v57
	;; [unrolled: 1-line block ×8, first 2 shown]
	v_pk_fma_f16 v41, v19, v57, v41
	v_pk_fma_f16 v42, v19, v61, v42
	;; [unrolled: 1-line block ×8, first 2 shown]
	ds_load_b128 v[16:19], v127 offset:784
	s_wait_dscnt 0x0
	v_lshrrev_b32_e32 v53, 16, v16
	v_and_b32_e32 v16, 0xffff, v16
	v_lshrrev_b32_e32 v55, 16, v17
	v_lshrrev_b32_e32 v57, 16, v18
	;; [unrolled: 1-line block ×3, first 2 shown]
	v_mul_u32_u24_e32 v53, 0x10001, v53
	v_mul_u32_u24_e32 v52, 0x10001, v16
	v_and_b32_e32 v16, 0xffff, v17
	v_mul_u32_u24_e32 v55, 0x10001, v55
	v_mul_u32_u24_e32 v57, 0x10001, v57
	v_mul_u32_u24_e32 v59, 0x10001, v59
	v_pk_fma_f16 v49, v20, v52, v49
	v_mul_u32_u24_e32 v54, 0x10001, v16
	v_and_b32_e32 v16, 0xffff, v18
	v_pk_fma_f16 v50, v20, v53, v50
	v_pk_fma_f16 v52, v20, v55, v21
	;; [unrolled: 1-line block ×4, first 2 shown]
	v_mul_u32_u24_e32 v56, 0x10001, v16
	v_and_b32_e32 v16, 0xffff, v19
	v_pk_fma_f16 v40, v20, v59, v40
	s_delay_alu instid0(VALU_DEP_3) | instskip(NEXT) | instid1(VALU_DEP_3)
	v_pk_fma_f16 v22, v20, v56, v22
	v_mul_u32_u24_e32 v58, 0x10001, v16
	ds_load_b128 v[16:19], v127 offset:1808
	v_pk_fma_f16 v39, v20, v58, v39
	s_wait_dscnt 0x0
	v_lshrrev_b32_e32 v60, 16, v16
	v_lshrrev_b32_e32 v61, 16, v17
	;; [unrolled: 1-line block ×4, first 2 shown]
	v_and_b32_e32 v16, 0xffff, v16
	v_and_b32_e32 v17, 0xffff, v17
	;; [unrolled: 1-line block ×4, first 2 shown]
	v_mul_u32_u24_e32 v60, 0x10001, v60
	v_mul_u32_u24_e32 v16, 0x10001, v16
	;; [unrolled: 1-line block ×8, first 2 shown]
	v_pk_fma_f16 v41, v20, v16, v41
	v_pk_fma_f16 v42, v20, v60, v42
	;; [unrolled: 1-line block ×8, first 2 shown]
	ds_load_2addr_b32 v[20:21], v138 offset0:64 offset1:96
	ds_load_b128 v[16:19], v127 offset:800
	s_wait_dscnt 0x0
	v_lshrrev_b32_e32 v53, 16, v16
	v_and_b32_e32 v16, 0xffff, v16
	v_lshrrev_b32_e32 v54, 16, v17
	v_lshrrev_b32_e32 v55, 16, v18
	;; [unrolled: 1-line block ×3, first 2 shown]
	v_mul_u32_u24_e32 v53, 0x10001, v53
	v_mul_u32_u24_e32 v57, 0x10001, v16
	v_and_b32_e32 v16, 0xffff, v17
	v_mul_u32_u24_e32 v54, 0x10001, v54
	v_mul_u32_u24_e32 v55, 0x10001, v55
	v_mul_u32_u24_e32 v56, 0x10001, v56
	v_pk_fma_f16 v49, v20, v57, v49
	v_mul_u32_u24_e32 v58, 0x10001, v16
	v_and_b32_e32 v16, 0xffff, v18
	v_pk_fma_f16 v50, v20, v53, v50
	v_pk_fma_f16 v52, v20, v54, v52
	v_pk_fma_f16 v23, v20, v55, v23
	v_pk_fma_f16 v51, v20, v58, v51
	v_mul_u32_u24_e32 v59, 0x10001, v16
	v_and_b32_e32 v16, 0xffff, v19
	v_pk_fma_f16 v40, v20, v56, v40
	s_delay_alu instid0(VALU_DEP_3) | instskip(NEXT) | instid1(VALU_DEP_3)
	v_pk_fma_f16 v22, v20, v59, v22
	v_mul_u32_u24_e32 v60, 0x10001, v16
	ds_load_b128 v[16:19], v127 offset:1824
	v_pk_fma_f16 v39, v20, v60, v39
	s_wait_dscnt 0x0
	v_lshrrev_b32_e32 v61, 16, v16
	v_lshrrev_b32_e32 v62, 16, v17
	;; [unrolled: 1-line block ×4, first 2 shown]
	v_and_b32_e32 v16, 0xffff, v16
	v_and_b32_e32 v17, 0xffff, v17
	v_and_b32_e32 v18, 0xffff, v18
	v_and_b32_e32 v19, 0xffff, v19
	v_mul_u32_u24_e32 v61, 0x10001, v61
	v_mul_u32_u24_e32 v16, 0x10001, v16
	;; [unrolled: 1-line block ×6, first 2 shown]
	v_pk_fma_f16 v41, v20, v16, v41
	v_pk_fma_f16 v43, v20, v17, v43
	;; [unrolled: 1-line block ×4, first 2 shown]
	ds_load_b128 v[16:19], v127 offset:816
	v_mul_u32_u24_e32 v63, 0x10001, v63
	v_mul_u32_u24_e32 v80, 0x10001, v80
	v_pk_fma_f16 v42, v20, v61, v42
	v_pk_fma_f16 v44, v20, v62, v44
	s_delay_alu instid0(VALU_DEP_4) | instskip(NEXT) | instid1(VALU_DEP_4)
	v_pk_fma_f16 v46, v20, v63, v46
	v_pk_fma_f16 v20, v20, v80, v48
	s_wait_dscnt 0x0
	v_lshrrev_b32_e32 v48, 16, v16
	v_and_b32_e32 v16, 0xffff, v16
	v_lshrrev_b32_e32 v53, 16, v17
	v_lshrrev_b32_e32 v54, 16, v18
	;; [unrolled: 1-line block ×3, first 2 shown]
	v_mul_u32_u24_e32 v48, 0x10001, v48
	v_mul_u32_u24_e32 v56, 0x10001, v16
	v_and_b32_e32 v16, 0xffff, v17
	v_mul_u32_u24_e32 v53, 0x10001, v53
	v_mul_u32_u24_e32 v54, 0x10001, v54
	;; [unrolled: 1-line block ×3, first 2 shown]
	v_pk_fma_f16 v49, v21, v56, v49
	v_mul_u32_u24_e32 v57, 0x10001, v16
	v_and_b32_e32 v16, 0xffff, v18
	v_pk_fma_f16 v48, v21, v48, v50
	v_pk_fma_f16 v23, v21, v54, v23
	;; [unrolled: 1-line block ×4, first 2 shown]
	v_mul_u32_u24_e32 v58, 0x10001, v16
	v_and_b32_e32 v16, 0xffff, v19
	v_pk_fma_f16 v51, v21, v53, v52
	s_delay_alu instid0(VALU_DEP_3) | instskip(NEXT) | instid1(VALU_DEP_3)
	v_pk_fma_f16 v22, v21, v58, v22
	v_mul_u32_u24_e32 v59, 0x10001, v16
	ds_load_b128 v[16:19], v127 offset:1840
	v_pk_fma_f16 v39, v21, v59, v39
	s_wait_dscnt 0x0
	v_lshrrev_b32_e32 v60, 16, v16
	v_lshrrev_b32_e32 v61, 16, v17
	v_lshrrev_b32_e32 v62, 16, v18
	v_lshrrev_b32_e32 v63, 16, v19
	v_and_b32_e32 v16, 0xffff, v16
	v_and_b32_e32 v17, 0xffff, v17
	;; [unrolled: 1-line block ×4, first 2 shown]
	v_mul_u32_u24_e32 v60, 0x10001, v60
	v_mul_u32_u24_e32 v16, 0x10001, v16
	;; [unrolled: 1-line block ×8, first 2 shown]
	v_pk_fma_f16 v41, v21, v16, v41
	v_pk_fma_f16 v42, v21, v60, v42
	;; [unrolled: 1-line block ×8, first 2 shown]
	ds_load_2addr_b32 v[20:21], v138 offset0:128 offset1:160
	ds_load_b128 v[16:19], v127 offset:832
	s_wait_dscnt 0x0
	v_lshrrev_b32_e32 v53, 16, v16
	v_and_b32_e32 v16, 0xffff, v16
	v_lshrrev_b32_e32 v54, 16, v17
	v_lshrrev_b32_e32 v55, 16, v18
	;; [unrolled: 1-line block ×3, first 2 shown]
	v_mul_u32_u24_e32 v53, 0x10001, v53
	v_mul_u32_u24_e32 v57, 0x10001, v16
	v_and_b32_e32 v16, 0xffff, v17
	v_mul_u32_u24_e32 v54, 0x10001, v54
	v_mul_u32_u24_e32 v55, 0x10001, v55
	;; [unrolled: 1-line block ×3, first 2 shown]
	v_pk_fma_f16 v49, v20, v57, v49
	v_mul_u32_u24_e32 v58, 0x10001, v16
	v_and_b32_e32 v16, 0xffff, v18
	v_pk_fma_f16 v48, v20, v53, v48
	v_pk_fma_f16 v51, v20, v54, v51
	;; [unrolled: 1-line block ×4, first 2 shown]
	v_mul_u32_u24_e32 v59, 0x10001, v16
	v_and_b32_e32 v16, 0xffff, v19
	v_pk_fma_f16 v40, v20, v56, v40
	s_delay_alu instid0(VALU_DEP_3) | instskip(NEXT) | instid1(VALU_DEP_3)
	v_pk_fma_f16 v22, v20, v59, v22
	v_mul_u32_u24_e32 v60, 0x10001, v16
	ds_load_b128 v[16:19], v127 offset:1856
	v_pk_fma_f16 v39, v20, v60, v39
	s_wait_dscnt 0x0
	v_lshrrev_b32_e32 v61, 16, v16
	v_lshrrev_b32_e32 v62, 16, v17
	;; [unrolled: 1-line block ×4, first 2 shown]
	v_and_b32_e32 v16, 0xffff, v16
	v_and_b32_e32 v17, 0xffff, v17
	;; [unrolled: 1-line block ×4, first 2 shown]
	v_mul_u32_u24_e32 v61, 0x10001, v61
	v_mul_u32_u24_e32 v16, 0x10001, v16
	;; [unrolled: 1-line block ×6, first 2 shown]
	v_pk_fma_f16 v41, v20, v16, v41
	v_pk_fma_f16 v43, v20, v17, v43
	;; [unrolled: 1-line block ×4, first 2 shown]
	ds_load_b128 v[16:19], v127 offset:848
	v_mul_u32_u24_e32 v63, 0x10001, v63
	v_mul_u32_u24_e32 v80, 0x10001, v80
	v_pk_fma_f16 v42, v20, v61, v42
	v_pk_fma_f16 v44, v20, v62, v44
	s_delay_alu instid0(VALU_DEP_4) | instskip(NEXT) | instid1(VALU_DEP_4)
	v_pk_fma_f16 v46, v20, v63, v46
	v_pk_fma_f16 v20, v20, v80, v52
	s_wait_dscnt 0x0
	v_lshrrev_b32_e32 v52, 16, v16
	v_and_b32_e32 v16, 0xffff, v16
	v_lshrrev_b32_e32 v53, 16, v17
	v_lshrrev_b32_e32 v54, 16, v18
	;; [unrolled: 1-line block ×3, first 2 shown]
	v_mul_u32_u24_e32 v52, 0x10001, v52
	v_mul_u32_u24_e32 v56, 0x10001, v16
	v_and_b32_e32 v16, 0xffff, v17
	v_mul_u32_u24_e32 v53, 0x10001, v53
	v_mul_u32_u24_e32 v54, 0x10001, v54
	;; [unrolled: 1-line block ×3, first 2 shown]
	v_pk_fma_f16 v49, v21, v56, v49
	v_mul_u32_u24_e32 v57, 0x10001, v16
	v_and_b32_e32 v16, 0xffff, v18
	v_pk_fma_f16 v48, v21, v52, v48
	v_pk_fma_f16 v51, v21, v53, v51
	;; [unrolled: 1-line block ×4, first 2 shown]
	v_mul_u32_u24_e32 v58, 0x10001, v16
	v_and_b32_e32 v16, 0xffff, v19
	v_pk_fma_f16 v40, v21, v55, v40
	s_delay_alu instid0(VALU_DEP_3) | instskip(NEXT) | instid1(VALU_DEP_3)
	v_pk_fma_f16 v22, v21, v58, v22
	v_mul_u32_u24_e32 v59, 0x10001, v16
	ds_load_b128 v[16:19], v127 offset:1872
	v_pk_fma_f16 v39, v21, v59, v39
	s_wait_dscnt 0x0
	v_lshrrev_b32_e32 v60, 16, v16
	v_lshrrev_b32_e32 v61, 16, v17
	;; [unrolled: 1-line block ×4, first 2 shown]
	v_and_b32_e32 v16, 0xffff, v16
	v_and_b32_e32 v17, 0xffff, v17
	;; [unrolled: 1-line block ×4, first 2 shown]
	v_mul_u32_u24_e32 v60, 0x10001, v60
	v_mul_u32_u24_e32 v16, 0x10001, v16
	;; [unrolled: 1-line block ×8, first 2 shown]
	v_pk_fma_f16 v41, v21, v16, v41
	v_pk_fma_f16 v42, v21, v60, v42
	v_pk_fma_f16 v43, v21, v17, v43
	v_pk_fma_f16 v44, v21, v61, v44
	v_pk_fma_f16 v45, v21, v18, v45
	v_pk_fma_f16 v46, v21, v62, v46
	v_pk_fma_f16 v47, v21, v19, v47
	v_pk_fma_f16 v52, v21, v63, v20
	ds_load_2addr_b32 v[20:21], v138 offset0:192 offset1:224
	ds_load_b128 v[16:19], v127 offset:864
	s_wait_dscnt 0x0
	v_lshrrev_b32_e32 v53, 16, v16
	v_and_b32_e32 v16, 0xffff, v16
	v_lshrrev_b32_e32 v54, 16, v17
	v_lshrrev_b32_e32 v55, 16, v18
	;; [unrolled: 1-line block ×3, first 2 shown]
	v_mul_u32_u24_e32 v53, 0x10001, v53
	v_mul_u32_u24_e32 v57, 0x10001, v16
	v_and_b32_e32 v16, 0xffff, v17
	v_mul_u32_u24_e32 v54, 0x10001, v54
	v_mul_u32_u24_e32 v55, 0x10001, v55
	;; [unrolled: 1-line block ×3, first 2 shown]
	v_pk_fma_f16 v49, v20, v57, v49
	v_mul_u32_u24_e32 v58, 0x10001, v16
	v_and_b32_e32 v16, 0xffff, v18
	v_pk_fma_f16 v48, v20, v53, v48
	v_pk_fma_f16 v51, v20, v54, v51
	;; [unrolled: 1-line block ×4, first 2 shown]
	v_mul_u32_u24_e32 v59, 0x10001, v16
	v_and_b32_e32 v16, 0xffff, v19
	v_pk_fma_f16 v40, v20, v56, v40
	s_delay_alu instid0(VALU_DEP_3) | instskip(NEXT) | instid1(VALU_DEP_3)
	v_pk_fma_f16 v22, v20, v59, v22
	v_mul_u32_u24_e32 v60, 0x10001, v16
	ds_load_b128 v[16:19], v127 offset:1888
	v_pk_fma_f16 v39, v20, v60, v39
	s_wait_dscnt 0x0
	v_lshrrev_b32_e32 v61, 16, v16
	v_lshrrev_b32_e32 v62, 16, v17
	;; [unrolled: 1-line block ×4, first 2 shown]
	v_and_b32_e32 v16, 0xffff, v16
	v_and_b32_e32 v17, 0xffff, v17
	;; [unrolled: 1-line block ×4, first 2 shown]
	v_mul_u32_u24_e32 v61, 0x10001, v61
	v_mul_u32_u24_e32 v16, 0x10001, v16
	;; [unrolled: 1-line block ×6, first 2 shown]
	v_pk_fma_f16 v41, v20, v16, v41
	v_pk_fma_f16 v43, v20, v17, v43
	;; [unrolled: 1-line block ×4, first 2 shown]
	ds_load_b128 v[16:19], v127 offset:880
	v_mul_u32_u24_e32 v63, 0x10001, v63
	v_mul_u32_u24_e32 v80, 0x10001, v80
	v_pk_fma_f16 v42, v20, v61, v42
	v_pk_fma_f16 v44, v20, v62, v44
	s_delay_alu instid0(VALU_DEP_4) | instskip(NEXT) | instid1(VALU_DEP_4)
	v_pk_fma_f16 v46, v20, v63, v46
	v_pk_fma_f16 v20, v20, v80, v52
	s_wait_dscnt 0x0
	v_lshrrev_b32_e32 v52, 16, v16
	v_and_b32_e32 v16, 0xffff, v16
	v_lshrrev_b32_e32 v53, 16, v17
	v_lshrrev_b32_e32 v54, 16, v18
	;; [unrolled: 1-line block ×3, first 2 shown]
	v_mul_u32_u24_e32 v52, 0x10001, v52
	v_mul_u32_u24_e32 v56, 0x10001, v16
	v_and_b32_e32 v16, 0xffff, v17
	v_mul_u32_u24_e32 v53, 0x10001, v53
	v_mul_u32_u24_e32 v54, 0x10001, v54
	;; [unrolled: 1-line block ×3, first 2 shown]
	v_pk_fma_f16 v49, v21, v56, v49
	v_mul_u32_u24_e32 v57, 0x10001, v16
	v_and_b32_e32 v16, 0xffff, v18
	v_pk_fma_f16 v48, v21, v52, v48
	v_pk_fma_f16 v51, v21, v53, v51
	;; [unrolled: 1-line block ×4, first 2 shown]
	v_mul_u32_u24_e32 v58, 0x10001, v16
	v_and_b32_e32 v16, 0xffff, v19
	v_pk_fma_f16 v40, v21, v55, v40
	s_delay_alu instid0(VALU_DEP_3) | instskip(NEXT) | instid1(VALU_DEP_3)
	v_pk_fma_f16 v22, v21, v58, v22
	v_mul_u32_u24_e32 v59, 0x10001, v16
	ds_load_b128 v[16:19], v127 offset:1904
	v_pk_fma_f16 v39, v21, v59, v39
	s_wait_dscnt 0x0
	v_lshrrev_b32_e32 v60, 16, v16
	v_lshrrev_b32_e32 v61, 16, v17
	;; [unrolled: 1-line block ×4, first 2 shown]
	v_and_b32_e32 v16, 0xffff, v16
	v_and_b32_e32 v17, 0xffff, v17
	;; [unrolled: 1-line block ×4, first 2 shown]
	v_mul_u32_u24_e32 v60, 0x10001, v60
	v_mul_u32_u24_e32 v16, 0x10001, v16
	;; [unrolled: 1-line block ×8, first 2 shown]
	v_pk_fma_f16 v41, v21, v16, v41
	v_pk_fma_f16 v42, v21, v60, v42
	;; [unrolled: 1-line block ×8, first 2 shown]
	ds_load_2addr_b32 v[20:21], v139 offset1:32
	ds_load_b128 v[16:19], v127 offset:896
	s_wait_dscnt 0x0
	v_lshrrev_b32_e32 v53, 16, v16
	v_and_b32_e32 v16, 0xffff, v16
	v_lshrrev_b32_e32 v54, 16, v17
	v_lshrrev_b32_e32 v55, 16, v18
	;; [unrolled: 1-line block ×3, first 2 shown]
	v_mul_u32_u24_e32 v53, 0x10001, v53
	v_mul_u32_u24_e32 v57, 0x10001, v16
	v_and_b32_e32 v16, 0xffff, v17
	v_mul_u32_u24_e32 v54, 0x10001, v54
	v_mul_u32_u24_e32 v55, 0x10001, v55
	;; [unrolled: 1-line block ×3, first 2 shown]
	v_pk_fma_f16 v49, v20, v57, v49
	v_mul_u32_u24_e32 v58, 0x10001, v16
	v_and_b32_e32 v16, 0xffff, v18
	v_pk_fma_f16 v48, v20, v53, v48
	v_pk_fma_f16 v51, v20, v54, v51
	;; [unrolled: 1-line block ×4, first 2 shown]
	v_mul_u32_u24_e32 v59, 0x10001, v16
	v_and_b32_e32 v16, 0xffff, v19
	v_pk_fma_f16 v40, v20, v56, v40
	s_delay_alu instid0(VALU_DEP_3) | instskip(NEXT) | instid1(VALU_DEP_3)
	v_pk_fma_f16 v22, v20, v59, v22
	v_mul_u32_u24_e32 v60, 0x10001, v16
	ds_load_b128 v[16:19], v127 offset:1920
	v_pk_fma_f16 v39, v20, v60, v39
	s_wait_dscnt 0x0
	v_lshrrev_b32_e32 v61, 16, v16
	v_lshrrev_b32_e32 v62, 16, v17
	;; [unrolled: 1-line block ×4, first 2 shown]
	v_and_b32_e32 v16, 0xffff, v16
	v_and_b32_e32 v17, 0xffff, v17
	;; [unrolled: 1-line block ×4, first 2 shown]
	v_mul_u32_u24_e32 v61, 0x10001, v61
	v_mul_u32_u24_e32 v16, 0x10001, v16
	;; [unrolled: 1-line block ×6, first 2 shown]
	v_pk_fma_f16 v41, v20, v16, v41
	v_pk_fma_f16 v43, v20, v17, v43
	;; [unrolled: 1-line block ×4, first 2 shown]
	ds_load_b128 v[16:19], v127 offset:912
	v_mul_u32_u24_e32 v63, 0x10001, v63
	v_mul_u32_u24_e32 v80, 0x10001, v80
	v_pk_fma_f16 v42, v20, v61, v42
	v_pk_fma_f16 v44, v20, v62, v44
	s_delay_alu instid0(VALU_DEP_4) | instskip(NEXT) | instid1(VALU_DEP_4)
	v_pk_fma_f16 v46, v20, v63, v46
	v_pk_fma_f16 v20, v20, v80, v52
	s_wait_dscnt 0x0
	v_lshrrev_b32_e32 v52, 16, v16
	v_and_b32_e32 v16, 0xffff, v16
	v_lshrrev_b32_e32 v53, 16, v17
	v_lshrrev_b32_e32 v54, 16, v18
	;; [unrolled: 1-line block ×3, first 2 shown]
	v_mul_u32_u24_e32 v52, 0x10001, v52
	v_mul_u32_u24_e32 v56, 0x10001, v16
	v_and_b32_e32 v16, 0xffff, v17
	v_mul_u32_u24_e32 v53, 0x10001, v53
	v_mul_u32_u24_e32 v54, 0x10001, v54
	;; [unrolled: 1-line block ×3, first 2 shown]
	v_pk_fma_f16 v49, v21, v56, v49
	v_mul_u32_u24_e32 v57, 0x10001, v16
	v_and_b32_e32 v16, 0xffff, v18
	v_pk_fma_f16 v48, v21, v52, v48
	v_pk_fma_f16 v51, v21, v53, v51
	;; [unrolled: 1-line block ×4, first 2 shown]
	v_mul_u32_u24_e32 v58, 0x10001, v16
	v_and_b32_e32 v16, 0xffff, v19
	v_pk_fma_f16 v40, v21, v55, v40
	s_delay_alu instid0(VALU_DEP_3) | instskip(NEXT) | instid1(VALU_DEP_3)
	v_pk_fma_f16 v22, v21, v58, v22
	v_mul_u32_u24_e32 v59, 0x10001, v16
	ds_load_b128 v[16:19], v127 offset:1936
	v_pk_fma_f16 v39, v21, v59, v39
	s_wait_dscnt 0x0
	v_lshrrev_b32_e32 v60, 16, v16
	v_lshrrev_b32_e32 v61, 16, v17
	;; [unrolled: 1-line block ×4, first 2 shown]
	v_and_b32_e32 v16, 0xffff, v16
	v_and_b32_e32 v17, 0xffff, v17
	;; [unrolled: 1-line block ×4, first 2 shown]
	v_mul_u32_u24_e32 v60, 0x10001, v60
	v_mul_u32_u24_e32 v16, 0x10001, v16
	;; [unrolled: 1-line block ×8, first 2 shown]
	v_pk_fma_f16 v41, v21, v16, v41
	v_pk_fma_f16 v42, v21, v60, v42
	;; [unrolled: 1-line block ×8, first 2 shown]
	ds_load_2addr_b32 v[20:21], v139 offset0:64 offset1:96
	ds_load_b128 v[16:19], v127 offset:928
	s_wait_dscnt 0x0
	v_lshrrev_b32_e32 v53, 16, v16
	v_and_b32_e32 v16, 0xffff, v16
	v_lshrrev_b32_e32 v54, 16, v17
	v_lshrrev_b32_e32 v55, 16, v18
	;; [unrolled: 1-line block ×3, first 2 shown]
	v_mul_u32_u24_e32 v53, 0x10001, v53
	v_mul_u32_u24_e32 v57, 0x10001, v16
	v_and_b32_e32 v16, 0xffff, v17
	v_mul_u32_u24_e32 v54, 0x10001, v54
	v_mul_u32_u24_e32 v55, 0x10001, v55
	;; [unrolled: 1-line block ×3, first 2 shown]
	v_pk_fma_f16 v49, v20, v57, v49
	v_mul_u32_u24_e32 v58, 0x10001, v16
	v_and_b32_e32 v16, 0xffff, v18
	v_pk_fma_f16 v48, v20, v53, v48
	v_pk_fma_f16 v51, v20, v54, v51
	;; [unrolled: 1-line block ×4, first 2 shown]
	v_mul_u32_u24_e32 v59, 0x10001, v16
	v_and_b32_e32 v16, 0xffff, v19
	v_pk_fma_f16 v40, v20, v56, v40
	s_delay_alu instid0(VALU_DEP_3) | instskip(NEXT) | instid1(VALU_DEP_3)
	v_pk_fma_f16 v22, v20, v59, v22
	v_mul_u32_u24_e32 v60, 0x10001, v16
	ds_load_b128 v[16:19], v127 offset:1952
	v_pk_fma_f16 v39, v20, v60, v39
	s_wait_dscnt 0x0
	v_lshrrev_b32_e32 v61, 16, v16
	v_lshrrev_b32_e32 v62, 16, v17
	;; [unrolled: 1-line block ×4, first 2 shown]
	v_and_b32_e32 v16, 0xffff, v16
	v_and_b32_e32 v17, 0xffff, v17
	;; [unrolled: 1-line block ×4, first 2 shown]
	v_mul_u32_u24_e32 v61, 0x10001, v61
	v_mul_u32_u24_e32 v16, 0x10001, v16
	;; [unrolled: 1-line block ×6, first 2 shown]
	v_pk_fma_f16 v41, v20, v16, v41
	v_pk_fma_f16 v43, v20, v17, v43
	;; [unrolled: 1-line block ×4, first 2 shown]
	ds_load_b128 v[16:19], v127 offset:944
	v_mul_u32_u24_e32 v63, 0x10001, v63
	v_mul_u32_u24_e32 v80, 0x10001, v80
	v_pk_fma_f16 v42, v20, v61, v42
	v_pk_fma_f16 v44, v20, v62, v44
	s_delay_alu instid0(VALU_DEP_4) | instskip(NEXT) | instid1(VALU_DEP_4)
	v_pk_fma_f16 v46, v20, v63, v46
	v_pk_fma_f16 v20, v20, v80, v52
	s_wait_dscnt 0x0
	v_lshrrev_b32_e32 v52, 16, v16
	v_and_b32_e32 v16, 0xffff, v16
	v_lshrrev_b32_e32 v53, 16, v17
	v_lshrrev_b32_e32 v54, 16, v18
	;; [unrolled: 1-line block ×3, first 2 shown]
	v_mul_u32_u24_e32 v52, 0x10001, v52
	v_mul_u32_u24_e32 v56, 0x10001, v16
	v_and_b32_e32 v16, 0xffff, v17
	v_mul_u32_u24_e32 v53, 0x10001, v53
	v_mul_u32_u24_e32 v54, 0x10001, v54
	;; [unrolled: 1-line block ×3, first 2 shown]
	v_pk_fma_f16 v49, v21, v56, v49
	v_mul_u32_u24_e32 v57, 0x10001, v16
	v_and_b32_e32 v16, 0xffff, v18
	v_pk_fma_f16 v48, v21, v52, v48
	v_pk_fma_f16 v51, v21, v53, v51
	;; [unrolled: 1-line block ×4, first 2 shown]
	v_mul_u32_u24_e32 v58, 0x10001, v16
	v_and_b32_e32 v16, 0xffff, v19
	v_pk_fma_f16 v40, v21, v55, v40
	s_delay_alu instid0(VALU_DEP_3) | instskip(NEXT) | instid1(VALU_DEP_3)
	v_pk_fma_f16 v22, v21, v58, v22
	v_mul_u32_u24_e32 v59, 0x10001, v16
	ds_load_b128 v[16:19], v127 offset:1968
	v_pk_fma_f16 v39, v21, v59, v39
	s_wait_dscnt 0x0
	v_lshrrev_b32_e32 v60, 16, v16
	v_lshrrev_b32_e32 v61, 16, v17
	;; [unrolled: 1-line block ×4, first 2 shown]
	v_and_b32_e32 v16, 0xffff, v16
	v_and_b32_e32 v17, 0xffff, v17
	;; [unrolled: 1-line block ×4, first 2 shown]
	v_mul_u32_u24_e32 v60, 0x10001, v60
	v_mul_u32_u24_e32 v16, 0x10001, v16
	;; [unrolled: 1-line block ×8, first 2 shown]
	v_pk_fma_f16 v41, v21, v16, v41
	v_pk_fma_f16 v42, v21, v60, v42
	;; [unrolled: 1-line block ×8, first 2 shown]
	ds_load_2addr_b32 v[20:21], v139 offset0:128 offset1:160
	ds_load_b128 v[16:19], v127 offset:960
	s_wait_dscnt 0x0
	v_lshrrev_b32_e32 v53, 16, v16
	v_and_b32_e32 v16, 0xffff, v16
	v_lshrrev_b32_e32 v54, 16, v17
	v_lshrrev_b32_e32 v55, 16, v18
	;; [unrolled: 1-line block ×3, first 2 shown]
	v_mul_u32_u24_e32 v53, 0x10001, v53
	v_mul_u32_u24_e32 v57, 0x10001, v16
	v_and_b32_e32 v16, 0xffff, v17
	v_mul_u32_u24_e32 v54, 0x10001, v54
	v_mul_u32_u24_e32 v55, 0x10001, v55
	;; [unrolled: 1-line block ×3, first 2 shown]
	v_pk_fma_f16 v49, v20, v57, v49
	v_mul_u32_u24_e32 v58, 0x10001, v16
	v_and_b32_e32 v16, 0xffff, v18
	v_pk_fma_f16 v48, v20, v53, v48
	v_pk_fma_f16 v51, v20, v54, v51
	;; [unrolled: 1-line block ×4, first 2 shown]
	v_mul_u32_u24_e32 v59, 0x10001, v16
	v_and_b32_e32 v16, 0xffff, v19
	v_pk_fma_f16 v40, v20, v56, v40
	s_delay_alu instid0(VALU_DEP_3) | instskip(NEXT) | instid1(VALU_DEP_3)
	v_pk_fma_f16 v22, v20, v59, v22
	v_mul_u32_u24_e32 v60, 0x10001, v16
	ds_load_b128 v[16:19], v127 offset:1984
	v_pk_fma_f16 v39, v20, v60, v39
	s_wait_dscnt 0x0
	v_lshrrev_b32_e32 v61, 16, v16
	v_lshrrev_b32_e32 v62, 16, v17
	v_lshrrev_b32_e32 v63, 16, v18
	v_lshrrev_b32_e32 v80, 16, v19
	v_and_b32_e32 v16, 0xffff, v16
	v_and_b32_e32 v17, 0xffff, v17
	;; [unrolled: 1-line block ×4, first 2 shown]
	v_mul_u32_u24_e32 v61, 0x10001, v61
	v_mul_u32_u24_e32 v16, 0x10001, v16
	;; [unrolled: 1-line block ×6, first 2 shown]
	v_pk_fma_f16 v41, v20, v16, v41
	v_pk_fma_f16 v43, v20, v17, v43
	;; [unrolled: 1-line block ×4, first 2 shown]
	ds_load_b128 v[16:19], v127 offset:976
	v_mul_u32_u24_e32 v63, 0x10001, v63
	v_mul_u32_u24_e32 v80, 0x10001, v80
	v_pk_fma_f16 v42, v20, v61, v42
	v_pk_fma_f16 v44, v20, v62, v44
	s_delay_alu instid0(VALU_DEP_4) | instskip(NEXT) | instid1(VALU_DEP_4)
	v_pk_fma_f16 v46, v20, v63, v46
	v_pk_fma_f16 v20, v20, v80, v52
	s_wait_dscnt 0x0
	v_lshrrev_b32_e32 v52, 16, v16
	v_and_b32_e32 v16, 0xffff, v16
	v_lshrrev_b32_e32 v53, 16, v17
	v_lshrrev_b32_e32 v54, 16, v18
	;; [unrolled: 1-line block ×3, first 2 shown]
	v_mul_u32_u24_e32 v52, 0x10001, v52
	v_mul_u32_u24_e32 v56, 0x10001, v16
	v_and_b32_e32 v16, 0xffff, v17
	v_mul_u32_u24_e32 v53, 0x10001, v53
	v_mul_u32_u24_e32 v54, 0x10001, v54
	;; [unrolled: 1-line block ×3, first 2 shown]
	v_pk_fma_f16 v49, v21, v56, v49
	v_mul_u32_u24_e32 v57, 0x10001, v16
	v_and_b32_e32 v16, 0xffff, v18
	v_pk_fma_f16 v48, v21, v52, v48
	v_pk_fma_f16 v51, v21, v53, v51
	;; [unrolled: 1-line block ×4, first 2 shown]
	v_mul_u32_u24_e32 v58, 0x10001, v16
	v_and_b32_e32 v16, 0xffff, v19
	v_pk_fma_f16 v40, v21, v55, v40
	s_delay_alu instid0(VALU_DEP_3) | instskip(NEXT) | instid1(VALU_DEP_3)
	v_pk_fma_f16 v22, v21, v58, v22
	v_mul_u32_u24_e32 v59, 0x10001, v16
	ds_load_b128 v[16:19], v127 offset:2000
	v_pk_fma_f16 v39, v21, v59, v39
	s_wait_dscnt 0x0
	v_lshrrev_b32_e32 v60, 16, v16
	v_lshrrev_b32_e32 v61, 16, v17
	;; [unrolled: 1-line block ×4, first 2 shown]
	v_and_b32_e32 v16, 0xffff, v16
	v_and_b32_e32 v17, 0xffff, v17
	;; [unrolled: 1-line block ×4, first 2 shown]
	v_mul_u32_u24_e32 v60, 0x10001, v60
	v_mul_u32_u24_e32 v16, 0x10001, v16
	;; [unrolled: 1-line block ×8, first 2 shown]
	v_pk_fma_f16 v52, v21, v16, v41
	v_pk_fma_f16 v53, v21, v60, v42
	v_pk_fma_f16 v54, v21, v17, v43
	v_pk_fma_f16 v55, v21, v61, v44
	v_pk_fma_f16 v56, v21, v18, v45
	v_pk_fma_f16 v57, v21, v62, v46
	v_pk_fma_f16 v58, v21, v19, v47
	v_pk_fma_f16 v59, v21, v63, v20
	ds_load_2addr_b32 v[16:17], v139 offset0:192 offset1:224
	ds_load_b128 v[18:21], v127 offset:992
	s_wait_dscnt 0x0
	v_lshrrev_b32_e32 v41, 16, v18
	v_and_b32_e32 v18, 0xffff, v18
	v_lshrrev_b32_e32 v42, 16, v19
	v_lshrrev_b32_e32 v43, 16, v20
	;; [unrolled: 1-line block ×3, first 2 shown]
	v_mul_u32_u24_e32 v41, 0x10001, v41
	v_mul_u32_u24_e32 v45, 0x10001, v18
	v_and_b32_e32 v18, 0xffff, v19
	v_mul_u32_u24_e32 v62, 0x10001, v43
	v_mul_u32_u24_e32 v80, 0x10001, v44
	v_mul_u32_u24_e32 v42, 0x10001, v42
	s_delay_alu instid0(VALU_DEP_4) | instskip(SKIP_1) | instid1(VALU_DEP_4)
	v_mul_u32_u24_e32 v60, 0x10001, v18
	v_and_b32_e32 v18, 0xffff, v20
	v_pk_fma_f16 v40, v16, v80, v40
	s_delay_alu instid0(VALU_DEP_2) | instskip(SKIP_1) | instid1(VALU_DEP_1)
	v_mul_u32_u24_e32 v61, 0x10001, v18
	v_and_b32_e32 v18, 0xffff, v21
	v_mul_u32_u24_e32 v63, 0x10001, v18
	ds_load_b128 v[18:21], v127 offset:2016
	s_wait_dscnt 0x0
	v_lshrrev_b32_e32 v43, 16, v18
	v_lshrrev_b32_e32 v44, 16, v19
	v_and_b32_e32 v18, 0xffff, v18
	v_and_b32_e32 v19, 0xffff, v19
	v_lshrrev_b32_e32 v46, 16, v20
	v_lshrrev_b32_e32 v47, 16, v21
	v_mul_u32_u24_e32 v81, 0x10001, v43
	v_mul_u32_u24_e32 v18, 0x10001, v18
	;; [unrolled: 1-line block ×3, first 2 shown]
	v_and_b32_e32 v20, 0xffff, v20
	v_and_b32_e32 v21, 0xffff, v21
	v_mul_u32_u24_e32 v82, 0x10001, v44
	v_mul_u32_u24_e32 v83, 0x10001, v46
	;; [unrolled: 1-line block ×5, first 2 shown]
	v_pk_fma_f16 v46, v16, v41, v48
	v_pk_fma_f16 v44, v16, v42, v51
	v_pk_fma_f16 v43, v16, v61, v22
	v_pk_fma_f16 v42, v16, v62, v23
	v_pk_fma_f16 v41, v16, v63, v39
	v_pk_fma_f16 v39, v16, v18, v52
	v_pk_fma_f16 v23, v16, v81, v53
	v_pk_fma_f16 v22, v16, v19, v54
	ds_load_b128 v[51:54], v127 offset:1008
	v_pk_fma_f16 v47, v16, v45, v49
	v_pk_fma_f16 v45, v16, v60, v50
	;; [unrolled: 1-line block ×7, first 2 shown]
	ds_load_b128 v[59:62], v127 offset:2032
	s_wait_loadcnt_dscnt 0x0
	s_barrier_signal -1
	s_barrier_wait -1
	global_inv scope:SCOPE_SE
	s_load_b32 s3, s[20:21], 0x4
	v_lshrrev_b32_e32 v48, 16, v51
	v_lshrrev_b32_e32 v50, 16, v52
	;; [unrolled: 1-line block ×4, first 2 shown]
	v_and_b32_e32 v49, 0xffff, v51
	v_and_b32_e32 v51, 0xffff, v52
	;; [unrolled: 1-line block ×4, first 2 shown]
	v_lshrrev_b32_e32 v58, 16, v60
	v_lshrrev_b32_e32 v63, 16, v61
	;; [unrolled: 1-line block ×3, first 2 shown]
	v_mul_u32_u24_e32 v53, 0x10001, v52
	v_mul_u32_u24_e32 v52, 0x10001, v55
	;; [unrolled: 1-line block ×4, first 2 shown]
	v_lshrrev_b32_e32 v56, 16, v59
	v_and_b32_e32 v57, 0xffff, v59
	v_and_b32_e32 v59, 0xffff, v60
	;; [unrolled: 1-line block ×4, first 2 shown]
	v_mul_u32_u24_e32 v49, 0x10001, v49
	v_mul_u32_u24_e32 v48, 0x10001, v48
	;; [unrolled: 1-line block ×12, first 2 shown]
	s_wait_kmcnt 0x0
	s_lshl_b32 s3, s3, 6
	v_pk_fma_f16 v155, v17, v49, v47
	v_pk_fma_f16 v154, v17, v48, v46
	;; [unrolled: 1-line block ×16, first 2 shown]
	s_wait_alu 0xfffe
	s_add_co_i32 s10, s3, s10
	s_wait_alu 0xfffe
	s_cmp_ge_i32 s10, s30
	s_cbranch_scc0 .LBB17_9
; %bb.10:
	s_clause 0x8
	scratch_load_b32 v169, off, off
	scratch_load_b32 v170, off, off offset:4
	scratch_load_b32 v171, off, off offset:8
	;; [unrolled: 1-line block ×8, first 2 shown]
	v_dual_mov_b32 v16, v107 :: v_dual_lshlrev_b32 v61, 1, v106
.LBB17_11:
	v_cmp_lt_i32_e32 vcc_lo, v113, v109
	s_cmp_lg_u64 s[12:13], 0
	s_cselect_b32 s3, -1, 0
	s_cmp_eq_u32 s4, 0
	s_wait_alu 0xfffd
	v_cndmask_b32_e32 v17, v16, v113, vcc_lo
	v_cmp_lt_i32_e32 vcc_lo, v114, v109
	s_cselect_b32 s5, -1, 0
	s_wait_alu 0xfffe
	s_and_b32 s3, s5, s3
	s_wait_alu 0xfffd
	v_cndmask_b32_e32 v18, v16, v114, vcc_lo
	v_cmp_lt_i32_e32 vcc_lo, v111, v109
	s_delay_alu instid0(VALU_DEP_2)
	v_lshlrev_b32_e32 v18, 2, v18
	v_lshlrev_b32_e32 v17, 2, v17
	s_wait_alu 0xfffd
	v_cndmask_b32_e32 v19, v16, v111, vcc_lo
	v_cmp_lt_i32_e32 vcc_lo, v112, v109
	ds_bpermute_b32 v22, v17, v25
	ds_bpermute_b32 v21, v17, v24
	;; [unrolled: 1-line block ×5, first 2 shown]
	s_wait_alu 0xfffd
	v_cndmask_b32_e32 v20, v16, v112, vcc_lo
	v_cmp_lt_i32_e32 vcc_lo, v110, v109
	ds_bpermute_b32 v40, v17, v28
	ds_bpermute_b32 v43, v17, v31
	;; [unrolled: 1-line block ×4, first 2 shown]
	s_wait_alu 0xfffd
	v_cndmask_b32_e32 v16, v16, v110, vcc_lo
	ds_bpermute_b32 v45, v17, v33
	ds_bpermute_b32 v46, v17, v34
	;; [unrolled: 1-line block ×5, first 2 shown]
	v_lshlrev_b32_e32 v20, 2, v20
	v_lshlrev_b32_e32 v19, 2, v19
	s_wait_alu 0xfffe
	s_and_b32 vcc_lo, exec_lo, s3
	s_wait_dscnt 0xc
	v_dual_add_f32 v22, v25, v22 :: v_dual_add_f32 v21, v24, v21
	s_wait_dscnt 0xb
	v_dual_add_f32 v23, v26, v23 :: v_dual_lshlrev_b32 v16, 2, v16
	s_wait_dscnt 0xa
	v_add_f32_e32 v27, v27, v39
	ds_bpermute_b32 v26, v18, v22
	ds_bpermute_b32 v24, v17, v38
	;; [unrolled: 1-line block ×5, first 2 shown]
	s_wait_dscnt 0xc
	v_dual_add_f32 v30, v30, v42 :: v_dual_add_f32 v31, v31, v43
	s_wait_dscnt 0xb
	v_dual_add_f32 v28, v28, v40 :: v_dual_add_f32 v29, v29, v41
	ds_bpermute_b32 v40, v18, v27
	ds_bpermute_b32 v43, v18, v30
	s_wait_dscnt 0xb
	v_dual_add_f32 v32, v32, v44 :: v_dual_add_f32 v33, v33, v45
	ds_bpermute_b32 v41, v18, v28
	s_wait_dscnt 0xa
	v_dual_add_f32 v34, v34, v46 :: v_dual_add_f32 v35, v35, v47
	s_wait_dscnt 0x9
	v_add_f32_e32 v36, v36, v48
	ds_bpermute_b32 v42, v18, v29
	ds_bpermute_b32 v44, v18, v31
	;; [unrolled: 1-line block ×3, first 2 shown]
	s_wait_dscnt 0xa
	v_dual_add_f32 v22, v22, v26 :: v_dual_add_f32 v37, v37, v49
	s_wait_dscnt 0x7
	v_dual_add_f32 v24, v38, v24 :: v_dual_add_f32 v21, v21, v25
	s_wait_dscnt 0x6
	v_add_f32_e32 v23, v23, v39
	ds_bpermute_b32 v47, v19, v22
	v_add_f32_e32 v17, v108, v17
	ds_bpermute_b32 v46, v18, v33
	ds_bpermute_b32 v25, v18, v34
	;; [unrolled: 1-line block ×5, first 2 shown]
	s_wait_dscnt 0x9
	v_dual_add_f32 v27, v27, v40 :: v_dual_add_f32 v28, v28, v41
	ds_bpermute_b32 v40, v18, v37
	ds_bpermute_b32 v49, v18, v24
	v_add_f32_e32 v30, v30, v43
	ds_bpermute_b32 v18, v18, v17
	ds_bpermute_b32 v41, v19, v27
	;; [unrolled: 1-line block ×3, first 2 shown]
	s_wait_dscnt 0xb
	v_dual_add_f32 v29, v29, v42 :: v_dual_add_f32 v32, v32, v45
	v_add_f32_e32 v31, v31, v44
	ds_bpermute_b32 v42, v19, v30
	s_wait_dscnt 0xa
	v_dual_add_f32 v22, v22, v47 :: v_dual_add_f32 v33, v33, v46
	s_wait_dscnt 0x8
	v_dual_add_f32 v25, v34, v25 :: v_dual_add_f32 v26, v35, v26
	s_wait_dscnt 0x7
	v_add_f32_e32 v21, v21, v39
	ds_bpermute_b32 v34, v19, v28
	ds_bpermute_b32 v35, v19, v29
	;; [unrolled: 1-line block ×3, first 2 shown]
	s_wait_dscnt 0x8
	v_add_f32_e32 v37, v37, v40
	ds_bpermute_b32 v40, v19, v32
	s_wait_dscnt 0x7
	v_dual_add_f32 v36, v36, v48 :: v_dual_add_f32 v17, v17, v18
	ds_bpermute_b32 v18, v19, v31
	s_wait_dscnt 0x7
	v_add_f32_e32 v27, v27, v41
	ds_bpermute_b32 v41, v19, v33
	s_wait_dscnt 0x7
	v_dual_add_f32 v23, v23, v38 :: v_dual_add_f32 v24, v24, v49
	ds_bpermute_b32 v38, v20, v21
	ds_bpermute_b32 v45, v19, v25
	;; [unrolled: 1-line block ×5, first 2 shown]
	s_wait_dscnt 0xb
	v_add_f32_e32 v30, v30, v42
	ds_bpermute_b32 v44, v20, v27
	s_wait_dscnt 0xb
	v_add_f32_e32 v28, v28, v34
	ds_bpermute_b32 v48, v19, v37
	s_wait_dscnt 0xb
	v_add_f32_e32 v29, v29, v35
	s_wait_dscnt 0xa
	v_add_f32_e32 v22, v22, v39
	ds_bpermute_b32 v43, v20, v23
	s_wait_dscnt 0xa
	v_add_f32_e32 v32, v32, v40
	ds_bpermute_b32 v19, v19, v17
	s_wait_dscnt 0xa
	v_add_f32_e32 v18, v31, v18
	ds_bpermute_b32 v34, v20, v28
	ds_bpermute_b32 v42, v20, v30
	s_wait_dscnt 0xb
	v_add_f32_e32 v33, v33, v41
	ds_bpermute_b32 v41, v20, v32
	ds_bpermute_b32 v40, v20, v18
	s_wait_dscnt 0xc
	v_add_f32_e32 v21, v21, v38
	s_wait_dscnt 0x9
	v_dual_add_f32 v25, v25, v45 :: v_dual_add_f32 v36, v36, v47
	s_wait_dscnt 0x8
	v_add_f32_e32 v24, v24, v49
	s_wait_dscnt 0x7
	v_dual_add_f32 v26, v26, v46 :: v_dual_add_f32 v27, v27, v44
	ds_bpermute_b32 v39, v20, v29
	ds_bpermute_b32 v46, v20, v36
	s_wait_dscnt 0x8
	v_add_f32_e32 v37, v37, v48
	ds_bpermute_b32 v45, v20, v26
	ds_bpermute_b32 v38, v16, v22
	s_wait_dscnt 0x9
	v_add_f32_e32 v23, v23, v43
	ds_bpermute_b32 v35, v16, v21
	s_wait_dscnt 0x8
	v_dual_add_f32 v17, v17, v19 :: v_dual_add_f32 v28, v28, v34
	ds_bpermute_b32 v43, v20, v33
	ds_bpermute_b32 v34, v20, v24
	s_wait_dscnt 0x9
	v_add_f32_e32 v30, v30, v42
	ds_bpermute_b32 v44, v20, v25
	s_wait_dscnt 0x8
	v_add_f32_e32 v18, v18, v40
	v_add_f32_e32 v32, v32, v41
	ds_bpermute_b32 v19, v20, v37
	ds_bpermute_b32 v20, v20, v17
	;; [unrolled: 1-line block ×4, first 2 shown]
	s_wait_dscnt 0xa
	v_dual_add_f32 v29, v29, v39 :: v_dual_add_f32 v36, v36, v46
	ds_bpermute_b32 v39, v16, v27
	s_wait_dscnt 0xa
	v_add_f32_e32 v26, v26, v45
	ds_bpermute_b32 v47, v16, v30
	ds_bpermute_b32 v42, v16, v29
	;; [unrolled: 1-line block ×3, first 2 shown]
	s_wait_dscnt 0xc
	v_add_f32_e32 v58, v22, v38
	ds_bpermute_b32 v51, v16, v26
	s_wait_dscnt 0xc
	v_add_f32_e32 v60, v21, v35
	s_wait_dscnt 0xa
	v_dual_add_f32 v33, v33, v43 :: v_dual_add_f32 v24, v24, v34
	ds_bpermute_b32 v43, v16, v32
	s_wait_dscnt 0xa
	v_add_f32_e32 v25, v25, v44
	ds_bpermute_b32 v45, v16, v33
	s_wait_dscnt 0xa
	v_add_f32_e32 v19, v37, v19
	s_wait_dscnt 0x8
	v_dual_add_f32 v17, v17, v20 :: v_dual_add_f32 v56, v23, v31
	ds_bpermute_b32 v49, v16, v25
	ds_bpermute_b32 v37, v16, v36
	;; [unrolled: 1-line block ×5, first 2 shown]
	s_wait_dscnt 0xb
	v_add_f32_e32 v54, v27, v39
	v_add_f32_e32 v52, v28, v40
	s_wait_dscnt 0x9
	v_add_f32_e32 v50, v29, v42
	v_add_f32_e32 v48, v30, v47
	s_wait_dscnt 0x8
	v_add_f32_e32 v46, v18, v41
	s_wait_dscnt 0x7
	;; [unrolled: 2-line block ×9, first 2 shown]
	v_add_f32_e32 v34, v17, v16
	s_wait_alu 0xfffe
	s_cbranch_vccz .LBB17_13
; %bb.12:
	s_ashr_i32 s3, s2, 31
	v_dual_mov_b32 v16, 0 :: v_dual_max_num_f32 v17, v1, v1
	s_wait_alu 0xfffe
	s_lshl_b64 s[6:7], s[2:3], 2
	v_dual_max_num_f32 v18, v2, v2 :: v_dual_max_num_f32 v21, v5, v5
	s_add_nc_u64 s[6:7], s[12:13], s[6:7]
	v_max_num_f32_e32 v19, v3, v3
	global_load_b128 v[30:33], v16, s[6:7]
	v_max_num_f32_e32 v16, v0, v0
	v_dual_max_num_f32 v22, v6, v6 :: v_dual_max_num_f32 v25, v9, v9
	v_dual_max_num_f32 v20, v4, v4 :: v_dual_max_num_f32 v23, v7, v7
	;; [unrolled: 1-line block ×3, first 2 shown]
	s_wait_loadcnt 0x0
	v_dual_max_num_f32 v26, v10, v10 :: v_dual_max_num_f32 v41, v31, v31
	v_max_num_f32_e32 v37, v32, v32
	v_max_num_f32_e32 v39, v30, v30
	;; [unrolled: 1-line block ×3, first 2 shown]
	s_delay_alu instid0(VALU_DEP_3) | instskip(NEXT) | instid1(VALU_DEP_3)
	v_dual_max_num_f32 v43, v12, v12 :: v_dual_max_num_f32 v18, v18, v37
	v_max_num_f32_e32 v16, v16, v39
	s_delay_alu instid0(VALU_DEP_2) | instskip(SKIP_2) | instid1(VALU_DEP_4)
	v_dual_sub_f32 v2, v2, v18 :: v_dual_max_num_f32 v19, v19, v35
	v_dual_max_num_f32 v22, v22, v37 :: v_dual_max_num_f32 v23, v23, v35
	v_dual_max_num_f32 v26, v26, v37 :: v_dual_max_num_f32 v27, v27, v35
	v_dual_sub_f32 v0, v0, v16 :: v_dual_max_num_f32 v17, v17, v41
	v_dual_max_num_f32 v20, v20, v39 :: v_dual_max_num_f32 v25, v25, v41
	s_delay_alu instid0(VALU_DEP_4) | instskip(SKIP_1) | instid1(VALU_DEP_4)
	v_dual_sub_f32 v6, v6, v22 :: v_dual_max_num_f32 v21, v21, v41
	v_dual_max_num_f32 v24, v24, v39 :: v_dual_sub_f32 v45, v30, v16
	v_dual_sub_f32 v64, v32, v26 :: v_dual_sub_f32 v1, v1, v17
	v_dual_sub_f32 v49, v32, v18 :: v_dual_mul_f32 v66, 0x3fb8aa3b, v0
	v_dual_sub_f32 v4, v4, v20 :: v_dual_sub_f32 v7, v7, v23
	v_dual_mul_f32 v78, 0x3fb8aa3b, v6 :: v_dual_sub_f32 v9, v9, v25
	v_dual_sub_f32 v3, v3, v19 :: v_dual_sub_f32 v10, v10, v26
	v_dual_sub_f32 v8, v8, v24 :: v_dual_sub_f32 v51, v33, v19
	v_mul_f32_e32 v68, 0x3fb8aa3b, v1
	v_mul_f32_e32 v80, 0x3fb8aa3b, v7
	v_dual_sub_f32 v11, v11, v27 :: v_dual_mul_f32 v84, 0x3fb8aa3b, v9
	v_mul_f32_e32 v67, 0x3fb8aa3b, v45
	v_fma_f32 v90, 0x3fb8aa3b, v0, -v66
	v_rndne_f32_e32 v91, v66
	v_dual_sub_f32 v47, v31, v17 :: v_dual_sub_f32 v62, v30, v24
	v_dual_sub_f32 v55, v31, v21 :: v_dual_mul_f32 v74, 0x3fb8aa3b, v4
	v_dual_sub_f32 v63, v31, v25 :: v_dual_mul_f32 v86, 0x3fb8aa3b, v10
	v_dual_sub_f32 v65, v33, v27 :: v_dual_fmac_f32 v90, 0x32a5705f, v0
	v_dual_mul_f32 v71, 0x3fb8aa3b, v49 :: v_dual_sub_f32 v66, v66, v91
	v_mul_f32_e32 v88, 0x3fb8aa3b, v11
	v_fma_f32 v107, 0x3fb8aa3b, v45, -v67
	v_rndne_f32_e32 v108, v67
	v_fma_f32 v109, 0x3fb8aa3b, v1, -v68
	v_dual_sub_f32 v53, v30, v20 :: v_dual_mul_f32 v70, 0x3fb8aa3b, v2
	v_dual_sub_f32 v5, v5, v21 :: v_dual_mul_f32 v72, 0x3fb8aa3b, v3
	v_dual_sub_f32 v59, v33, v23 :: v_dual_mul_f32 v82, 0x3fb8aa3b, v8
	v_rndne_f32_e32 v110, v68
	v_mul_f32_e32 v69, 0x3fb8aa3b, v47
	v_fma_f32 v121, 0x3fb8aa3b, v4, -v74
	v_rndne_f32_e32 v122, v74
	v_fma_f32 v129, 0x3fb8aa3b, v6, -v78
	v_rndne_f32_e32 v130, v78
	;; [unrolled: 2-line block ×3, first 2 shown]
	v_rndne_f32_e32 v162, v86
	v_rndne_f32_e32 v166, v88
	v_fmac_f32_e32 v107, 0x32a5705f, v45
	v_sub_f32_e32 v67, v67, v108
	v_dual_fmac_f32 v109, 0x32a5705f, v1 :: v_dual_add_f32 v66, v66, v90
	v_dual_mul_f32 v77, 0x3fb8aa3b, v55 :: v_dual_sub_f32 v74, v74, v122
	v_dual_mul_f32 v81, 0x3fb8aa3b, v59 :: v_dual_sub_f32 v78, v78, v130
	;; [unrolled: 1-line block ×3, first 2 shown]
	v_fma_f32 v113, 0x3fb8aa3b, v2, -v70
	v_rndne_f32_e32 v114, v70
	v_fma_f32 v117, 0x3fb8aa3b, v3, -v72
	v_rndne_f32_e32 v118, v72
	v_fma_f32 v161, 0x3fb8aa3b, v10, -v86
	v_fma_f32 v165, 0x3fb8aa3b, v11, -v88
	v_sub_f32_e32 v68, v68, v110
	v_fma_f32 v111, 0x3fb8aa3b, v47, -v69
	v_rndne_f32_e32 v112, v69
	v_fmac_f32_e32 v129, 0x32a5705f, v6
	v_fmac_f32_e32 v157, 0x32a5705f, v9
	v_dual_fmac_f32 v121, 0x32a5705f, v4 :: v_dual_sub_f32 v86, v86, v162
	v_dual_sub_f32 v88, v88, v166 :: v_dual_add_f32 v67, v67, v107
	v_exp_f32_e32 v66, v66
	v_dual_mul_f32 v73, 0x3fb8aa3b, v51 :: v_dual_sub_f32 v70, v70, v114
	v_dual_mul_f32 v75, 0x3fb8aa3b, v53 :: v_dual_sub_f32 v72, v72, v118
	v_dual_mul_f32 v83, 0x3fb8aa3b, v62 :: v_dual_add_f32 v68, v68, v109
	v_cvt_i32_f32_e32 v91, v91
	v_dual_fmac_f32 v117, 0x32a5705f, v3 :: v_dual_add_f32 v78, v78, v129
	v_dual_sub_f32 v69, v69, v112 :: v_dual_add_f32 v84, v84, v157
	v_dual_fmac_f32 v113, 0x32a5705f, v2 :: v_dual_add_f32 v74, v74, v121
	v_fmac_f32_e32 v111, 0x32a5705f, v47
	v_exp_f32_e32 v67, v67
	v_fma_f32 v115, 0x3fb8aa3b, v49, -v71
	v_cvt_i32_f32_e32 v108, v108
	v_add_f32_e32 v70, v70, v113
	v_dual_add_f32 v72, v72, v117 :: v_dual_add_f32 v69, v69, v111
	v_exp_f32_e32 v68, v68
	v_ldexp_f32 v66, v66, v91
	v_cmp_ngt_f32_e32 vcc_lo, 0xc2ce8ed0, v0
	v_cvt_i32_f32_e32 v110, v110
	v_fmac_f32_e32 v115, 0x32a5705f, v49
	v_exp_f32_e32 v69, v69
	v_ldexp_f32 v67, v67, v108
	s_wait_alu 0xfffd
	v_cndmask_b32_e32 v66, 0, v66, vcc_lo
	v_cmp_ngt_f32_e32 vcc_lo, 0xc2ce8ed0, v45
	v_fma_f32 v123, 0x3fb8aa3b, v53, -v75
	v_cvt_i32_f32_e32 v112, v112
	v_exp_f32_e32 v70, v70
	v_ldexp_f32 v68, v68, v110
	s_wait_alu 0xfffd
	v_cndmask_b32_e32 v67, 0, v67, vcc_lo
	v_cmp_ngt_f32_e32 vcc_lo, 0xc2ce8ed0, v1
	v_dual_sub_f32 v57, v32, v22 :: v_dual_mul_f32 v76, 0x3fb8aa3b, v5
	v_cvt_i32_f32_e32 v114, v114
	s_wait_alu 0xfffd
	v_dual_fmac_f32 v123, 0x32a5705f, v53 :: v_dual_cndmask_b32 v68, 0, v68
	v_ldexp_f32 v69, v69, v112
	v_cmp_ngt_f32_e32 vcc_lo, 0xc2ce8ed0, v47
	v_rndne_f32_e32 v116, v71
	v_fma_f32 v125, 0x3fb8aa3b, v5, -v76
	v_rndne_f32_e32 v126, v76
	v_ldexp_f32 v70, v70, v114
	s_wait_alu 0xfffd
	v_cndmask_b32_e32 v69, 0, v69, vcc_lo
	v_cmp_ngt_f32_e32 vcc_lo, 0xc2ce8ed0, v2
	v_dual_mul_f32 v79, 0x3fb8aa3b, v57 :: v_dual_sub_f32 v76, v76, v126
	v_fmac_f32_e32 v125, 0x32a5705f, v5
	v_fma_f32 v119, 0x3fb8aa3b, v51, -v73
	s_wait_alu 0xfffd
	v_dual_cndmask_b32 v70, 0, v70 :: v_dual_sub_f32 v71, v71, v116
	v_rndne_f32_e32 v120, v73
	v_fma_f32 v133, 0x3fb8aa3b, v7, -v80
	v_rndne_f32_e32 v134, v80
	v_fma_f32 v137, 0x3fb8aa3b, v8, -v82
	v_rndne_f32_e32 v138, v82
	v_dual_add_f32 v76, v76, v125 :: v_dual_add_f32 v71, v71, v115
	s_delay_alu instid0(VALU_DEP_4) | instskip(NEXT) | instid1(VALU_DEP_3)
	v_dual_mul_f32 v85, 0x3fb8aa3b, v63 :: v_dual_sub_f32 v80, v80, v134
	v_dual_mul_f32 v87, 0x3fb8aa3b, v64 :: v_dual_sub_f32 v82, v82, v138
	v_fmac_f32_e32 v133, 0x32a5705f, v7
	v_fmac_f32_e32 v119, 0x32a5705f, v51
	;; [unrolled: 1-line block ×3, first 2 shown]
	v_sub_f32_e32 v73, v73, v120
	v_exp_f32_e32 v71, v71
	v_cvt_i32_f32_e32 v116, v116
	v_add_f32_e32 v80, v80, v133
	s_delay_alu instid0(VALU_DEP_3)
	v_dual_add_f32 v82, v82, v137 :: v_dual_add_f32 v73, v73, v119
	v_exp_f32_e32 v72, v72
	v_rndne_f32_e32 v124, v75
	v_fma_f32 v167, 0x3fb8aa3b, v65, -v89
	v_cvt_i32_f32_e32 v118, v118
	v_exp_f32_e32 v73, v73
	s_delay_alu instid0(TRANS32_DEP_3)
	v_ldexp_f32 v71, v71, v116
	v_cmp_ngt_f32_e32 vcc_lo, 0xc2ce8ed0, v49
	v_cvt_i32_f32_e32 v120, v120
	v_exp_f32_e32 v74, v74
	v_fmac_f32_e32 v167, 0x32a5705f, v65
	v_fmac_f32_e32 v161, 0x32a5705f, v10
	v_sub_f32_e32 v75, v75, v124
	v_ldexp_f32 v72, v72, v118
	s_wait_alu 0xfffd
	v_cndmask_b32_e32 v71, 0, v71, vcc_lo
	v_cmp_ngt_f32_e32 vcc_lo, 0xc2ce8ed0, v3
	v_fma_f32 v127, 0x3fb8aa3b, v55, -v77
	v_rndne_f32_e32 v128, v77
	v_cvt_i32_f32_e32 v122, v122
	v_dual_add_f32 v86, v86, v161 :: v_dual_add_f32 v75, v75, v123
	v_ldexp_f32 v73, v73, v120
	s_wait_alu 0xfffd
	v_cndmask_b32_e32 v72, 0, v72, vcc_lo
	v_cmp_ngt_f32_e32 vcc_lo, 0xc2ce8ed0, v51
	v_fmac_f32_e32 v165, 0x32a5705f, v11
	v_fmac_f32_e32 v127, 0x32a5705f, v55
	v_exp_f32_e32 v75, v75
	v_ldexp_f32 v74, v74, v122
	s_wait_alu 0xfffd
	v_cndmask_b32_e32 v73, 0, v73, vcc_lo
	v_cmp_ngt_f32_e32 vcc_lo, 0xc2ce8ed0, v4
	v_sub_f32_e32 v77, v77, v128
	v_cvt_i32_f32_e32 v124, v124
	v_add_f32_e32 v88, v88, v165
	v_exp_f32_e32 v76, v76
	s_wait_alu 0xfffd
	v_dual_cndmask_b32 v74, 0, v74 :: v_dual_add_f32 v77, v77, v127
	v_cvt_i32_f32_e32 v126, v126
	v_ldexp_f32 v75, v75, v124
	v_cmp_ngt_f32_e32 vcc_lo, 0xc2ce8ed0, v53
	v_fma_f32 v131, 0x3fb8aa3b, v57, -v79
	v_exp_f32_e32 v77, v77
	v_cvt_i32_f32_e32 v128, v128
	v_exp_f32_e32 v78, v78
	v_ldexp_f32 v76, v76, v126
	s_wait_alu 0xfffd
	v_cndmask_b32_e32 v75, 0, v75, vcc_lo
	v_cmp_ngt_f32_e32 vcc_lo, 0xc2ce8ed0, v5
	v_rndne_f32_e32 v132, v79
	v_cvt_i32_f32_e32 v130, v130
	v_fmac_f32_e32 v131, 0x32a5705f, v57
	v_exp_f32_e32 v82, v82
	v_ldexp_f32 v77, v77, v128
	s_wait_alu 0xfffd
	v_cndmask_b32_e32 v76, 0, v76, vcc_lo
	v_cmp_ngt_f32_e32 vcc_lo, 0xc2ce8ed0, v55
	v_exp_f32_e32 v86, v86
	v_ldexp_f32 v78, v78, v130
	v_fma_f32 v135, 0x3fb8aa3b, v59, -v81
	v_rndne_f32_e32 v136, v81
	s_wait_alu 0xfffd
	v_cndmask_b32_e32 v77, 0, v77, vcc_lo
	v_cmp_ngt_f32_e32 vcc_lo, 0xc2ce8ed0, v6
	v_sub_f32_e32 v79, v79, v132
	v_cvt_i32_f32_e32 v138, v138
	v_cvt_i32_f32_e32 v162, v162
	v_exp_f32_e32 v84, v84
	s_wait_alu 0xfffd
	v_dual_cndmask_b32 v78, 0, v78 :: v_dual_add_f32 v79, v79, v131
	v_ldexp_f32 v82, v82, v138
	v_fmac_f32_e32 v135, 0x32a5705f, v59
	v_ldexp_f32 v86, v86, v162
	v_sub_f32_e32 v81, v81, v136
	v_exp_f32_e32 v79, v79
	v_fma_f32 v139, 0x3fb8aa3b, v62, -v83
	v_rndne_f32_e32 v156, v83
	v_cvt_i32_f32_e32 v132, v132
	v_cvt_i32_f32_e32 v158, v158
	v_add_f32_e32 v81, v81, v135
	v_exp_f32_e32 v80, v80
	v_cvt_i32_f32_e32 v134, v134
	v_sub_f32_e32 v83, v83, v156
	v_ldexp_f32 v84, v84, v158
	v_fmac_f32_e32 v139, 0x32a5705f, v62
	v_exp_f32_e32 v81, v81
	v_ldexp_f32 v79, v79, v132
	v_cmp_ngt_f32_e32 vcc_lo, 0xc2ce8ed0, v57
	v_fma_f32 v159, 0x3fb8aa3b, v63, -v85
	v_rndne_f32_e32 v160, v85
	v_cvt_i32_f32_e32 v136, v136
	v_add_f32_e32 v83, v83, v139
	v_ldexp_f32 v80, v80, v134
	s_wait_alu 0xfffd
	v_cndmask_b32_e32 v79, 0, v79, vcc_lo
	v_cmp_ngt_f32_e32 vcc_lo, 0xc2ce8ed0, v7
	v_rndne_f32_e32 v168, v89
	v_fmac_f32_e32 v159, 0x32a5705f, v63
	v_sub_f32_e32 v85, v85, v160
	v_exp_f32_e32 v83, v83
	v_ldexp_f32 v81, v81, v136
	s_wait_alu 0xfffd
	v_cndmask_b32_e32 v80, 0, v80, vcc_lo
	v_cmp_ngt_f32_e32 vcc_lo, 0xc2ce8ed0, v59
	v_fma_f32 v163, 0x3fb8aa3b, v64, -v87
	v_rndne_f32_e32 v164, v87
	v_cvt_i32_f32_e32 v156, v156
	v_add_f32_e32 v85, v85, v159
	s_wait_alu 0xfffd
	v_cndmask_b32_e32 v81, 0, v81, vcc_lo
	v_cmp_ngt_f32_e32 vcc_lo, 0xc2ce8ed0, v8
	v_fmac_f32_e32 v163, 0x32a5705f, v64
	v_sub_f32_e32 v87, v87, v164
	v_exp_f32_e32 v85, v85
	v_ldexp_f32 v83, v83, v156
	s_wait_alu 0xfffd
	v_cndmask_b32_e32 v82, 0, v82, vcc_lo
	v_cmp_ngt_f32_e32 vcc_lo, 0xc2ce8ed0, v62
	v_cvt_i32_f32_e32 v160, v160
	v_add_f32_e32 v87, v87, v163
	v_cvt_i32_f32_e32 v164, v164
	s_wait_alu 0xfffd
	v_cndmask_b32_e32 v83, 0, v83, vcc_lo
	v_cmp_ngt_f32_e32 vcc_lo, 0xc2ce8ed0, v9
	v_exp_f32_e32 v87, v87
	v_ldexp_f32 v85, v85, v160
	s_wait_alu 0xfffd
	v_cndmask_b32_e32 v84, 0, v84, vcc_lo
	v_cmp_ngt_f32_e32 vcc_lo, 0xc2ce8ed0, v63
	s_wait_alu 0xfffd
	v_cndmask_b32_e32 v85, 0, v85, vcc_lo
	v_cmp_ngt_f32_e32 vcc_lo, 0xc2ce8ed0, v10
	s_delay_alu instid0(TRANS32_DEP_1)
	v_ldexp_f32 v87, v87, v164
	s_wait_alu 0xfffd
	v_cndmask_b32_e32 v86, 0, v86, vcc_lo
	v_cmp_ngt_f32_e32 vcc_lo, 0xc2ce8ed0, v64
	s_wait_alu 0xfffd
	v_cndmask_b32_e32 v87, 0, v87, vcc_lo
	v_cmp_nlt_f32_e32 vcc_lo, 0x42b17218, v0
	s_wait_alu 0xfffd
	v_cndmask_b32_e32 v0, 0x7f800000, v66, vcc_lo
	v_cmp_nlt_f32_e32 vcc_lo, 0x42b17218, v45
	;; [unrolled: 3-line block ×3, first 2 shown]
	s_delay_alu instid0(VALU_DEP_2)
	v_fmac_f32_e32 v45, v60, v0
	s_wait_alu 0xfffd
	v_cndmask_b32_e32 v1, 0x7f800000, v68, vcc_lo
	v_cmp_nlt_f32_e32 vcc_lo, 0x42b17218, v47
	v_cvt_f16_f32_e32 v0, v0
	s_wait_alu 0xfffd
	v_dual_mov_b32 v60, v45 :: v_dual_cndmask_b32 v47, 0x7f800000, v69
	v_cmp_nlt_f32_e32 vcc_lo, 0x42b17218, v2
	s_delay_alu instid0(VALU_DEP_2)
	v_dual_fmac_f32 v47, v58, v1 :: v_dual_and_b32 v0, 0xffff, v0
	s_wait_alu 0xfffd
	v_cndmask_b32_e32 v2, 0x7f800000, v70, vcc_lo
	v_cmp_nlt_f32_e32 vcc_lo, 0x42b17218, v49
	v_cvt_f16_f32_e32 v1, v1
	v_mul_u32_u24_e32 v0, 0x10001, v0
	s_wait_alu 0xfffd
	v_cndmask_b32_e32 v49, 0x7f800000, v71, vcc_lo
	v_cmp_nlt_f32_e32 vcc_lo, 0x42b17218, v3
	v_and_b32_e32 v1, 0xffff, v1
	v_pk_mul_f16 v155, v155, v0
	s_delay_alu instid0(VALU_DEP_4)
	v_fmac_f32_e32 v49, v56, v2
	s_wait_alu 0xfffd
	v_cndmask_b32_e32 v3, 0x7f800000, v72, vcc_lo
	v_cmp_nlt_f32_e32 vcc_lo, 0x42b17218, v51
	v_cvt_f16_f32_e32 v2, v2
	v_mul_u32_u24_e32 v1, 0x10001, v1
	s_wait_alu 0xfffd
	v_cndmask_b32_e32 v51, 0x7f800000, v73, vcc_lo
	v_cmp_nlt_f32_e32 vcc_lo, 0x42b17218, v4
	v_and_b32_e32 v2, 0xffff, v2
	v_pk_mul_f16 v154, v154, v1
	v_exp_f32_e32 v1, v88
	s_wait_alu 0xfffd
	v_dual_fmac_f32 v51, v54, v3 :: v_dual_cndmask_b32 v4, 0x7f800000, v74
	v_cmp_nlt_f32_e32 vcc_lo, 0x42b17218, v53
	v_cvt_f16_f32_e32 v3, v3
	v_mul_u32_u24_e32 v2, 0x10001, v2
	s_wait_alu 0xfffd
	v_cndmask_b32_e32 v53, 0x7f800000, v75, vcc_lo
	v_cmp_nlt_f32_e32 vcc_lo, 0x42b17218, v5
	s_delay_alu instid0(VALU_DEP_3) | instskip(SKIP_1) | instid1(VALU_DEP_4)
	v_pk_mul_f16 v153, v153, v2
	v_sub_f32_e32 v2, v89, v168
	v_fmac_f32_e32 v53, v52, v4
	s_wait_alu 0xfffd
	v_cndmask_b32_e32 v5, 0x7f800000, v76, vcc_lo
	v_cmp_nlt_f32_e32 vcc_lo, 0x42b17218, v55
	v_cvt_f16_f32_e32 v4, v4
	s_wait_alu 0xfffd
	v_dual_add_f32 v2, v2, v167 :: v_dual_cndmask_b32 v55, 0x7f800000, v77
	v_cmp_nlt_f32_e32 vcc_lo, 0x42b17218, v6
	s_delay_alu instid0(VALU_DEP_3) | instskip(NEXT) | instid1(VALU_DEP_3)
	v_and_b32_e32 v4, 0xffff, v4
	v_exp_f32_e32 v2, v2
	s_wait_alu 0xfffd
	v_dual_fmac_f32 v55, v50, v5 :: v_dual_cndmask_b32 v6, 0x7f800000, v78
	v_cmp_nlt_f32_e32 vcc_lo, 0x42b17218, v57
	v_cvt_f16_f32_e32 v5, v5
	v_mul_u32_u24_e32 v4, 0x10001, v4
	s_wait_alu 0xfffd
	v_cndmask_b32_e32 v57, 0x7f800000, v79, vcc_lo
	v_cmp_nlt_f32_e32 vcc_lo, 0x42b17218, v7
	v_and_b32_e32 v5, 0xffff, v5
	v_pk_mul_f16 v151, v151, v4
	s_delay_alu instid0(VALU_DEP_4)
	v_fmac_f32_e32 v57, v48, v6
	s_wait_alu 0xfffd
	v_cndmask_b32_e32 v7, 0x7f800000, v80, vcc_lo
	v_cmp_nlt_f32_e32 vcc_lo, 0x42b17218, v59
	v_cvt_f16_f32_e32 v6, v6
	v_mul_u32_u24_e32 v5, 0x10001, v5
	s_wait_alu 0xfffd
	v_cndmask_b32_e32 v59, 0x7f800000, v81, vcc_lo
	v_cmp_nlt_f32_e32 vcc_lo, 0x42b17218, v8
	v_and_b32_e32 v6, 0xffff, v6
	v_pk_mul_f16 v150, v150, v5
	s_wait_alu 0xfffd
	v_dual_fmac_f32 v59, v46, v7 :: v_dual_cndmask_b32 v8, 0x7f800000, v82
	v_cmp_nlt_f32_e32 vcc_lo, 0x42b17218, v62
	v_mul_u32_u24_e32 v6, 0x10001, v6
	v_cvt_f16_f32_e32 v7, v7
	s_wait_alu 0xfffd
	v_cndmask_b32_e32 v62, 0x7f800000, v83, vcc_lo
	v_cmp_nlt_f32_e32 vcc_lo, 0x42b17218, v9
	v_pk_mul_f16 v149, v149, v6
	s_delay_alu instid0(VALU_DEP_3)
	v_fmac_f32_e32 v62, v44, v8
	s_wait_alu 0xfffd
	v_cndmask_b32_e32 v9, 0x7f800000, v84, vcc_lo
	v_cmp_nlt_f32_e32 vcc_lo, 0x42b17218, v63
	v_cvt_f16_f32_e32 v8, v8
	s_wait_alu 0xfffd
	v_dual_mov_b32 v44, v62 :: v_dual_cndmask_b32 v63, 0x7f800000, v85
	v_cmp_nlt_f32_e32 vcc_lo, 0x42b17218, v10
	s_delay_alu instid0(VALU_DEP_2) | instskip(SKIP_2) | instid1(VALU_DEP_2)
	v_dual_fmac_f32 v63, v28, v9 :: v_dual_and_b32 v8, 0xffff, v8
	s_wait_alu 0xfffd
	v_cndmask_b32_e32 v10, 0x7f800000, v86, vcc_lo
	v_mul_u32_u24_e32 v8, 0x10001, v8
	v_cmp_nlt_f32_e32 vcc_lo, 0x42b17218, v64
	v_cvt_f16_f32_e32 v9, v9
	s_delay_alu instid0(VALU_DEP_4) | instskip(NEXT) | instid1(VALU_DEP_4)
	v_cvt_f16_f32_e32 v28, v10
	v_pk_mul_f16 v147, v147, v8
	v_max_num_f32_e32 v8, v13, v13
	s_delay_alu instid0(VALU_DEP_4) | instskip(NEXT) | instid1(VALU_DEP_4)
	v_and_b32_e32 v9, 0xffff, v9
	v_and_b32_e32 v0, 0xffff, v28
	v_max_num_f32_e32 v28, v43, v39
	s_wait_alu 0xfffd
	v_cndmask_b32_e32 v39, 0x7f800000, v87, vcc_lo
	v_cmp_ngt_f32_e32 vcc_lo, 0xc2ce8ed0, v11
	v_mul_u32_u24_e32 v9, 0x10001, v9
	v_mul_u32_u24_e32 v0, 0x10001, v0
	s_delay_alu instid0(VALU_DEP_4) | instskip(SKIP_2) | instid1(VALU_DEP_4)
	v_dual_sub_f32 v4, v12, v28 :: v_dual_fmac_f32 v39, v29, v10
	v_max_num_f32_e32 v29, v8, v41
	v_and_b32_e32 v3, 0xffff, v3
	v_pk_mul_f16 v145, v145, v0
	v_pk_mul_f16 v146, v146, v9
	s_delay_alu instid0(VALU_DEP_3) | instskip(NEXT) | instid1(VALU_DEP_1)
	v_mul_u32_u24_e32 v3, 0x10001, v3
	v_pk_mul_f16 v152, v152, v3
	v_cvt_i32_f32_e32 v3, v166
	s_delay_alu instid0(VALU_DEP_1) | instskip(SKIP_1) | instid1(VALU_DEP_1)
	v_ldexp_f32 v1, v1, v3
	s_wait_alu 0xfffd
	v_dual_mul_f32 v3, 0x3fb8aa3b, v4 :: v_dual_cndmask_b32 v0, 0, v1
	v_cvt_i32_f32_e32 v1, v168
	s_delay_alu instid0(VALU_DEP_2) | instskip(SKIP_2) | instid1(VALU_DEP_4)
	v_fma_f32 v5, 0x3fb8aa3b, v4, -v3
	v_rndne_f32_e32 v6, v3
	v_cmp_nlt_f32_e32 vcc_lo, 0x42b17218, v11
	v_ldexp_f32 v1, v2, v1
	s_delay_alu instid0(VALU_DEP_3)
	v_dual_fmac_f32 v5, 0x32a5705f, v4 :: v_dual_sub_f32 v2, v3, v6
	s_wait_alu 0xfffd
	v_cndmask_b32_e32 v0, 0x7f800000, v0, vcc_lo
	v_cmp_ngt_f32_e32 vcc_lo, 0xc2ce8ed0, v65
	v_cvt_i32_f32_e32 v6, v6
	v_add_f32_e32 v2, v2, v5
	s_delay_alu instid0(VALU_DEP_4)
	v_cvt_f16_f32_e32 v9, v0
	s_wait_alu 0xfffd
	v_cndmask_b32_e32 v1, 0, v1, vcc_lo
	v_cmp_nlt_f32_e32 vcc_lo, 0x42b17218, v65
	v_exp_f32_e32 v2, v2
	v_and_b32_e32 v8, 0xffff, v9
	s_wait_alu 0xfffd
	v_cndmask_b32_e32 v41, 0x7f800000, v1, vcc_lo
	v_cmp_ngt_f32_e32 vcc_lo, 0xc2ce8ed0, v4
	s_delay_alu instid0(VALU_DEP_3) | instskip(NEXT) | instid1(VALU_DEP_3)
	v_mul_u32_u24_e32 v1, 0x10001, v8
	v_fmac_f32_e32 v41, v42, v0
	s_delay_alu instid0(TRANS32_DEP_1) | instskip(NEXT) | instid1(VALU_DEP_3)
	v_ldexp_f32 v0, v2, v6
	v_pk_mul_f16 v144, v144, v1
	s_delay_alu instid0(VALU_DEP_3) | instskip(SKIP_1) | instid1(VALU_DEP_3)
	v_mov_b32_e32 v42, v41
	s_wait_alu 0xfffd
	v_dual_sub_f32 v9, v13, v29 :: v_dual_cndmask_b32 v0, 0, v0
	v_cmp_nlt_f32_e32 vcc_lo, 0x42b17218, v4
	v_sub_f32_e32 v6, v31, v29
	s_wait_alu 0xfffd
	s_delay_alu instid0(VALU_DEP_3) | instskip(SKIP_1) | instid1(VALU_DEP_1)
	v_cndmask_b32_e32 v0, 0x7f800000, v0, vcc_lo
	v_dual_mov_b32 v58, v47 :: v_dual_and_b32 v7, 0xffff, v7
	v_mul_u32_u24_e32 v7, 0x10001, v7
	s_delay_alu instid0(VALU_DEP_1) | instskip(SKIP_1) | instid1(VALU_DEP_1)
	v_pk_mul_f16 v148, v148, v7
	v_sub_f32_e32 v7, v30, v28
	v_mul_f32_e32 v3, 0x3fb8aa3b, v7
	v_cmp_ngt_f32_e32 vcc_lo, 0xc2ce8ed0, v7
	s_delay_alu instid0(VALU_DEP_2) | instskip(SKIP_1) | instid1(VALU_DEP_2)
	v_fma_f32 v5, 0x3fb8aa3b, v7, -v3
	v_rndne_f32_e32 v10, v3
	v_fmac_f32_e32 v5, 0x32a5705f, v7
	s_delay_alu instid0(VALU_DEP_2) | instskip(SKIP_1) | instid1(VALU_DEP_2)
	v_sub_f32_e32 v3, v3, v10
	v_cvt_i32_f32_e32 v8, v10
	v_dual_mul_f32 v10, 0x3fb8aa3b, v6 :: v_dual_add_f32 v3, v3, v5
	v_mul_f32_e32 v5, 0x3fb8aa3b, v9
	s_delay_alu instid0(VALU_DEP_2) | instskip(NEXT) | instid1(VALU_DEP_3)
	v_fma_f32 v4, 0x3fb8aa3b, v6, -v10
	v_exp_f32_e32 v1, v3
	s_delay_alu instid0(VALU_DEP_2) | instskip(SKIP_1) | instid1(VALU_DEP_3)
	v_fma_f32 v2, 0x3fb8aa3b, v9, -v5
	v_rndne_f32_e32 v3, v5
	v_fmac_f32_e32 v4, 0x32a5705f, v6
	s_delay_alu instid0(VALU_DEP_2) | instskip(SKIP_1) | instid1(TRANS32_DEP_1)
	v_dual_fmac_f32 v2, 0x32a5705f, v9 :: v_dual_sub_f32 v5, v5, v3
	v_cvt_i32_f32_e32 v3, v3
	v_ldexp_f32 v1, v1, v8
	v_rndne_f32_e32 v8, v10
	s_wait_alu 0xfffd
	s_delay_alu instid0(VALU_DEP_2) | instskip(NEXT) | instid1(VALU_DEP_2)
	v_dual_add_f32 v2, v5, v2 :: v_dual_cndmask_b32 v1, 0, v1
	v_sub_f32_e32 v5, v10, v8
	s_delay_alu instid0(VALU_DEP_2)
	v_exp_f32_e32 v2, v2
	v_cmp_nlt_f32_e32 vcc_lo, 0x42b17218, v7
	v_cvt_f16_f32_e32 v10, v0
	s_wait_alu 0xfffd
	v_cndmask_b32_e32 v43, 0x7f800000, v1, vcc_lo
	v_dual_add_f32 v1, v5, v4 :: v_dual_max_num_f32 v4, v14, v14
	s_delay_alu instid0(VALU_DEP_3) | instskip(NEXT) | instid1(TRANS32_DEP_1)
	v_and_b32_e32 v5, 0xffff, v10
	v_ldexp_f32 v2, v2, v3
	s_delay_alu instid0(VALU_DEP_4) | instskip(NEXT) | instid1(VALU_DEP_4)
	v_fmac_f32_e32 v43, v40, v0
	v_exp_f32_e32 v0, v1
	v_dual_max_num_f32 v30, v4, v37 :: v_dual_max_num_f32 v3, v15, v15
	v_cmp_ngt_f32_e32 vcc_lo, 0xc2ce8ed0, v9
	v_mul_u32_u24_e32 v1, 0x10001, v5
	v_cvt_i32_f32_e32 v4, v8
	s_delay_alu instid0(VALU_DEP_4) | instskip(SKIP_3) | instid1(TRANS32_DEP_1)
	v_sub_f32_e32 v5, v14, v30
	s_wait_alu 0xfffd
	v_dual_max_num_f32 v31, v3, v35 :: v_dual_cndmask_b32 v2, 0, v2
	v_cmp_nlt_f32_e32 vcc_lo, 0x42b17218, v9
	v_ldexp_f32 v0, v0, v4
	s_delay_alu instid0(VALU_DEP_3)
	v_dual_mul_f32 v3, 0x3fb8aa3b, v5 :: v_dual_sub_f32 v4, v15, v31
	v_pk_mul_f16 v143, v143, v1
	s_wait_alu 0xfffd
	v_cndmask_b32_e32 v2, 0x7f800000, v2, vcc_lo
	v_cmp_ngt_f32_e32 vcc_lo, 0xc2ce8ed0, v6
	v_fma_f32 v7, 0x3fb8aa3b, v5, -v3
	v_rndne_f32_e32 v8, v3
	v_dual_mul_f32 v9, 0x3fb8aa3b, v4 :: v_dual_mov_b32 v54, v51
	s_wait_alu 0xfffd
	v_cndmask_b32_e32 v0, 0, v0, vcc_lo
	v_cmp_nlt_f32_e32 vcc_lo, 0x42b17218, v6
	v_fmac_f32_e32 v7, 0x32a5705f, v5
	v_fma_f32 v1, 0x3fb8aa3b, v4, -v9
	v_sub_f32_e32 v6, v32, v30
	s_wait_alu 0xfffd
	v_dual_mov_b32 v56, v49 :: v_dual_cndmask_b32 v35, 0x7f800000, v0
	v_sub_f32_e32 v0, v3, v8
	v_rndne_f32_e32 v3, v9
	v_fmac_f32_e32 v1, 0x32a5705f, v4
	v_mul_f32_e32 v10, 0x3fb8aa3b, v6
	v_cvt_i32_f32_e32 v8, v8
	v_add_f32_e32 v0, v0, v7
	v_sub_f32_e32 v7, v9, v3
	v_sub_f32_e32 v9, v33, v31
	v_fma_f32 v11, 0x3fb8aa3b, v6, -v10
	v_rndne_f32_e32 v12, v10
	v_exp_f32_e32 v0, v0
	v_add_f32_e32 v1, v7, v1
	v_mul_f32_e32 v7, 0x3fb8aa3b, v9
	s_delay_alu instid0(VALU_DEP_3) | instskip(SKIP_1) | instid1(VALU_DEP_4)
	v_dual_fmac_f32 v11, 0x32a5705f, v6 :: v_dual_sub_f32 v10, v10, v12
	v_cvt_i32_f32_e32 v3, v3
	v_exp_f32_e32 v1, v1
	s_delay_alu instid0(VALU_DEP_3) | instskip(SKIP_2) | instid1(TRANS32_DEP_2)
	v_fma_f32 v13, 0x3fb8aa3b, v9, -v7
	v_rndne_f32_e32 v14, v7
	v_cmp_ngt_f32_e32 vcc_lo, 0xc2ce8ed0, v5
	v_ldexp_f32 v0, v0, v8
	s_delay_alu instid0(VALU_DEP_4) | instskip(NEXT) | instid1(VALU_DEP_4)
	v_dual_add_f32 v8, v10, v11 :: v_dual_fmac_f32 v13, 0x32a5705f, v9
	v_sub_f32_e32 v7, v7, v14
	s_wait_alu 0xfffd
	s_delay_alu instid0(VALU_DEP_3) | instskip(NEXT) | instid1(TRANS32_DEP_1)
	v_dual_fmac_f32 v35, v38, v2 :: v_dual_cndmask_b32 v0, 0, v0
	v_ldexp_f32 v1, v1, v3
	v_cmp_ngt_f32_e32 vcc_lo, 0xc2ce8ed0, v4
	v_add_f32_e32 v3, v7, v13
	v_exp_f32_e32 v7, v8
	v_cvt_i32_f32_e32 v8, v14
	v_cvt_f16_f32_e32 v2, v2
	s_wait_alu 0xfffd
	v_cndmask_b32_e32 v1, 0, v1, vcc_lo
	v_cmp_nlt_f32_e32 vcc_lo, 0x42b17218, v5
	v_exp_f32_e32 v3, v3
	v_cvt_i32_f32_e32 v5, v12
	v_and_b32_e32 v2, 0xffff, v2
	v_mov_b32_e32 v52, v53
	s_wait_alu 0xfffd
	v_cndmask_b32_e32 v0, 0x7f800000, v0, vcc_lo
	v_cmp_nlt_f32_e32 vcc_lo, 0x42b17218, v4
	v_ldexp_f32 v4, v7, v5
	v_mul_u32_u24_e32 v2, 0x10001, v2
	v_mov_b32_e32 v50, v55
	v_cvt_f16_f32_e32 v5, v0
	s_wait_alu 0xfffd
	v_cndmask_b32_e32 v1, 0x7f800000, v1, vcc_lo
	v_cmp_ngt_f32_e32 vcc_lo, 0xc2ce8ed0, v6
	v_ldexp_f32 v3, v3, v8
	v_pk_mul_f16 v142, v142, v2
	v_and_b32_e32 v5, 0xffff, v5
	v_cvt_f16_f32_e32 v7, v1
	s_wait_alu 0xfffd
	v_cndmask_b32_e32 v4, 0, v4, vcc_lo
	v_cmp_ngt_f32_e32 vcc_lo, 0xc2ce8ed0, v9
	v_mov_b32_e32 v48, v57
	v_dual_mov_b32 v46, v59 :: v_dual_and_b32 v7, 0xffff, v7
	s_wait_alu 0xfffd
	v_dual_mov_b32 v40, v43 :: v_dual_cndmask_b32 v3, 0, v3
	v_cmp_nlt_f32_e32 vcc_lo, 0x42b17218, v6
	v_mov_b32_e32 v38, v35
	s_wait_alu 0xfffd
	v_cndmask_b32_e32 v32, 0x7f800000, v4, vcc_lo
	v_cmp_nlt_f32_e32 vcc_lo, 0x42b17218, v9
	v_mul_u32_u24_e32 v4, 0x10001, v5
	s_wait_alu 0xfffd
	s_delay_alu instid0(VALU_DEP_3) | instskip(SKIP_1) | instid1(VALU_DEP_3)
	v_dual_fmac_f32 v32, v36, v0 :: v_dual_cndmask_b32 v33, 0x7f800000, v3
	v_mul_u32_u24_e32 v3, 0x10001, v7
	v_pk_mul_f16 v141, v141, v4
	s_delay_alu instid0(VALU_DEP_3) | instskip(NEXT) | instid1(VALU_DEP_3)
	v_dual_mov_b32 v36, v32 :: v_dual_fmac_f32 v33, v34, v1
	v_pk_mul_f16 v140, v140, v3
	v_dual_mov_b32 v0, v16 :: v_dual_mov_b32 v1, v17
	v_dual_mov_b32 v2, v18 :: v_dual_mov_b32 v3, v19
	;; [unrolled: 1-line block ×9, first 2 shown]
	v_mov_b32_e32 v34, v33
.LBB17_13:
	s_mov_b32 s3, exec_lo
	v_cmpx_gt_i32_e64 s22, v105
	s_cbranch_execz .LBB17_90
; %bb.14:
	s_load_b32 s1, s[0:1], 0xd4
	v_mov_b32_e32 v18, 1.0
	s_wait_kmcnt 0x0
	s_cmp_lg_u32 s1, 1
	s_cselect_b32 s5, -1, 0
	s_cmp_eq_u32 s1, 1
	s_cselect_b32 s6, -1, 0
	s_wait_alu 0xfffe
	s_and_b32 vcc_lo, exec_lo, s5
	s_wait_alu 0xfffe
	s_cbranch_vccnz .LBB17_16
; %bb.15:
	v_div_scale_f32 v16, null, v60, v60, 1.0
	s_delay_alu instid0(VALU_DEP_1) | instskip(NEXT) | instid1(TRANS32_DEP_1)
	v_rcp_f32_e32 v17, v16
	v_fma_f32 v18, -v16, v17, 1.0
	s_delay_alu instid0(VALU_DEP_1) | instskip(SKIP_1) | instid1(VALU_DEP_1)
	v_fmac_f32_e32 v17, v18, v17
	v_div_scale_f32 v18, vcc_lo, 1.0, v60, 1.0
	v_mul_f32_e32 v19, v18, v17
	s_delay_alu instid0(VALU_DEP_1) | instskip(NEXT) | instid1(VALU_DEP_1)
	v_fma_f32 v20, -v16, v19, v18
	v_fmac_f32_e32 v19, v20, v17
	s_delay_alu instid0(VALU_DEP_1) | instskip(SKIP_1) | instid1(VALU_DEP_1)
	v_fma_f32 v16, -v16, v19, v18
	s_wait_alu 0xfffd
	v_div_fmas_f32 v16, v16, v17, v19
	s_delay_alu instid0(VALU_DEP_1)
	v_div_fixup_f32 v18, v16, v60, 1.0
.LBB17_16:
	s_mul_i32 s3, s28, s22
	v_cvt_f32_f16_e64 v22, v155
	s_wait_alu 0xfffe
	s_add_co_i32 s3, s3, s31
	v_cmp_eq_u32_e32 vcc_lo, 0, v106
	s_wait_alu 0xfffe
	v_dual_mov_b32 v21, 0 :: v_dual_add_nc_u32 v16, s3, v104
	s_delay_alu instid0(VALU_DEP_1) | instskip(NEXT) | instid1(VALU_DEP_1)
	v_mul_lo_u32 v19, v16, s23
	v_add_nc_u32_e32 v16, s2, v19
	s_delay_alu instid0(VALU_DEP_1) | instskip(SKIP_2) | instid1(VALU_DEP_1)
	v_mad_co_u64_u32 v[16:17], null, s1, v16, s[4:5]
	v_lshrrev_b32_e32 v17, 16, v155
	s_and_b32 s5, vcc_lo, s5
	v_cvt_f32_f16_e32 v23, v17
	s_delay_alu instid0(VALU_DEP_3) | instskip(SKIP_1) | instid1(VALU_DEP_3)
	v_lshl_add_u32 v20, v16, 6, v61
	v_mul_f32_e32 v17, v18, v22
	v_mul_f32_e32 v18, v18, v23
	s_delay_alu instid0(VALU_DEP_3) | instskip(NEXT) | instid1(VALU_DEP_1)
	v_lshlrev_b64_e32 v[20:21], 2, v[20:21]
	v_add_co_u32 v20, s0, s16, v20
	s_wait_alu 0xf1ff
	s_delay_alu instid0(VALU_DEP_2)
	v_add_co_ci_u32_e64 v21, null, s17, v21, s0
	global_store_b64 v[20:21], v[17:18], off
	s_wait_alu 0xfffe
	s_and_saveexec_b32 s0, s5
	s_cbranch_execz .LBB17_18
; %bb.17:
	v_ashrrev_i32_e32 v17, 31, v16
	v_mov_b32_e32 v59, v0
	s_delay_alu instid0(VALU_DEP_2) | instskip(NEXT) | instid1(VALU_DEP_1)
	v_lshlrev_b64_e32 v[16:17], 3, v[16:17]
	v_add_co_u32 v16, vcc_lo, s18, v16
	s_wait_alu 0xfffd
	s_delay_alu instid0(VALU_DEP_2)
	v_add_co_ci_u32_e64 v17, null, s19, v17, vcc_lo
	global_store_b64 v[16:17], v[59:60], off
.LBB17_18:
	s_wait_alu 0xfffe
	s_or_b32 exec_lo, exec_lo, s0
	v_cndmask_b32_e64 v18, 0, 1, s6
	v_mov_b32_e32 v0, 1.0
	s_and_not1_b32 vcc_lo, exec_lo, s6
	s_wait_alu 0xfffe
	s_cbranch_vccnz .LBB17_20
; %bb.19:
	v_div_scale_f32 v0, null, v58, v58, 1.0
	s_delay_alu instid0(VALU_DEP_1) | instskip(NEXT) | instid1(TRANS32_DEP_1)
	v_rcp_f32_e32 v16, v0
	v_fma_f32 v17, -v0, v16, 1.0
	s_delay_alu instid0(VALU_DEP_1) | instskip(SKIP_1) | instid1(VALU_DEP_1)
	v_fmac_f32_e32 v16, v17, v16
	v_div_scale_f32 v17, vcc_lo, 1.0, v58, 1.0
	v_mul_f32_e32 v20, v17, v16
	s_delay_alu instid0(VALU_DEP_1) | instskip(NEXT) | instid1(VALU_DEP_1)
	v_fma_f32 v21, -v0, v20, v17
	v_fmac_f32_e32 v20, v21, v16
	s_delay_alu instid0(VALU_DEP_1) | instskip(SKIP_1) | instid1(VALU_DEP_1)
	v_fma_f32 v0, -v0, v20, v17
	s_wait_alu 0xfffd
	v_div_fmas_f32 v0, v0, v16, v20
	s_delay_alu instid0(VALU_DEP_1)
	v_div_fixup_f32 v0, v0, v58, 1.0
.LBB17_20:
	s_add_co_i32 s8, s2, 1
	v_cvt_f32_f16_e64 v22, v154
	v_dual_mov_b32 v21, 0 :: v_dual_add_nc_u32 v16, s8, v19
	s_delay_alu instid0(VALU_DEP_2) | instskip(NEXT) | instid1(VALU_DEP_2)
	v_mul_f32_e32 v22, v0, v22
	v_mad_co_u64_u32 v[16:17], null, s1, v16, s[4:5]
	v_lshrrev_b32_e32 v17, 16, v154
	s_delay_alu instid0(VALU_DEP_1) | instskip(NEXT) | instid1(VALU_DEP_3)
	v_cvt_f32_f16_e32 v17, v17
	v_lshl_add_u32 v20, v16, 6, v61
	s_delay_alu instid0(VALU_DEP_2) | instskip(NEXT) | instid1(VALU_DEP_2)
	v_mul_f32_e32 v23, v0, v17
	v_lshlrev_b64_e32 v[20:21], 2, v[20:21]
	s_delay_alu instid0(VALU_DEP_1) | instskip(SKIP_1) | instid1(VALU_DEP_2)
	v_add_co_u32 v20, vcc_lo, s16, v20
	s_wait_alu 0xfffd
	v_add_co_ci_u32_e64 v21, null, s17, v21, vcc_lo
	global_store_b64 v[20:21], v[22:23], off
	s_and_saveexec_b32 s0, s5
	s_cbranch_execz .LBB17_22
; %bb.21:
	v_ashrrev_i32_e32 v17, 31, v16
	v_mov_b32_e32 v57, v1
	s_delay_alu instid0(VALU_DEP_2) | instskip(NEXT) | instid1(VALU_DEP_1)
	v_lshlrev_b64_e32 v[16:17], 3, v[16:17]
	v_add_co_u32 v16, vcc_lo, s18, v16
	s_wait_alu 0xfffd
	s_delay_alu instid0(VALU_DEP_2)
	v_add_co_ci_u32_e64 v17, null, s19, v17, vcc_lo
	global_store_b64 v[16:17], v[57:58], off
.LBB17_22:
	s_wait_alu 0xfffe
	s_or_b32 exec_lo, exec_lo, s0
	v_cmp_ne_u32_e32 vcc_lo, 1, v18
	v_mov_b32_e32 v16, 1.0
	s_cbranch_vccnz .LBB17_24
; %bb.23:
	v_div_scale_f32 v0, null, v56, v56, 1.0
	s_delay_alu instid0(VALU_DEP_1) | instskip(NEXT) | instid1(TRANS32_DEP_1)
	v_rcp_f32_e32 v1, v0
	v_fma_f32 v16, -v0, v1, 1.0
	s_delay_alu instid0(VALU_DEP_1) | instskip(SKIP_1) | instid1(VALU_DEP_1)
	v_fmac_f32_e32 v1, v16, v1
	v_div_scale_f32 v16, vcc_lo, 1.0, v56, 1.0
	v_mul_f32_e32 v17, v16, v1
	s_delay_alu instid0(VALU_DEP_1) | instskip(NEXT) | instid1(VALU_DEP_1)
	v_fma_f32 v20, -v0, v17, v16
	v_fmac_f32_e32 v17, v20, v1
	s_delay_alu instid0(VALU_DEP_1) | instskip(SKIP_1) | instid1(VALU_DEP_1)
	v_fma_f32 v0, -v0, v17, v16
	s_wait_alu 0xfffd
	v_div_fmas_f32 v0, v0, v1, v17
	s_delay_alu instid0(VALU_DEP_1)
	v_div_fixup_f32 v16, v0, v56, 1.0
.LBB17_24:
	s_add_co_i32 s6, s2, 2
	v_cvt_f32_f16_e64 v17, v153
	s_wait_alu 0xfffe
	v_dual_mov_b32 v21, 0 :: v_dual_add_nc_u32 v0, s6, v19
	s_delay_alu instid0(VALU_DEP_2) | instskip(NEXT) | instid1(VALU_DEP_2)
	v_mul_f32_e32 v22, v16, v17
	v_mad_co_u64_u32 v[0:1], null, s1, v0, s[4:5]
	v_lshrrev_b32_e32 v1, 16, v153
	s_delay_alu instid0(VALU_DEP_1) | instskip(NEXT) | instid1(VALU_DEP_3)
	v_cvt_f32_f16_e32 v1, v1
	v_lshl_add_u32 v20, v0, 6, v61
	s_delay_alu instid0(VALU_DEP_2) | instskip(NEXT) | instid1(VALU_DEP_2)
	v_mul_f32_e32 v23, v16, v1
	v_lshlrev_b64_e32 v[20:21], 2, v[20:21]
	s_delay_alu instid0(VALU_DEP_1) | instskip(SKIP_1) | instid1(VALU_DEP_2)
	v_add_co_u32 v16, vcc_lo, s16, v20
	s_wait_alu 0xfffd
	v_add_co_ci_u32_e64 v17, null, s17, v21, vcc_lo
	global_store_b64 v[16:17], v[22:23], off
	s_and_saveexec_b32 s0, s5
	s_cbranch_execz .LBB17_26
; %bb.25:
	v_ashrrev_i32_e32 v1, 31, v0
	v_mov_b32_e32 v55, v2
	s_delay_alu instid0(VALU_DEP_2) | instskip(NEXT) | instid1(VALU_DEP_1)
	v_lshlrev_b64_e32 v[0:1], 3, v[0:1]
	v_add_co_u32 v0, vcc_lo, s18, v0
	s_wait_alu 0xfffd
	s_delay_alu instid0(VALU_DEP_2)
	v_add_co_ci_u32_e64 v1, null, s19, v1, vcc_lo
	global_store_b64 v[0:1], v[55:56], off
.LBB17_26:
	s_wait_alu 0xfffe
	s_or_b32 exec_lo, exec_lo, s0
	v_cmp_ne_u32_e32 vcc_lo, 1, v18
	v_mov_b32_e32 v2, 1.0
	s_cbranch_vccnz .LBB17_28
; %bb.27:
	v_div_scale_f32 v0, null, v54, v54, 1.0
	s_delay_alu instid0(VALU_DEP_1) | instskip(NEXT) | instid1(TRANS32_DEP_1)
	v_rcp_f32_e32 v1, v0
	v_fma_f32 v2, -v0, v1, 1.0
	s_delay_alu instid0(VALU_DEP_1) | instskip(SKIP_1) | instid1(VALU_DEP_1)
	v_fmac_f32_e32 v1, v2, v1
	v_div_scale_f32 v2, vcc_lo, 1.0, v54, 1.0
	v_mul_f32_e32 v16, v2, v1
	s_delay_alu instid0(VALU_DEP_1) | instskip(NEXT) | instid1(VALU_DEP_1)
	v_fma_f32 v17, -v0, v16, v2
	v_fmac_f32_e32 v16, v17, v1
	s_delay_alu instid0(VALU_DEP_1) | instskip(SKIP_1) | instid1(VALU_DEP_1)
	v_fma_f32 v0, -v0, v16, v2
	s_wait_alu 0xfffd
	v_div_fmas_f32 v0, v0, v1, v16
	s_delay_alu instid0(VALU_DEP_1)
	v_div_fixup_f32 v2, v0, v54, 1.0
.LBB17_28:
	s_add_co_i32 s0, s2, 3
	s_wait_alu 0xfffe
	v_dual_mov_b32 v17, 0 :: v_dual_add_nc_u32 v0, s0, v19
	v_cvt_f32_f16_e64 v19, v152
	s_delay_alu instid0(VALU_DEP_2) | instskip(SKIP_1) | instid1(VALU_DEP_1)
	v_mad_co_u64_u32 v[0:1], null, s1, v0, s[4:5]
	v_lshrrev_b32_e32 v1, 16, v152
	v_cvt_f32_f16_e32 v20, v1
	s_delay_alu instid0(VALU_DEP_3) | instskip(SKIP_1) | instid1(VALU_DEP_3)
	v_lshl_add_u32 v16, v0, 6, v61
	v_mul_f32_e32 v1, v2, v19
	v_mul_f32_e32 v2, v2, v20
	s_delay_alu instid0(VALU_DEP_3) | instskip(NEXT) | instid1(VALU_DEP_1)
	v_lshlrev_b64_e32 v[16:17], 2, v[16:17]
	v_add_co_u32 v16, vcc_lo, s16, v16
	s_wait_alu 0xfffd
	s_delay_alu instid0(VALU_DEP_2)
	v_add_co_ci_u32_e64 v17, null, s17, v17, vcc_lo
	global_store_b64 v[16:17], v[1:2], off
	s_and_saveexec_b32 s7, s5
	s_cbranch_execz .LBB17_30
; %bb.29:
	v_ashrrev_i32_e32 v1, 31, v0
	v_mov_b32_e32 v53, v3
	s_delay_alu instid0(VALU_DEP_2) | instskip(NEXT) | instid1(VALU_DEP_1)
	v_lshlrev_b64_e32 v[0:1], 3, v[0:1]
	v_add_co_u32 v0, vcc_lo, s18, v0
	s_wait_alu 0xfffd
	s_delay_alu instid0(VALU_DEP_2)
	v_add_co_ci_u32_e64 v1, null, s19, v1, vcc_lo
	global_store_b64 v[0:1], v[53:54], off
.LBB17_30:
	s_wait_alu 0xfffe
	s_or_b32 exec_lo, exec_lo, s7
	v_cmp_gt_i32_e32 vcc_lo, s22, v103
	s_and_b32 exec_lo, exec_lo, vcc_lo
	s_cbranch_execz .LBB17_90
; %bb.31:
	v_cmp_ne_u32_e32 vcc_lo, 1, v18
	v_mov_b32_e32 v2, 1.0
	s_cbranch_vccnz .LBB17_33
; %bb.32:
	v_div_scale_f32 v0, null, v52, v52, 1.0
	s_delay_alu instid0(VALU_DEP_1) | instskip(NEXT) | instid1(TRANS32_DEP_1)
	v_rcp_f32_e32 v1, v0
	v_fma_f32 v2, -v0, v1, 1.0
	s_delay_alu instid0(VALU_DEP_1) | instskip(SKIP_1) | instid1(VALU_DEP_1)
	v_fmac_f32_e32 v1, v2, v1
	v_div_scale_f32 v2, vcc_lo, 1.0, v52, 1.0
	v_mul_f32_e32 v3, v2, v1
	s_delay_alu instid0(VALU_DEP_1) | instskip(NEXT) | instid1(VALU_DEP_1)
	v_fma_f32 v16, -v0, v3, v2
	v_fmac_f32_e32 v3, v16, v1
	s_delay_alu instid0(VALU_DEP_1) | instskip(SKIP_1) | instid1(VALU_DEP_1)
	v_fma_f32 v0, -v0, v3, v2
	s_wait_alu 0xfffd
	v_div_fmas_f32 v0, v0, v1, v3
	s_delay_alu instid0(VALU_DEP_1)
	v_div_fixup_f32 v2, v0, v52, 1.0
.LBB17_33:
	v_dual_mov_b32 v17, 0 :: v_dual_add_nc_u32 v0, s3, v101
	v_cvt_f32_f16_e64 v3, v151
	s_delay_alu instid0(VALU_DEP_2) | instskip(NEXT) | instid1(VALU_DEP_1)
	v_mad_co_u64_u32 v[0:1], null, v0, s23, s[2:3]
	v_mad_co_u64_u32 v[0:1], null, s1, v0, s[4:5]
	v_lshrrev_b32_e32 v1, 16, v151
	s_delay_alu instid0(VALU_DEP_1) | instskip(NEXT) | instid1(VALU_DEP_3)
	v_cvt_f32_f16_e32 v19, v1
	v_lshl_add_u32 v16, v0, 6, v61
	v_mul_f32_e32 v1, v2, v3
	s_delay_alu instid0(VALU_DEP_3) | instskip(NEXT) | instid1(VALU_DEP_3)
	v_mul_f32_e32 v2, v2, v19
	v_lshlrev_b64_e32 v[16:17], 2, v[16:17]
	s_delay_alu instid0(VALU_DEP_1) | instskip(SKIP_1) | instid1(VALU_DEP_2)
	v_add_co_u32 v16, vcc_lo, s16, v16
	s_wait_alu 0xfffd
	v_add_co_ci_u32_e64 v17, null, s17, v17, vcc_lo
	global_store_b64 v[16:17], v[1:2], off
	s_and_saveexec_b32 s7, s5
	s_cbranch_execz .LBB17_35
; %bb.34:
	v_ashrrev_i32_e32 v1, 31, v0
	v_mov_b32_e32 v51, v4
	s_delay_alu instid0(VALU_DEP_2) | instskip(NEXT) | instid1(VALU_DEP_1)
	v_lshlrev_b64_e32 v[0:1], 3, v[0:1]
	v_add_co_u32 v0, vcc_lo, s18, v0
	s_wait_alu 0xfffd
	s_delay_alu instid0(VALU_DEP_2)
	v_add_co_ci_u32_e64 v1, null, s19, v1, vcc_lo
	global_store_b64 v[0:1], v[51:52], off
.LBB17_35:
	s_wait_alu 0xfffe
	s_or_b32 exec_lo, exec_lo, s7
	v_cmp_gt_i32_e32 vcc_lo, s22, v102
	s_and_b32 exec_lo, exec_lo, vcc_lo
	s_cbranch_execz .LBB17_90
; %bb.36:
	v_cmp_ne_u32_e32 vcc_lo, 1, v18
	v_mov_b32_e32 v2, 1.0
	s_cbranch_vccnz .LBB17_38
; %bb.37:
	v_div_scale_f32 v0, null, v50, v50, 1.0
	s_delay_alu instid0(VALU_DEP_1) | instskip(NEXT) | instid1(TRANS32_DEP_1)
	v_rcp_f32_e32 v1, v0
	v_fma_f32 v2, -v0, v1, 1.0
	s_delay_alu instid0(VALU_DEP_1) | instskip(SKIP_1) | instid1(VALU_DEP_1)
	v_fmac_f32_e32 v1, v2, v1
	v_div_scale_f32 v2, vcc_lo, 1.0, v50, 1.0
	v_mul_f32_e32 v3, v2, v1
	s_delay_alu instid0(VALU_DEP_1) | instskip(NEXT) | instid1(VALU_DEP_1)
	v_fma_f32 v4, -v0, v3, v2
	v_fmac_f32_e32 v3, v4, v1
	s_delay_alu instid0(VALU_DEP_1) | instskip(SKIP_1) | instid1(VALU_DEP_1)
	v_fma_f32 v0, -v0, v3, v2
	s_wait_alu 0xfffd
	v_div_fmas_f32 v0, v0, v1, v3
	s_delay_alu instid0(VALU_DEP_1)
	v_div_fixup_f32 v2, v0, v50, 1.0
.LBB17_38:
	v_add_nc_u32_e32 v0, s3, v100
	v_cvt_f32_f16_e64 v16, v150
	v_mov_b32_e32 v4, 0
	s_delay_alu instid0(VALU_DEP_3) | instskip(NEXT) | instid1(VALU_DEP_1)
	v_mad_co_u64_u32 v[0:1], null, v0, s23, s[8:9]
	v_mad_co_u64_u32 v[0:1], null, s1, v0, s[4:5]
	v_lshrrev_b32_e32 v1, 16, v150
	s_delay_alu instid0(VALU_DEP_1) | instskip(NEXT) | instid1(VALU_DEP_3)
	v_cvt_f32_f16_e32 v17, v1
	v_lshl_add_u32 v3, v0, 6, v61
	v_mul_f32_e32 v1, v2, v16
	s_delay_alu instid0(VALU_DEP_3) | instskip(NEXT) | instid1(VALU_DEP_3)
	v_mul_f32_e32 v2, v2, v17
	v_lshlrev_b64_e32 v[3:4], 2, v[3:4]
	s_delay_alu instid0(VALU_DEP_1) | instskip(SKIP_1) | instid1(VALU_DEP_2)
	v_add_co_u32 v3, vcc_lo, s16, v3
	s_wait_alu 0xfffd
	v_add_co_ci_u32_e64 v4, null, s17, v4, vcc_lo
	global_store_b64 v[3:4], v[1:2], off
	s_and_saveexec_b32 s7, s5
	s_cbranch_execz .LBB17_40
; %bb.39:
	v_ashrrev_i32_e32 v1, 31, v0
	v_mov_b32_e32 v49, v5
	s_delay_alu instid0(VALU_DEP_2) | instskip(NEXT) | instid1(VALU_DEP_1)
	v_lshlrev_b64_e32 v[0:1], 3, v[0:1]
	v_add_co_u32 v0, vcc_lo, s18, v0
	s_wait_alu 0xfffd
	s_delay_alu instid0(VALU_DEP_2)
	v_add_co_ci_u32_e64 v1, null, s19, v1, vcc_lo
	global_store_b64 v[0:1], v[49:50], off
.LBB17_40:
	s_wait_alu 0xfffe
	s_or_b32 exec_lo, exec_lo, s7
	v_cmp_gt_i32_e32 vcc_lo, s22, v99
	s_and_b32 exec_lo, exec_lo, vcc_lo
	s_cbranch_execz .LBB17_90
; %bb.41:
	v_cmp_ne_u32_e32 vcc_lo, 1, v18
	v_mov_b32_e32 v2, 1.0
	s_cbranch_vccnz .LBB17_43
; %bb.42:
	v_div_scale_f32 v0, null, v48, v48, 1.0
	s_delay_alu instid0(VALU_DEP_1) | instskip(NEXT) | instid1(TRANS32_DEP_1)
	v_rcp_f32_e32 v1, v0
	v_fma_f32 v2, -v0, v1, 1.0
	s_delay_alu instid0(VALU_DEP_1) | instskip(SKIP_1) | instid1(VALU_DEP_1)
	v_fmac_f32_e32 v1, v2, v1
	v_div_scale_f32 v2, vcc_lo, 1.0, v48, 1.0
	v_mul_f32_e32 v3, v2, v1
	s_delay_alu instid0(VALU_DEP_1) | instskip(NEXT) | instid1(VALU_DEP_1)
	v_fma_f32 v4, -v0, v3, v2
	v_fmac_f32_e32 v3, v4, v1
	s_delay_alu instid0(VALU_DEP_1) | instskip(SKIP_1) | instid1(VALU_DEP_1)
	v_fma_f32 v0, -v0, v3, v2
	s_wait_alu 0xfffd
	v_div_fmas_f32 v0, v0, v1, v3
	s_delay_alu instid0(VALU_DEP_1)
	v_div_fixup_f32 v2, v0, v48, 1.0
.LBB17_43:
	v_cvt_f32_f16_e64 v5, v149
	v_add_nc_u32_e32 v0, s3, v95
	v_mov_b32_e32 v4, 0
	s_delay_alu instid0(VALU_DEP_2) | instskip(NEXT) | instid1(VALU_DEP_1)
	v_mad_co_u64_u32 v[0:1], null, v0, s23, s[6:7]
	v_mad_co_u64_u32 v[0:1], null, s1, v0, s[4:5]
	v_lshrrev_b32_e32 v1, 16, v149
	s_delay_alu instid0(VALU_DEP_1) | instskip(NEXT) | instid1(VALU_DEP_3)
	v_cvt_f32_f16_e32 v16, v1
	v_lshl_add_u32 v3, v0, 6, v61
	v_mul_f32_e32 v1, v2, v5
	s_delay_alu instid0(VALU_DEP_3) | instskip(NEXT) | instid1(VALU_DEP_3)
	v_mul_f32_e32 v2, v2, v16
	v_lshlrev_b64_e32 v[3:4], 2, v[3:4]
	s_delay_alu instid0(VALU_DEP_1) | instskip(SKIP_1) | instid1(VALU_DEP_2)
	v_add_co_u32 v3, vcc_lo, s16, v3
	s_wait_alu 0xfffd
	v_add_co_ci_u32_e64 v4, null, s17, v4, vcc_lo
	global_store_b64 v[3:4], v[1:2], off
	s_and_saveexec_b32 s7, s5
	s_cbranch_execz .LBB17_45
; %bb.44:
	v_ashrrev_i32_e32 v1, 31, v0
	v_mov_b32_e32 v47, v6
	s_delay_alu instid0(VALU_DEP_2) | instskip(NEXT) | instid1(VALU_DEP_1)
	v_lshlrev_b64_e32 v[0:1], 3, v[0:1]
	v_add_co_u32 v0, vcc_lo, s18, v0
	s_wait_alu 0xfffd
	s_delay_alu instid0(VALU_DEP_2)
	v_add_co_ci_u32_e64 v1, null, s19, v1, vcc_lo
	global_store_b64 v[0:1], v[47:48], off
.LBB17_45:
	s_wait_alu 0xfffe
	s_or_b32 exec_lo, exec_lo, s7
	v_cmp_gt_i32_e32 vcc_lo, s22, v98
	s_and_b32 exec_lo, exec_lo, vcc_lo
	s_cbranch_execz .LBB17_90
; %bb.46:
	v_cmp_ne_u32_e32 vcc_lo, 1, v18
	v_mov_b32_e32 v2, 1.0
	s_cbranch_vccnz .LBB17_48
; %bb.47:
	v_div_scale_f32 v0, null, v46, v46, 1.0
	s_delay_alu instid0(VALU_DEP_1) | instskip(NEXT) | instid1(TRANS32_DEP_1)
	v_rcp_f32_e32 v1, v0
	v_fma_f32 v2, -v0, v1, 1.0
	s_delay_alu instid0(VALU_DEP_1) | instskip(SKIP_1) | instid1(VALU_DEP_1)
	v_fmac_f32_e32 v1, v2, v1
	v_div_scale_f32 v2, vcc_lo, 1.0, v46, 1.0
	v_mul_f32_e32 v3, v2, v1
	s_delay_alu instid0(VALU_DEP_1) | instskip(NEXT) | instid1(VALU_DEP_1)
	v_fma_f32 v4, -v0, v3, v2
	v_fmac_f32_e32 v3, v4, v1
	s_delay_alu instid0(VALU_DEP_1) | instskip(SKIP_1) | instid1(VALU_DEP_1)
	v_fma_f32 v0, -v0, v3, v2
	s_wait_alu 0xfffd
	v_div_fmas_f32 v0, v0, v1, v3
	s_delay_alu instid0(VALU_DEP_1)
	v_div_fixup_f32 v2, v0, v46, 1.0
.LBB17_48:
	s_wait_loadcnt 0x0
	v_add_nc_u32_e32 v0, s3, v177
	v_cvt_f32_f16_e64 v5, v148
	v_mov_b32_e32 v4, 0
	s_delay_alu instid0(VALU_DEP_3) | instskip(NEXT) | instid1(VALU_DEP_1)
	v_mad_co_u64_u32 v[0:1], null, v0, s23, s[0:1]
	v_mad_co_u64_u32 v[0:1], null, s1, v0, s[4:5]
	v_lshrrev_b32_e32 v1, 16, v148
	s_delay_alu instid0(VALU_DEP_1) | instskip(NEXT) | instid1(VALU_DEP_3)
	v_cvt_f32_f16_e32 v6, v1
	v_lshl_add_u32 v3, v0, 6, v61
	v_mul_f32_e32 v1, v2, v5
	s_delay_alu instid0(VALU_DEP_3) | instskip(NEXT) | instid1(VALU_DEP_3)
	v_mul_f32_e32 v2, v2, v6
	v_lshlrev_b64_e32 v[3:4], 2, v[3:4]
	s_delay_alu instid0(VALU_DEP_1) | instskip(SKIP_1) | instid1(VALU_DEP_2)
	v_add_co_u32 v3, vcc_lo, s16, v3
	s_wait_alu 0xfffd
	v_add_co_ci_u32_e64 v4, null, s17, v4, vcc_lo
	global_store_b64 v[3:4], v[1:2], off
	s_and_saveexec_b32 s7, s5
	s_cbranch_execz .LBB17_50
; %bb.49:
	v_ashrrev_i32_e32 v1, 31, v0
	v_mov_b32_e32 v45, v7
	s_delay_alu instid0(VALU_DEP_2) | instskip(NEXT) | instid1(VALU_DEP_1)
	v_lshlrev_b64_e32 v[0:1], 3, v[0:1]
	v_add_co_u32 v0, vcc_lo, s18, v0
	s_wait_alu 0xfffd
	s_delay_alu instid0(VALU_DEP_2)
	v_add_co_ci_u32_e64 v1, null, s19, v1, vcc_lo
	global_store_b64 v[0:1], v[45:46], off
.LBB17_50:
	s_wait_alu 0xfffe
	s_or_b32 exec_lo, exec_lo, s7
	v_cmp_gt_i32_e32 vcc_lo, s22, v96
	s_and_b32 exec_lo, exec_lo, vcc_lo
	s_cbranch_execz .LBB17_90
; %bb.51:
	v_cmp_ne_u32_e32 vcc_lo, 1, v18
	v_mov_b32_e32 v2, 1.0
	s_cbranch_vccnz .LBB17_53
; %bb.52:
	v_div_scale_f32 v0, null, v44, v44, 1.0
	s_delay_alu instid0(VALU_DEP_1) | instskip(NEXT) | instid1(TRANS32_DEP_1)
	v_rcp_f32_e32 v1, v0
	v_fma_f32 v2, -v0, v1, 1.0
	s_delay_alu instid0(VALU_DEP_1) | instskip(SKIP_1) | instid1(VALU_DEP_1)
	v_fmac_f32_e32 v1, v2, v1
	v_div_scale_f32 v2, vcc_lo, 1.0, v44, 1.0
	v_mul_f32_e32 v3, v2, v1
	s_delay_alu instid0(VALU_DEP_1) | instskip(NEXT) | instid1(VALU_DEP_1)
	v_fma_f32 v4, -v0, v3, v2
	v_fmac_f32_e32 v3, v4, v1
	s_delay_alu instid0(VALU_DEP_1) | instskip(SKIP_1) | instid1(VALU_DEP_1)
	v_fma_f32 v0, -v0, v3, v2
	s_wait_alu 0xfffd
	v_div_fmas_f32 v0, v0, v1, v3
	s_delay_alu instid0(VALU_DEP_1)
	v_div_fixup_f32 v2, v0, v44, 1.0
.LBB17_53:
	v_cvt_f32_f16_e64 v5, v147
	v_add_nc_u32_e32 v0, s3, v176
	v_mov_b32_e32 v4, 0
	s_delay_alu instid0(VALU_DEP_2) | instskip(NEXT) | instid1(VALU_DEP_1)
	v_mad_co_u64_u32 v[0:1], null, v0, s23, s[2:3]
	v_mad_co_u64_u32 v[0:1], null, s1, v0, s[4:5]
	v_lshrrev_b32_e32 v1, 16, v147
	s_delay_alu instid0(VALU_DEP_1) | instskip(NEXT) | instid1(VALU_DEP_3)
	v_cvt_f32_f16_e32 v6, v1
	v_lshl_add_u32 v3, v0, 6, v61
	v_mul_f32_e32 v1, v2, v5
	s_delay_alu instid0(VALU_DEP_3) | instskip(NEXT) | instid1(VALU_DEP_3)
	v_mul_f32_e32 v2, v2, v6
	v_lshlrev_b64_e32 v[3:4], 2, v[3:4]
	s_delay_alu instid0(VALU_DEP_1) | instskip(SKIP_1) | instid1(VALU_DEP_2)
	v_add_co_u32 v3, vcc_lo, s16, v3
	s_wait_alu 0xfffd
	v_add_co_ci_u32_e64 v4, null, s17, v4, vcc_lo
	global_store_b64 v[3:4], v[1:2], off
	s_and_saveexec_b32 s7, s5
	s_cbranch_execz .LBB17_55
; %bb.54:
	v_ashrrev_i32_e32 v1, 31, v0
	v_mov_b32_e32 v43, v8
	s_delay_alu instid0(VALU_DEP_2) | instskip(NEXT) | instid1(VALU_DEP_1)
	v_lshlrev_b64_e32 v[0:1], 3, v[0:1]
	v_add_co_u32 v0, vcc_lo, s18, v0
	s_wait_alu 0xfffd
	s_delay_alu instid0(VALU_DEP_2)
	v_add_co_ci_u32_e64 v1, null, s19, v1, vcc_lo
	global_store_b64 v[0:1], v[43:44], off
.LBB17_55:
	s_wait_alu 0xfffe
	s_or_b32 exec_lo, exec_lo, s7
	v_cmp_gt_i32_e32 vcc_lo, s22, v93
	s_and_b32 exec_lo, exec_lo, vcc_lo
	s_cbranch_execz .LBB17_90
; %bb.56:
	v_cmp_ne_u32_e32 vcc_lo, 1, v18
	v_mov_b32_e32 v2, 1.0
	s_cbranch_vccnz .LBB17_58
; %bb.57:
	v_div_scale_f32 v0, null, v28, v28, 1.0
	s_delay_alu instid0(VALU_DEP_1) | instskip(NEXT) | instid1(TRANS32_DEP_1)
	v_rcp_f32_e32 v1, v0
	v_fma_f32 v2, -v0, v1, 1.0
	s_delay_alu instid0(VALU_DEP_1) | instskip(SKIP_1) | instid1(VALU_DEP_1)
	v_fmac_f32_e32 v1, v2, v1
	v_div_scale_f32 v2, vcc_lo, 1.0, v28, 1.0
	v_mul_f32_e32 v3, v2, v1
	s_delay_alu instid0(VALU_DEP_1) | instskip(NEXT) | instid1(VALU_DEP_1)
	v_fma_f32 v4, -v0, v3, v2
	v_fmac_f32_e32 v3, v4, v1
	s_delay_alu instid0(VALU_DEP_1) | instskip(SKIP_1) | instid1(VALU_DEP_1)
	v_fma_f32 v0, -v0, v3, v2
	s_wait_alu 0xfffd
	v_div_fmas_f32 v0, v0, v1, v3
	s_delay_alu instid0(VALU_DEP_1)
	v_div_fixup_f32 v2, v0, v28, 1.0
.LBB17_58:
	v_cvt_f32_f16_e64 v5, v146
	v_add_nc_u32_e32 v0, s3, v175
	v_mov_b32_e32 v4, 0
	s_delay_alu instid0(VALU_DEP_2) | instskip(NEXT) | instid1(VALU_DEP_1)
	;; [unrolled: 60-line block ×3, first 2 shown]
	v_mad_co_u64_u32 v[0:1], null, v0, s23, s[6:7]
	v_mad_co_u64_u32 v[0:1], null, s1, v0, s[4:5]
	v_lshrrev_b32_e32 v1, 16, v145
	s_delay_alu instid0(VALU_DEP_1) | instskip(NEXT) | instid1(VALU_DEP_3)
	v_cvt_f32_f16_e32 v6, v1
	v_lshl_add_u32 v3, v0, 6, v61
	v_mul_f32_e32 v1, v2, v5
	s_delay_alu instid0(VALU_DEP_3) | instskip(NEXT) | instid1(VALU_DEP_3)
	v_mul_f32_e32 v2, v2, v6
	v_lshlrev_b64_e32 v[3:4], 2, v[3:4]
	s_delay_alu instid0(VALU_DEP_1) | instskip(SKIP_1) | instid1(VALU_DEP_2)
	v_add_co_u32 v3, vcc_lo, s16, v3
	s_wait_alu 0xfffd
	v_add_co_ci_u32_e64 v4, null, s17, v4, vcc_lo
	global_store_b64 v[3:4], v[1:2], off
	s_and_saveexec_b32 s7, s5
	s_cbranch_execz .LBB17_65
; %bb.64:
	v_ashrrev_i32_e32 v1, 31, v0
	v_mov_b32_e32 v28, v10
	s_delay_alu instid0(VALU_DEP_2) | instskip(NEXT) | instid1(VALU_DEP_1)
	v_lshlrev_b64_e32 v[0:1], 3, v[0:1]
	v_add_co_u32 v0, vcc_lo, s18, v0
	s_wait_alu 0xfffd
	s_delay_alu instid0(VALU_DEP_2)
	v_add_co_ci_u32_e64 v1, null, s19, v1, vcc_lo
	global_store_b64 v[0:1], v[28:29], off
.LBB17_65:
	s_wait_alu 0xfffe
	s_or_b32 exec_lo, exec_lo, s7
	v_cmp_gt_i32_e32 vcc_lo, s22, v94
	s_and_b32 exec_lo, exec_lo, vcc_lo
	s_cbranch_execz .LBB17_90
; %bb.66:
	v_cmp_ne_u32_e32 vcc_lo, 1, v18
	v_mov_b32_e32 v2, 1.0
	s_cbranch_vccnz .LBB17_68
; %bb.67:
	v_div_scale_f32 v0, null, v42, v42, 1.0
	s_delay_alu instid0(VALU_DEP_1) | instskip(NEXT) | instid1(TRANS32_DEP_1)
	v_rcp_f32_e32 v1, v0
	v_fma_f32 v2, -v0, v1, 1.0
	s_delay_alu instid0(VALU_DEP_1) | instskip(SKIP_1) | instid1(VALU_DEP_1)
	v_fmac_f32_e32 v1, v2, v1
	v_div_scale_f32 v2, vcc_lo, 1.0, v42, 1.0
	v_mul_f32_e32 v3, v2, v1
	s_delay_alu instid0(VALU_DEP_1) | instskip(NEXT) | instid1(VALU_DEP_1)
	v_fma_f32 v4, -v0, v3, v2
	v_fmac_f32_e32 v3, v4, v1
	s_delay_alu instid0(VALU_DEP_1) | instskip(SKIP_1) | instid1(VALU_DEP_1)
	v_fma_f32 v0, -v0, v3, v2
	s_wait_alu 0xfffd
	v_div_fmas_f32 v0, v0, v1, v3
	s_delay_alu instid0(VALU_DEP_1)
	v_div_fixup_f32 v2, v0, v42, 1.0
.LBB17_68:
	v_add_nc_u32_e32 v0, s3, v173
	v_cvt_f32_f16_e64 v5, v144
	v_mov_b32_e32 v4, 0
	s_delay_alu instid0(VALU_DEP_3) | instskip(NEXT) | instid1(VALU_DEP_1)
	v_mad_co_u64_u32 v[0:1], null, v0, s23, s[0:1]
	v_mad_co_u64_u32 v[0:1], null, s1, v0, s[4:5]
	v_lshrrev_b32_e32 v1, 16, v144
	s_delay_alu instid0(VALU_DEP_1) | instskip(NEXT) | instid1(VALU_DEP_3)
	v_cvt_f32_f16_e32 v6, v1
	v_lshl_add_u32 v3, v0, 6, v61
	v_mul_f32_e32 v1, v2, v5
	s_delay_alu instid0(VALU_DEP_3) | instskip(NEXT) | instid1(VALU_DEP_3)
	v_mul_f32_e32 v2, v2, v6
	v_lshlrev_b64_e32 v[3:4], 2, v[3:4]
	s_delay_alu instid0(VALU_DEP_1) | instskip(SKIP_1) | instid1(VALU_DEP_2)
	v_add_co_u32 v3, vcc_lo, s16, v3
	s_wait_alu 0xfffd
	v_add_co_ci_u32_e64 v4, null, s17, v4, vcc_lo
	global_store_b64 v[3:4], v[1:2], off
	s_and_saveexec_b32 s7, s5
	s_cbranch_execz .LBB17_70
; %bb.69:
	v_ashrrev_i32_e32 v1, 31, v0
	v_mov_b32_e32 v41, v11
	s_delay_alu instid0(VALU_DEP_2) | instskip(NEXT) | instid1(VALU_DEP_1)
	v_lshlrev_b64_e32 v[0:1], 3, v[0:1]
	v_add_co_u32 v0, vcc_lo, s18, v0
	s_wait_alu 0xfffd
	s_delay_alu instid0(VALU_DEP_2)
	v_add_co_ci_u32_e64 v1, null, s19, v1, vcc_lo
	global_store_b64 v[0:1], v[41:42], off
.LBB17_70:
	s_wait_alu 0xfffe
	s_or_b32 exec_lo, exec_lo, s7
	v_cmp_gt_i32_e32 vcc_lo, s22, v92
	s_and_b32 exec_lo, exec_lo, vcc_lo
	s_cbranch_execz .LBB17_90
; %bb.71:
	v_cmp_ne_u32_e32 vcc_lo, 1, v18
	v_mov_b32_e32 v2, 1.0
	s_cbranch_vccnz .LBB17_73
; %bb.72:
	v_div_scale_f32 v0, null, v40, v40, 1.0
	s_delay_alu instid0(VALU_DEP_1) | instskip(NEXT) | instid1(TRANS32_DEP_1)
	v_rcp_f32_e32 v1, v0
	v_fma_f32 v2, -v0, v1, 1.0
	s_delay_alu instid0(VALU_DEP_1) | instskip(SKIP_1) | instid1(VALU_DEP_1)
	v_fmac_f32_e32 v1, v2, v1
	v_div_scale_f32 v2, vcc_lo, 1.0, v40, 1.0
	v_mul_f32_e32 v3, v2, v1
	s_delay_alu instid0(VALU_DEP_1) | instskip(NEXT) | instid1(VALU_DEP_1)
	v_fma_f32 v4, -v0, v3, v2
	v_fmac_f32_e32 v3, v4, v1
	s_delay_alu instid0(VALU_DEP_1) | instskip(SKIP_1) | instid1(VALU_DEP_1)
	v_fma_f32 v0, -v0, v3, v2
	s_wait_alu 0xfffd
	v_div_fmas_f32 v0, v0, v1, v3
	s_delay_alu instid0(VALU_DEP_1)
	v_div_fixup_f32 v2, v0, v40, 1.0
.LBB17_73:
	v_cvt_f32_f16_e64 v5, v143
	v_add_nc_u32_e32 v0, s3, v172
	v_mov_b32_e32 v4, 0
	s_delay_alu instid0(VALU_DEP_2) | instskip(NEXT) | instid1(VALU_DEP_1)
	v_mad_co_u64_u32 v[0:1], null, v0, s23, s[2:3]
	v_mad_co_u64_u32 v[0:1], null, s1, v0, s[4:5]
	v_lshrrev_b32_e32 v1, 16, v143
	s_delay_alu instid0(VALU_DEP_1) | instskip(NEXT) | instid1(VALU_DEP_3)
	v_cvt_f32_f16_e32 v6, v1
	v_lshl_add_u32 v3, v0, 6, v61
	v_mul_f32_e32 v1, v2, v5
	s_delay_alu instid0(VALU_DEP_3) | instskip(NEXT) | instid1(VALU_DEP_3)
	v_mul_f32_e32 v2, v2, v6
	v_lshlrev_b64_e32 v[3:4], 2, v[3:4]
	s_delay_alu instid0(VALU_DEP_1) | instskip(SKIP_1) | instid1(VALU_DEP_2)
	v_add_co_u32 v3, vcc_lo, s16, v3
	s_wait_alu 0xfffd
	v_add_co_ci_u32_e64 v4, null, s17, v4, vcc_lo
	global_store_b64 v[3:4], v[1:2], off
	s_and_saveexec_b32 s2, s5
	s_cbranch_execz .LBB17_75
; %bb.74:
	v_ashrrev_i32_e32 v1, 31, v0
	v_mov_b32_e32 v39, v12
	s_delay_alu instid0(VALU_DEP_2) | instskip(NEXT) | instid1(VALU_DEP_1)
	v_lshlrev_b64_e32 v[0:1], 3, v[0:1]
	v_add_co_u32 v0, vcc_lo, s18, v0
	s_wait_alu 0xfffd
	s_delay_alu instid0(VALU_DEP_2)
	v_add_co_ci_u32_e64 v1, null, s19, v1, vcc_lo
	global_store_b64 v[0:1], v[39:40], off
.LBB17_75:
	s_wait_alu 0xfffe
	s_or_b32 exec_lo, exec_lo, s2
	v_cmp_gt_i32_e32 vcc_lo, s22, v255
	s_and_b32 exec_lo, exec_lo, vcc_lo
	s_cbranch_execz .LBB17_90
; %bb.76:
	v_cmp_ne_u32_e32 vcc_lo, 1, v18
	v_mov_b32_e32 v2, 1.0
	s_cbranch_vccnz .LBB17_78
; %bb.77:
	v_div_scale_f32 v0, null, v38, v38, 1.0
	s_delay_alu instid0(VALU_DEP_1) | instskip(NEXT) | instid1(TRANS32_DEP_1)
	v_rcp_f32_e32 v1, v0
	v_fma_f32 v2, -v0, v1, 1.0
	s_delay_alu instid0(VALU_DEP_1) | instskip(SKIP_1) | instid1(VALU_DEP_1)
	v_fmac_f32_e32 v1, v2, v1
	v_div_scale_f32 v2, vcc_lo, 1.0, v38, 1.0
	v_mul_f32_e32 v3, v2, v1
	s_delay_alu instid0(VALU_DEP_1) | instskip(NEXT) | instid1(VALU_DEP_1)
	v_fma_f32 v4, -v0, v3, v2
	v_fmac_f32_e32 v3, v4, v1
	s_delay_alu instid0(VALU_DEP_1) | instskip(SKIP_1) | instid1(VALU_DEP_1)
	v_fma_f32 v0, -v0, v3, v2
	s_wait_alu 0xfffd
	v_div_fmas_f32 v0, v0, v1, v3
	s_delay_alu instid0(VALU_DEP_1)
	v_div_fixup_f32 v2, v0, v38, 1.0
.LBB17_78:
	v_cvt_f32_f16_e64 v5, v142
	v_add_nc_u32_e32 v0, s3, v171
	v_mov_b32_e32 v4, 0
	s_delay_alu instid0(VALU_DEP_2) | instskip(NEXT) | instid1(VALU_DEP_1)
	;; [unrolled: 60-line block ×3, first 2 shown]
	v_mad_co_u64_u32 v[0:1], null, v0, s23, s[6:7]
	v_mad_co_u64_u32 v[0:1], null, s1, v0, s[4:5]
	v_lshrrev_b32_e32 v1, 16, v141
	s_delay_alu instid0(VALU_DEP_1) | instskip(NEXT) | instid1(VALU_DEP_3)
	v_cvt_f32_f16_e32 v6, v1
	v_lshl_add_u32 v3, v0, 6, v61
	v_mul_f32_e32 v1, v2, v5
	s_delay_alu instid0(VALU_DEP_3) | instskip(NEXT) | instid1(VALU_DEP_3)
	v_mul_f32_e32 v2, v2, v6
	v_lshlrev_b64_e32 v[3:4], 2, v[3:4]
	s_delay_alu instid0(VALU_DEP_1) | instskip(SKIP_1) | instid1(VALU_DEP_2)
	v_add_co_u32 v3, vcc_lo, s16, v3
	s_wait_alu 0xfffd
	v_add_co_ci_u32_e64 v4, null, s17, v4, vcc_lo
	global_store_b64 v[3:4], v[1:2], off
	s_and_saveexec_b32 s2, s5
	s_cbranch_execz .LBB17_85
; %bb.84:
	v_ashrrev_i32_e32 v1, 31, v0
	v_mov_b32_e32 v35, v14
	s_delay_alu instid0(VALU_DEP_2) | instskip(NEXT) | instid1(VALU_DEP_1)
	v_lshlrev_b64_e32 v[0:1], 3, v[0:1]
	v_add_co_u32 v0, vcc_lo, s18, v0
	s_wait_alu 0xfffd
	s_delay_alu instid0(VALU_DEP_2)
	v_add_co_ci_u32_e64 v1, null, s19, v1, vcc_lo
	global_store_b64 v[0:1], v[35:36], off
.LBB17_85:
	s_wait_alu 0xfffe
	s_or_b32 exec_lo, exec_lo, s2
	v_cmp_gt_i32_e32 vcc_lo, s22, v254
	s_and_b32 exec_lo, exec_lo, vcc_lo
	s_cbranch_execz .LBB17_90
; %bb.86:
	v_cmp_ne_u32_e32 vcc_lo, 1, v18
	v_mov_b32_e32 v2, 1.0
	s_cbranch_vccnz .LBB17_88
; %bb.87:
	v_div_scale_f32 v0, null, v34, v34, 1.0
	s_delay_alu instid0(VALU_DEP_1) | instskip(NEXT) | instid1(TRANS32_DEP_1)
	v_rcp_f32_e32 v1, v0
	v_fma_f32 v2, -v0, v1, 1.0
	s_delay_alu instid0(VALU_DEP_1) | instskip(SKIP_1) | instid1(VALU_DEP_1)
	v_fmac_f32_e32 v1, v2, v1
	v_div_scale_f32 v2, vcc_lo, 1.0, v34, 1.0
	v_mul_f32_e32 v3, v2, v1
	s_delay_alu instid0(VALU_DEP_1) | instskip(NEXT) | instid1(VALU_DEP_1)
	v_fma_f32 v4, -v0, v3, v2
	v_fmac_f32_e32 v3, v4, v1
	s_delay_alu instid0(VALU_DEP_1) | instskip(SKIP_1) | instid1(VALU_DEP_1)
	v_fma_f32 v0, -v0, v3, v2
	s_wait_alu 0xfffd
	v_div_fmas_f32 v0, v0, v1, v3
	s_delay_alu instid0(VALU_DEP_1)
	v_div_fixup_f32 v2, v0, v34, 1.0
.LBB17_88:
	v_add_nc_u32_e32 v0, s3, v169
	v_cvt_f32_f16_e64 v5, v140
	v_mov_b32_e32 v4, 0
	s_delay_alu instid0(VALU_DEP_3) | instskip(NEXT) | instid1(VALU_DEP_1)
	v_mad_co_u64_u32 v[0:1], null, v0, s23, s[0:1]
	v_mad_co_u64_u32 v[0:1], null, s1, v0, s[4:5]
	v_lshrrev_b32_e32 v1, 16, v140
	s_delay_alu instid0(VALU_DEP_1) | instskip(NEXT) | instid1(VALU_DEP_3)
	v_cvt_f32_f16_e32 v6, v1
	v_lshl_add_u32 v3, v0, 6, v61
	v_mul_f32_e32 v1, v2, v5
	s_delay_alu instid0(VALU_DEP_3) | instskip(NEXT) | instid1(VALU_DEP_3)
	v_mul_f32_e32 v2, v2, v6
	v_lshlrev_b64_e32 v[3:4], 2, v[3:4]
	s_delay_alu instid0(VALU_DEP_1) | instskip(SKIP_1) | instid1(VALU_DEP_2)
	v_add_co_u32 v3, vcc_lo, s16, v3
	s_wait_alu 0xfffd
	v_add_co_ci_u32_e64 v4, null, s17, v4, vcc_lo
	global_store_b64 v[3:4], v[1:2], off
	s_and_b32 exec_lo, exec_lo, s5
	s_cbranch_execz .LBB17_90
; %bb.89:
	v_ashrrev_i32_e32 v1, 31, v0
	v_mov_b32_e32 v33, v15
	s_delay_alu instid0(VALU_DEP_2) | instskip(NEXT) | instid1(VALU_DEP_1)
	v_lshlrev_b64_e32 v[0:1], 3, v[0:1]
	v_add_co_u32 v0, vcc_lo, s18, v0
	s_wait_alu 0xfffd
	s_delay_alu instid0(VALU_DEP_2)
	v_add_co_ci_u32_e64 v1, null, s19, v1, vcc_lo
	global_store_b64 v[0:1], v[33:34], off
.LBB17_90:
	s_nop 0
	s_sendmsg sendmsg(MSG_DEALLOC_VGPRS)
	s_endpgm
	.section	.rodata,"a",@progbits
	.p2align	6, 0x0
	.amdhsa_kernel _ZL15flash_attn_tileILi64ELi64ELi16ELi4ELb0EEvPKcS1_S1_S1_S1_PKiPfP15HIP_vector_typeIfLj2EEffffjfiS5_IjLj3EEiiiiiiiiiiiliiliiiiil
		.amdhsa_group_segment_fixed_size 25600
		.amdhsa_private_segment_fixed_size 40
		.amdhsa_kernarg_size 464
		.amdhsa_user_sgpr_count 2
		.amdhsa_user_sgpr_dispatch_ptr 0
		.amdhsa_user_sgpr_queue_ptr 0
		.amdhsa_user_sgpr_kernarg_segment_ptr 1
		.amdhsa_user_sgpr_dispatch_id 0
		.amdhsa_user_sgpr_private_segment_size 0
		.amdhsa_wavefront_size32 1
		.amdhsa_uses_dynamic_stack 0
		.amdhsa_enable_private_segment 1
		.amdhsa_system_sgpr_workgroup_id_x 1
		.amdhsa_system_sgpr_workgroup_id_y 1
		.amdhsa_system_sgpr_workgroup_id_z 1
		.amdhsa_system_sgpr_workgroup_info 0
		.amdhsa_system_vgpr_workitem_id 1
		.amdhsa_next_free_vgpr 256
		.amdhsa_next_free_sgpr 48
		.amdhsa_reserve_vcc 1
		.amdhsa_float_round_mode_32 0
		.amdhsa_float_round_mode_16_64 0
		.amdhsa_float_denorm_mode_32 3
		.amdhsa_float_denorm_mode_16_64 3
		.amdhsa_fp16_overflow 0
		.amdhsa_workgroup_processor_mode 1
		.amdhsa_memory_ordered 1
		.amdhsa_forward_progress 1
		.amdhsa_inst_pref_size 255
		.amdhsa_round_robin_scheduling 0
		.amdhsa_exception_fp_ieee_invalid_op 0
		.amdhsa_exception_fp_denorm_src 0
		.amdhsa_exception_fp_ieee_div_zero 0
		.amdhsa_exception_fp_ieee_overflow 0
		.amdhsa_exception_fp_ieee_underflow 0
		.amdhsa_exception_fp_ieee_inexact 0
		.amdhsa_exception_int_div_zero 0
	.end_amdhsa_kernel
	.section	.text._ZL15flash_attn_tileILi64ELi64ELi16ELi4ELb0EEvPKcS1_S1_S1_S1_PKiPfP15HIP_vector_typeIfLj2EEffffjfiS5_IjLj3EEiiiiiiiiiiiliiliiiiil,"axG",@progbits,_ZL15flash_attn_tileILi64ELi64ELi16ELi4ELb0EEvPKcS1_S1_S1_S1_PKiPfP15HIP_vector_typeIfLj2EEffffjfiS5_IjLj3EEiiiiiiiiiiiliiliiiiil,comdat
.Lfunc_end17:
	.size	_ZL15flash_attn_tileILi64ELi64ELi16ELi4ELb0EEvPKcS1_S1_S1_S1_PKiPfP15HIP_vector_typeIfLj2EEffffjfiS5_IjLj3EEiiiiiiiiiiiliiliiiiil, .Lfunc_end17-_ZL15flash_attn_tileILi64ELi64ELi16ELi4ELb0EEvPKcS1_S1_S1_S1_PKiPfP15HIP_vector_typeIfLj2EEffffjfiS5_IjLj3EEiiiiiiiiiiiliiliiiiil
                                        ; -- End function
	.set _ZL15flash_attn_tileILi64ELi64ELi16ELi4ELb0EEvPKcS1_S1_S1_S1_PKiPfP15HIP_vector_typeIfLj2EEffffjfiS5_IjLj3EEiiiiiiiiiiiliiliiiiil.num_vgpr, 256
	.set _ZL15flash_attn_tileILi64ELi64ELi16ELi4ELb0EEvPKcS1_S1_S1_S1_PKiPfP15HIP_vector_typeIfLj2EEffffjfiS5_IjLj3EEiiiiiiiiiiiliiliiiiil.num_agpr, 0
	.set _ZL15flash_attn_tileILi64ELi64ELi16ELi4ELb0EEvPKcS1_S1_S1_S1_PKiPfP15HIP_vector_typeIfLj2EEffffjfiS5_IjLj3EEiiiiiiiiiiiliiliiiiil.numbered_sgpr, 48
	.set _ZL15flash_attn_tileILi64ELi64ELi16ELi4ELb0EEvPKcS1_S1_S1_S1_PKiPfP15HIP_vector_typeIfLj2EEffffjfiS5_IjLj3EEiiiiiiiiiiiliiliiiiil.num_named_barrier, 0
	.set _ZL15flash_attn_tileILi64ELi64ELi16ELi4ELb0EEvPKcS1_S1_S1_S1_PKiPfP15HIP_vector_typeIfLj2EEffffjfiS5_IjLj3EEiiiiiiiiiiiliiliiiiil.private_seg_size, 40
	.set _ZL15flash_attn_tileILi64ELi64ELi16ELi4ELb0EEvPKcS1_S1_S1_S1_PKiPfP15HIP_vector_typeIfLj2EEffffjfiS5_IjLj3EEiiiiiiiiiiiliiliiiiil.uses_vcc, 1
	.set _ZL15flash_attn_tileILi64ELi64ELi16ELi4ELb0EEvPKcS1_S1_S1_S1_PKiPfP15HIP_vector_typeIfLj2EEffffjfiS5_IjLj3EEiiiiiiiiiiiliiliiiiil.uses_flat_scratch, 1
	.set _ZL15flash_attn_tileILi64ELi64ELi16ELi4ELb0EEvPKcS1_S1_S1_S1_PKiPfP15HIP_vector_typeIfLj2EEffffjfiS5_IjLj3EEiiiiiiiiiiiliiliiiiil.has_dyn_sized_stack, 0
	.set _ZL15flash_attn_tileILi64ELi64ELi16ELi4ELb0EEvPKcS1_S1_S1_S1_PKiPfP15HIP_vector_typeIfLj2EEffffjfiS5_IjLj3EEiiiiiiiiiiiliiliiiiil.has_recursion, 0
	.set _ZL15flash_attn_tileILi64ELi64ELi16ELi4ELb0EEvPKcS1_S1_S1_S1_PKiPfP15HIP_vector_typeIfLj2EEffffjfiS5_IjLj3EEiiiiiiiiiiiliiliiiiil.has_indirect_call, 0
	.section	.AMDGPU.csdata,"",@progbits
; Kernel info:
; codeLenInByte = 51408
; TotalNumSgprs: 50
; NumVgprs: 256
; ScratchSize: 40
; MemoryBound: 0
; FloatMode: 240
; IeeeMode: 1
; LDSByteSize: 25600 bytes/workgroup (compile time only)
; SGPRBlocks: 0
; VGPRBlocks: 31
; NumSGPRsForWavesPerEU: 50
; NumVGPRsForWavesPerEU: 256
; Occupancy: 5
; WaveLimiterHint : 0
; COMPUTE_PGM_RSRC2:SCRATCH_EN: 1
; COMPUTE_PGM_RSRC2:USER_SGPR: 2
; COMPUTE_PGM_RSRC2:TRAP_HANDLER: 0
; COMPUTE_PGM_RSRC2:TGID_X_EN: 1
; COMPUTE_PGM_RSRC2:TGID_Y_EN: 1
; COMPUTE_PGM_RSRC2:TGID_Z_EN: 1
; COMPUTE_PGM_RSRC2:TIDIG_COMP_CNT: 1
	.section	.text._ZL25flash_attn_mask_to_KV_maxILi16EEvPK7__half2Piiii,"axG",@progbits,_ZL25flash_attn_mask_to_KV_maxILi16EEvPK7__half2Piiii,comdat
	.globl	_ZL25flash_attn_mask_to_KV_maxILi16EEvPK7__half2Piiii ; -- Begin function _ZL25flash_attn_mask_to_KV_maxILi16EEvPK7__half2Piiii
	.p2align	8
	.type	_ZL25flash_attn_mask_to_KV_maxILi16EEvPK7__half2Piiii,@function
_ZL25flash_attn_mask_to_KV_maxILi16EEvPK7__half2Piiii: ; @_ZL25flash_attn_mask_to_KV_maxILi16EEvPK7__half2Piiii
; %bb.0:
	s_load_b64 s[8:9], s[0:1], 0x0
	s_mov_b32 s2, exec_lo
	v_cmpx_gt_u32_e32 32, v0
; %bb.1:
	v_dual_mov_b32 v2, 1 :: v_dual_lshlrev_b32 v1, 2, v0
	ds_store_b32 v1, v2
; %bb.2:
	s_or_b32 exec_lo, exec_lo, s2
	s_clause 0x2
	s_load_b96 s[4:6], s[0:1], 0x10
	s_load_b64 s[2:3], s[0:1], 0x8
	s_load_b32 s1, s[0:1], 0x20
	v_dual_mov_b32 v2, 0 :: v_dual_and_b32 v1, 31, v0
	v_lshrrev_b32_e32 v5, 3, v0
	s_wait_dscnt 0x0
	s_barrier_signal -1
	s_delay_alu instid0(VALU_DEP_2)
	v_lshlrev_b32_e32 v6, 2, v1
	s_barrier_wait -1
	global_inv scope:SCOPE_SE
	s_wait_kmcnt 0x0
	s_mul_i32 s0, ttmp9, s5
	s_mul_i32 s6, s6, ttmp7
	s_lshl_b32 s0, s0, 4
	s_delay_alu instid0(SALU_CYCLE_1) | instskip(SKIP_2) | instid1(SALU_CYCLE_1)
	s_add_co_i32 s6, s6, s0
	v_cmp_eq_u32_e64 s0, 0, v1
	s_ashr_i32 s7, s6, 31
	s_lshl_b64 s[6:7], s[6:7], 2
	s_delay_alu instid0(SALU_CYCLE_1)
	s_add_nc_u64 s[6:7], s[8:9], s[6:7]
	s_lshl_b32 s8, s4, 8
	s_branch .LBB18_4
.LBB18_3:                               ;   in Loop: Header=BB18_4 Depth=1
	s_wait_alu 0xfffe
	s_or_b32 exec_lo, exec_lo, s9
	s_wait_dscnt 0x0
	s_barrier_signal -1
	s_barrier_wait -1
	global_inv scope:SCOPE_SE
	ds_load_b32 v1, v6
	s_wait_loadcnt_dscnt 0x0
	s_barrier_signal -1
	s_barrier_wait -1
	global_inv scope:SCOPE_SE
	v_cmp_ne_u32_e32 vcc_lo, 0, v1
	s_cmp_lg_u32 vcc_lo, exec_lo
	s_cselect_b32 s9, -1, 0
	s_wait_alu 0xfffe
	s_and_b32 vcc_lo, exec_lo, s9
	s_wait_alu 0xfffe
	s_cbranch_vccnz .LBB18_68
.LBB18_4:                               ; =>This Inner Loop Header: Depth=1
	s_mov_b32 s4, s8
	s_addk_co_i32 s8, 0xff00
	s_wait_alu 0xfffe
	s_cmp_lt_i32 s8, 0
	s_cbranch_scc1 .LBB18_67
; %bb.5:                                ;   in Loop: Header=BB18_4 Depth=1
	s_lshr_b32 s9, s8, 1
	s_wait_alu 0xfffe
	v_add_nc_u32_e32 v1, s9, v0
	s_delay_alu instid0(VALU_DEP_1) | instskip(NEXT) | instid1(VALU_DEP_1)
	v_lshlrev_b64_e32 v[3:4], 2, v[1:2]
	v_add_co_u32 v3, vcc_lo, s6, v3
	s_wait_alu 0xfffd
	s_delay_alu instid0(VALU_DEP_2) | instskip(SKIP_4) | instid1(VALU_DEP_2)
	v_add_co_ci_u32_e64 v4, null, s7, v4, vcc_lo
	global_load_b32 v3, v[3:4], off
	s_wait_loadcnt 0x0
	v_lshrrev_b32_e32 v4, 16, v3
	v_cmp_class_f16_e64 s9, v3, 0x204
	v_cmp_class_f16_e64 s10, v4, 0x204
	s_and_b32 s11, s9, s10
	s_mov_b32 s10, 0
	s_wait_alu 0xfffe
	s_and_saveexec_b32 s9, s11
	s_cbranch_execz .LBB18_65
; %bb.6:                                ;   in Loop: Header=BB18_4 Depth=1
	v_add_nc_u32_e32 v3, s5, v1
	s_mov_b32 s11, 0
	s_delay_alu instid0(VALU_DEP_1) | instskip(NEXT) | instid1(VALU_DEP_1)
	v_ashrrev_i32_e32 v4, 31, v3
	v_lshlrev_b64_e32 v[7:8], 2, v[3:4]
	s_delay_alu instid0(VALU_DEP_1) | instskip(SKIP_1) | instid1(VALU_DEP_2)
	v_add_co_u32 v7, vcc_lo, s6, v7
	s_wait_alu 0xfffd
	v_add_co_ci_u32_e64 v8, null, s7, v8, vcc_lo
	global_load_b32 v1, v[7:8], off
	s_wait_loadcnt 0x0
	v_cmp_class_f16_e64 s12, v1, 0x204
	s_and_saveexec_b32 s10, s12
	s_cbranch_execz .LBB18_64
; %bb.7:                                ;   in Loop: Header=BB18_4 Depth=1
	v_lshrrev_b32_e32 v1, 16, v1
	s_mov_b32 s12, 0
	s_delay_alu instid0(VALU_DEP_1)
	v_cmp_class_f16_e64 s13, v1, 0x204
	s_and_saveexec_b32 s11, s13
	s_cbranch_execz .LBB18_63
; %bb.8:                                ;   in Loop: Header=BB18_4 Depth=1
	v_add_nc_u32_e32 v3, s5, v3
	s_mov_b32 s13, 0
	s_delay_alu instid0(VALU_DEP_1) | instskip(NEXT) | instid1(VALU_DEP_1)
	v_ashrrev_i32_e32 v4, 31, v3
	v_lshlrev_b64_e32 v[7:8], 2, v[3:4]
	s_delay_alu instid0(VALU_DEP_1) | instskip(SKIP_1) | instid1(VALU_DEP_2)
	v_add_co_u32 v7, vcc_lo, s6, v7
	s_wait_alu 0xfffd
	v_add_co_ci_u32_e64 v8, null, s7, v8, vcc_lo
	global_load_b32 v1, v[7:8], off
	s_wait_loadcnt 0x0
	v_cmp_class_f16_e64 s14, v1, 0x204
	s_and_saveexec_b32 s12, s14
	s_cbranch_execz .LBB18_62
; %bb.9:                                ;   in Loop: Header=BB18_4 Depth=1
	v_lshrrev_b32_e32 v1, 16, v1
	s_mov_b32 s14, 0
	s_delay_alu instid0(VALU_DEP_1)
	v_cmp_class_f16_e64 s15, v1, 0x204
	s_and_saveexec_b32 s13, s15
	s_cbranch_execz .LBB18_61
; %bb.10:                               ;   in Loop: Header=BB18_4 Depth=1
	v_add_nc_u32_e32 v3, s5, v3
	s_mov_b32 s15, 0
	s_delay_alu instid0(VALU_DEP_1) | instskip(NEXT) | instid1(VALU_DEP_1)
	v_ashrrev_i32_e32 v4, 31, v3
	v_lshlrev_b64_e32 v[7:8], 2, v[3:4]
	s_delay_alu instid0(VALU_DEP_1) | instskip(SKIP_1) | instid1(VALU_DEP_2)
	v_add_co_u32 v7, vcc_lo, s6, v7
	s_wait_alu 0xfffd
	v_add_co_ci_u32_e64 v8, null, s7, v8, vcc_lo
	global_load_b32 v1, v[7:8], off
	s_wait_loadcnt 0x0
	v_cmp_class_f16_e64 s16, v1, 0x204
	s_and_saveexec_b32 s14, s16
	s_cbranch_execz .LBB18_60
; %bb.11:                               ;   in Loop: Header=BB18_4 Depth=1
	v_lshrrev_b32_e32 v1, 16, v1
	s_mov_b32 s16, 0
	s_delay_alu instid0(VALU_DEP_1)
	v_cmp_class_f16_e64 s17, v1, 0x204
	s_and_saveexec_b32 s15, s17
	s_cbranch_execz .LBB18_59
; %bb.12:                               ;   in Loop: Header=BB18_4 Depth=1
	v_add_nc_u32_e32 v3, s5, v3
	s_mov_b32 s17, 0
	s_delay_alu instid0(VALU_DEP_1) | instskip(NEXT) | instid1(VALU_DEP_1)
	v_ashrrev_i32_e32 v4, 31, v3
	v_lshlrev_b64_e32 v[7:8], 2, v[3:4]
	s_delay_alu instid0(VALU_DEP_1) | instskip(SKIP_1) | instid1(VALU_DEP_2)
	v_add_co_u32 v7, vcc_lo, s6, v7
	s_wait_alu 0xfffd
	v_add_co_ci_u32_e64 v8, null, s7, v8, vcc_lo
	global_load_b32 v1, v[7:8], off
	s_wait_loadcnt 0x0
	v_cmp_class_f16_e64 s18, v1, 0x204
	s_and_saveexec_b32 s16, s18
	s_cbranch_execz .LBB18_58
; %bb.13:                               ;   in Loop: Header=BB18_4 Depth=1
	;; [unrolled: 22-line block ×12, first 2 shown]
	v_lshrrev_b32_e32 v1, 16, v1
	s_mov_b32 s39, 0
	s_delay_alu instid0(VALU_DEP_1)
	v_cmp_class_f16_e64 s40, v1, 0x204
	s_and_saveexec_b32 s38, s40
	s_cbranch_execz .LBB18_37
; %bb.34:                               ;   in Loop: Header=BB18_4 Depth=1
	v_add_nc_u32_e32 v3, s5, v3
	s_delay_alu instid0(VALU_DEP_1) | instskip(NEXT) | instid1(VALU_DEP_1)
	v_ashrrev_i32_e32 v4, 31, v3
	v_lshlrev_b64_e32 v[3:4], 2, v[3:4]
	s_delay_alu instid0(VALU_DEP_1) | instskip(SKIP_1) | instid1(VALU_DEP_2)
	v_add_co_u32 v3, vcc_lo, s6, v3
	s_wait_alu 0xfffd
	v_add_co_ci_u32_e64 v4, null, s7, v4, vcc_lo
	global_load_b32 v1, v[3:4], off
	s_wait_loadcnt 0x0
	v_cmp_class_f16_e64 s41, v1, 0x204
	s_and_saveexec_b32 s40, s41
; %bb.35:                               ;   in Loop: Header=BB18_4 Depth=1
	v_lshrrev_b32_e32 v1, 16, v1
	s_delay_alu instid0(VALU_DEP_1)
	v_cmp_class_f16_e64 s39, v1, 0x204
	s_and_b32 s39, s39, exec_lo
; %bb.36:                               ;   in Loop: Header=BB18_4 Depth=1
	s_or_b32 exec_lo, exec_lo, s40
	s_delay_alu instid0(SALU_CYCLE_1)
	s_and_b32 s39, s39, exec_lo
.LBB18_37:                              ;   in Loop: Header=BB18_4 Depth=1
	s_or_b32 exec_lo, exec_lo, s38
	s_delay_alu instid0(SALU_CYCLE_1)
	s_and_b32 s38, s39, exec_lo
.LBB18_38:                              ;   in Loop: Header=BB18_4 Depth=1
	s_or_b32 exec_lo, exec_lo, s37
	s_delay_alu instid0(SALU_CYCLE_1)
	s_and_b32 s37, s38, exec_lo
.LBB18_39:                              ;   in Loop: Header=BB18_4 Depth=1
	s_or_b32 exec_lo, exec_lo, s36
	s_delay_alu instid0(SALU_CYCLE_1)
	s_and_b32 s36, s37, exec_lo
.LBB18_40:                              ;   in Loop: Header=BB18_4 Depth=1
	s_or_b32 exec_lo, exec_lo, s35
	s_delay_alu instid0(SALU_CYCLE_1)
	s_and_b32 s35, s36, exec_lo
.LBB18_41:                              ;   in Loop: Header=BB18_4 Depth=1
	s_or_b32 exec_lo, exec_lo, s34
	s_delay_alu instid0(SALU_CYCLE_1)
	s_and_b32 s34, s35, exec_lo
.LBB18_42:                              ;   in Loop: Header=BB18_4 Depth=1
	s_or_b32 exec_lo, exec_lo, s33
	s_delay_alu instid0(SALU_CYCLE_1)
	s_and_b32 s33, s34, exec_lo
.LBB18_43:                              ;   in Loop: Header=BB18_4 Depth=1
	s_or_b32 exec_lo, exec_lo, s31
	s_delay_alu instid0(SALU_CYCLE_1)
	s_and_b32 s31, s33, exec_lo
.LBB18_44:                              ;   in Loop: Header=BB18_4 Depth=1
	s_or_b32 exec_lo, exec_lo, s30
	s_delay_alu instid0(SALU_CYCLE_1)
	s_and_b32 s30, s31, exec_lo
.LBB18_45:                              ;   in Loop: Header=BB18_4 Depth=1
	s_or_b32 exec_lo, exec_lo, s29
	s_delay_alu instid0(SALU_CYCLE_1)
	s_and_b32 s29, s30, exec_lo
.LBB18_46:                              ;   in Loop: Header=BB18_4 Depth=1
	s_or_b32 exec_lo, exec_lo, s28
	s_delay_alu instid0(SALU_CYCLE_1)
	s_and_b32 s28, s29, exec_lo
.LBB18_47:                              ;   in Loop: Header=BB18_4 Depth=1
	s_or_b32 exec_lo, exec_lo, s27
	s_delay_alu instid0(SALU_CYCLE_1)
	s_and_b32 s27, s28, exec_lo
.LBB18_48:                              ;   in Loop: Header=BB18_4 Depth=1
	s_or_b32 exec_lo, exec_lo, s26
	s_delay_alu instid0(SALU_CYCLE_1)
	s_and_b32 s26, s27, exec_lo
.LBB18_49:                              ;   in Loop: Header=BB18_4 Depth=1
	s_or_b32 exec_lo, exec_lo, s25
	s_delay_alu instid0(SALU_CYCLE_1)
	s_and_b32 s25, s26, exec_lo
.LBB18_50:                              ;   in Loop: Header=BB18_4 Depth=1
	s_or_b32 exec_lo, exec_lo, s24
	s_delay_alu instid0(SALU_CYCLE_1)
	s_and_b32 s24, s25, exec_lo
.LBB18_51:                              ;   in Loop: Header=BB18_4 Depth=1
	s_or_b32 exec_lo, exec_lo, s23
	s_delay_alu instid0(SALU_CYCLE_1)
	s_and_b32 s23, s24, exec_lo
.LBB18_52:                              ;   in Loop: Header=BB18_4 Depth=1
	s_or_b32 exec_lo, exec_lo, s22
	s_delay_alu instid0(SALU_CYCLE_1)
	s_and_b32 s22, s23, exec_lo
.LBB18_53:                              ;   in Loop: Header=BB18_4 Depth=1
	s_or_b32 exec_lo, exec_lo, s21
	s_delay_alu instid0(SALU_CYCLE_1)
	s_and_b32 s21, s22, exec_lo
.LBB18_54:                              ;   in Loop: Header=BB18_4 Depth=1
	s_or_b32 exec_lo, exec_lo, s20
	s_delay_alu instid0(SALU_CYCLE_1)
	s_and_b32 s20, s21, exec_lo
.LBB18_55:                              ;   in Loop: Header=BB18_4 Depth=1
	s_or_b32 exec_lo, exec_lo, s19
	s_delay_alu instid0(SALU_CYCLE_1)
	s_and_b32 s19, s20, exec_lo
.LBB18_56:                              ;   in Loop: Header=BB18_4 Depth=1
	s_or_b32 exec_lo, exec_lo, s18
	s_delay_alu instid0(SALU_CYCLE_1)
	s_and_b32 s18, s19, exec_lo
.LBB18_57:                              ;   in Loop: Header=BB18_4 Depth=1
	s_or_b32 exec_lo, exec_lo, s17
	s_delay_alu instid0(SALU_CYCLE_1)
	s_and_b32 s17, s18, exec_lo
.LBB18_58:                              ;   in Loop: Header=BB18_4 Depth=1
	s_or_b32 exec_lo, exec_lo, s16
	s_delay_alu instid0(SALU_CYCLE_1)
	s_and_b32 s16, s17, exec_lo
.LBB18_59:                              ;   in Loop: Header=BB18_4 Depth=1
	s_or_b32 exec_lo, exec_lo, s15
	s_delay_alu instid0(SALU_CYCLE_1)
	s_and_b32 s15, s16, exec_lo
.LBB18_60:                              ;   in Loop: Header=BB18_4 Depth=1
	s_or_b32 exec_lo, exec_lo, s14
	s_delay_alu instid0(SALU_CYCLE_1)
	s_and_b32 s14, s15, exec_lo
.LBB18_61:                              ;   in Loop: Header=BB18_4 Depth=1
	s_or_b32 exec_lo, exec_lo, s13
	s_delay_alu instid0(SALU_CYCLE_1)
	s_and_b32 s13, s14, exec_lo
.LBB18_62:                              ;   in Loop: Header=BB18_4 Depth=1
	s_or_b32 exec_lo, exec_lo, s12
	s_delay_alu instid0(SALU_CYCLE_1)
	s_and_b32 s12, s13, exec_lo
.LBB18_63:                              ;   in Loop: Header=BB18_4 Depth=1
	s_wait_alu 0xfffe
	s_or_b32 exec_lo, exec_lo, s11
	s_delay_alu instid0(SALU_CYCLE_1)
	s_and_b32 s11, s12, exec_lo
.LBB18_64:                              ;   in Loop: Header=BB18_4 Depth=1
	s_wait_alu 0xfffe
	s_or_b32 exec_lo, exec_lo, s10
	s_delay_alu instid0(SALU_CYCLE_1)
	s_and_b32 s10, s11, exec_lo
.LBB18_65:                              ;   in Loop: Header=BB18_4 Depth=1
	s_wait_alu 0xfffe
	s_or_b32 exec_lo, exec_lo, s9
	v_cndmask_b32_e64 v1, 0, 1, s10
	s_mov_b32 s11, exec_lo
	s_delay_alu instid0(VALU_DEP_1)
	v_cmp_ne_u32_e32 vcc_lo, 0, v1
	s_and_saveexec_b32 s9, s0
	s_cbranch_execz .LBB18_3
; %bb.66:                               ;   in Loop: Header=BB18_4 Depth=1
	s_wait_alu 0xfffe
	s_cmp_eq_u32 vcc_lo, s11
	s_cselect_b32 s10, -1, 0
	s_wait_alu 0xfffe
	v_cndmask_b32_e64 v1, 0, 1, s10
	ds_store_b32 v5, v1
	s_branch .LBB18_3
.LBB18_67:                              ;   in Loop: Header=BB18_4 Depth=1
	s_cbranch_execz .LBB18_4
.LBB18_68:
	s_mov_b32 s0, exec_lo
	v_cmpx_eq_u32_e32 0, v0
	s_cbranch_execz .LBB18_70
; %bb.69:
	s_mul_i32 s0, s1, ttmp7
	v_dual_mov_b32 v0, 0 :: v_dual_mov_b32 v1, s4
	s_add_co_i32 s0, s0, ttmp9
	s_delay_alu instid0(SALU_CYCLE_1) | instskip(NEXT) | instid1(SALU_CYCLE_1)
	s_ashr_i32 s1, s0, 31
	s_lshl_b64 s[0:1], s[0:1], 2
	s_delay_alu instid0(SALU_CYCLE_1)
	s_add_nc_u64 s[0:1], s[2:3], s[0:1]
	global_store_b32 v0, v1, s[0:1]
.LBB18_70:
	s_endpgm
	.section	.rodata,"a",@progbits
	.p2align	6, 0x0
	.amdhsa_kernel _ZL25flash_attn_mask_to_KV_maxILi16EEvPK7__half2Piiii
		.amdhsa_group_segment_fixed_size 128
		.amdhsa_private_segment_fixed_size 0
		.amdhsa_kernarg_size 288
		.amdhsa_user_sgpr_count 2
		.amdhsa_user_sgpr_dispatch_ptr 0
		.amdhsa_user_sgpr_queue_ptr 0
		.amdhsa_user_sgpr_kernarg_segment_ptr 1
		.amdhsa_user_sgpr_dispatch_id 0
		.amdhsa_user_sgpr_private_segment_size 0
		.amdhsa_wavefront_size32 1
		.amdhsa_uses_dynamic_stack 0
		.amdhsa_enable_private_segment 0
		.amdhsa_system_sgpr_workgroup_id_x 1
		.amdhsa_system_sgpr_workgroup_id_y 1
		.amdhsa_system_sgpr_workgroup_id_z 0
		.amdhsa_system_sgpr_workgroup_info 0
		.amdhsa_system_vgpr_workitem_id 0
		.amdhsa_next_free_vgpr 9
		.amdhsa_next_free_sgpr 42
		.amdhsa_reserve_vcc 1
		.amdhsa_float_round_mode_32 0
		.amdhsa_float_round_mode_16_64 0
		.amdhsa_float_denorm_mode_32 3
		.amdhsa_float_denorm_mode_16_64 3
		.amdhsa_fp16_overflow 0
		.amdhsa_workgroup_processor_mode 1
		.amdhsa_memory_ordered 1
		.amdhsa_forward_progress 1
		.amdhsa_inst_pref_size 20
		.amdhsa_round_robin_scheduling 0
		.amdhsa_exception_fp_ieee_invalid_op 0
		.amdhsa_exception_fp_denorm_src 0
		.amdhsa_exception_fp_ieee_div_zero 0
		.amdhsa_exception_fp_ieee_overflow 0
		.amdhsa_exception_fp_ieee_underflow 0
		.amdhsa_exception_fp_ieee_inexact 0
		.amdhsa_exception_int_div_zero 0
	.end_amdhsa_kernel
	.section	.text._ZL25flash_attn_mask_to_KV_maxILi16EEvPK7__half2Piiii,"axG",@progbits,_ZL25flash_attn_mask_to_KV_maxILi16EEvPK7__half2Piiii,comdat
.Lfunc_end18:
	.size	_ZL25flash_attn_mask_to_KV_maxILi16EEvPK7__half2Piiii, .Lfunc_end18-_ZL25flash_attn_mask_to_KV_maxILi16EEvPK7__half2Piiii
                                        ; -- End function
	.set _ZL25flash_attn_mask_to_KV_maxILi16EEvPK7__half2Piiii.num_vgpr, 9
	.set _ZL25flash_attn_mask_to_KV_maxILi16EEvPK7__half2Piiii.num_agpr, 0
	.set _ZL25flash_attn_mask_to_KV_maxILi16EEvPK7__half2Piiii.numbered_sgpr, 42
	.set _ZL25flash_attn_mask_to_KV_maxILi16EEvPK7__half2Piiii.num_named_barrier, 0
	.set _ZL25flash_attn_mask_to_KV_maxILi16EEvPK7__half2Piiii.private_seg_size, 0
	.set _ZL25flash_attn_mask_to_KV_maxILi16EEvPK7__half2Piiii.uses_vcc, 1
	.set _ZL25flash_attn_mask_to_KV_maxILi16EEvPK7__half2Piiii.uses_flat_scratch, 0
	.set _ZL25flash_attn_mask_to_KV_maxILi16EEvPK7__half2Piiii.has_dyn_sized_stack, 0
	.set _ZL25flash_attn_mask_to_KV_maxILi16EEvPK7__half2Piiii.has_recursion, 0
	.set _ZL25flash_attn_mask_to_KV_maxILi16EEvPK7__half2Piiii.has_indirect_call, 0
	.section	.AMDGPU.csdata,"",@progbits
; Kernel info:
; codeLenInByte = 2544
; TotalNumSgprs: 44
; NumVgprs: 9
; ScratchSize: 0
; MemoryBound: 0
; FloatMode: 240
; IeeeMode: 1
; LDSByteSize: 128 bytes/workgroup (compile time only)
; SGPRBlocks: 0
; VGPRBlocks: 1
; NumSGPRsForWavesPerEU: 44
; NumVGPRsForWavesPerEU: 9
; Occupancy: 16
; WaveLimiterHint : 0
; COMPUTE_PGM_RSRC2:SCRATCH_EN: 0
; COMPUTE_PGM_RSRC2:USER_SGPR: 2
; COMPUTE_PGM_RSRC2:TRAP_HANDLER: 0
; COMPUTE_PGM_RSRC2:TGID_X_EN: 1
; COMPUTE_PGM_RSRC2:TGID_Y_EN: 1
; COMPUTE_PGM_RSRC2:TGID_Z_EN: 0
; COMPUTE_PGM_RSRC2:TIDIG_COMP_CNT: 0
	.section	.text._ZL33flash_attn_stream_k_fixup_uniformILi64ELi16ELi4EEvPfPK15HIP_vector_typeIfLj2EEiiiiiiS1_IjLj3EES5_S5_,"axG",@progbits,_ZL33flash_attn_stream_k_fixup_uniformILi64ELi16ELi4EEvPfPK15HIP_vector_typeIfLj2EEiiiiiiS1_IjLj3EES5_S5_,comdat
	.globl	_ZL33flash_attn_stream_k_fixup_uniformILi64ELi16ELi4EEvPfPK15HIP_vector_typeIfLj2EEiiiiiiS1_IjLj3EES5_S5_ ; -- Begin function _ZL33flash_attn_stream_k_fixup_uniformILi64ELi16ELi4EEvPfPK15HIP_vector_typeIfLj2EEiiiiiiS1_IjLj3EES5_S5_
	.p2align	8
	.type	_ZL33flash_attn_stream_k_fixup_uniformILi64ELi16ELi4EEvPfPK15HIP_vector_typeIfLj2EEiiiiiiS1_IjLj3EES5_S5_,@function
_ZL33flash_attn_stream_k_fixup_uniformILi64ELi16ELi4EEvPfPK15HIP_vector_typeIfLj2EEiiiiiiS1_IjLj3EES5_S5_: ; @_ZL33flash_attn_stream_k_fixup_uniformILi64ELi16ELi4EEvPfPK15HIP_vector_typeIfLj2EEiiiiiiS1_IjLj3EES5_S5_
; %bb.0:
	s_clause 0x1
	s_load_b256 s[4:11], s[0:1], 0x1c
	s_load_b128 s[12:15], s[0:1], 0x3c
	s_wait_kmcnt 0x0
	s_mul_hi_u32 s2, s7, ttmp9
	s_delay_alu instid0(SALU_CYCLE_1) | instskip(NEXT) | instid1(SALU_CYCLE_1)
	s_add_co_i32 s2, ttmp9, s2
	s_lshr_b32 s2, s2, s8
	s_delay_alu instid0(SALU_CYCLE_1) | instskip(SKIP_2) | instid1(SALU_CYCLE_1)
	s_mul_i32 s3, s2, s9
	s_load_b64 s[8:9], s[0:1], 0x10
	s_sub_co_i32 s7, ttmp9, s3
	s_mul_hi_u32 s3, s7, s10
	s_delay_alu instid0(SALU_CYCLE_1) | instskip(NEXT) | instid1(SALU_CYCLE_1)
	s_add_co_i32 s3, s7, s3
	s_lshr_b32 s3, s3, s11
	s_delay_alu instid0(SALU_CYCLE_1) | instskip(NEXT) | instid1(SALU_CYCLE_1)
	s_mul_i32 s10, s3, s12
	s_sub_co_i32 s7, s7, s10
	s_delay_alu instid0(SALU_CYCLE_1) | instskip(NEXT) | instid1(SALU_CYCLE_1)
	s_mul_hi_u32 s10, s7, s13
	s_add_co_i32 s10, s7, s10
	s_delay_alu instid0(SALU_CYCLE_1) | instskip(NEXT) | instid1(SALU_CYCLE_1)
	s_lshr_b32 s12, s10, s14
	s_mul_i32 s10, s12, s15
	s_lshl_b32 s12, s12, 2
	s_sub_co_i32 s11, s7, s10
	s_and_b32 s7, ttmp7, 0xffff
	s_lshl_b32 s13, s11, 4
	s_lshr_b32 s10, ttmp7, 16
	s_add_co_i32 s13, s13, s7
	s_wait_kmcnt 0x0
	s_cmp_lt_i32 s13, s8
	s_cselect_b32 s13, -1, 0
	s_add_co_i32 s14, s12, s10
	s_delay_alu instid0(SALU_CYCLE_1) | instskip(SKIP_1) | instid1(SALU_CYCLE_1)
	s_cmp_lt_i32 s14, s5
	s_cselect_b32 s14, -1, 0
	s_and_b32 s13, s13, s14
	s_delay_alu instid0(SALU_CYCLE_1)
	s_and_not1_b32 vcc_lo, exec_lo, s13
	s_cbranch_vccnz .LBB19_6
; %bb.1:
	s_mul_i32 s2, s2, s8
	s_mul_i32 s5, s3, s5
	s_add_co_i32 s2, s2, s7
	s_delay_alu instid0(SALU_CYCLE_1) | instskip(NEXT) | instid1(SALU_CYCLE_1)
	s_mul_i32 s2, s2, s9
	s_add_co_i32 s8, s2, s10
	s_load_b128 s[0:3], s[0:1], 0x0
	s_add_co_i32 s5, s8, s5
	s_mul_i32 s8, s9, s11
	s_add_co_i32 s5, s5, s12
	s_lshl_b32 s8, s8, 10
	s_lshl_b32 s5, s5, 6
	s_delay_alu instid0(SALU_CYCLE_1)
	s_add_co_i32 s8, s8, s5
	s_lshl_b32 s5, s7, 2
	v_or_b32_e32 v1, s8, v0
	s_mul_i32 s8, s6, ttmp9
	s_wait_alu 0xfffe
	s_add_co_i32 s9, s8, s6
	s_wait_alu 0xfffe
	s_add_co_i32 s12, s9, -2
	v_ashrrev_i32_e32 v2, 31, v1
	s_delay_alu instid0(VALU_DEP_1) | instskip(SKIP_1) | instid1(VALU_DEP_1)
	v_lshlrev_b64_e32 v[1:2], 2, v[1:2]
	s_wait_kmcnt 0x0
	v_add_co_u32 v1, vcc_lo, s0, v1
	s_delay_alu instid0(VALU_DEP_1)
	v_add_co_ci_u32_e64 v2, null, s1, v2, vcc_lo
	s_add_co_i32 s0, s5, s10
	s_lshl_b32 s1, s9, 6
	global_load_b32 v5, v[1:2], off
	s_wait_alu 0xfffe
	s_add_co_i32 s0, s0, s1
	s_wait_alu 0xfffe
	s_sub_co_i32 s0, s0, 64
	s_wait_alu 0xfffe
	s_ashr_i32 s1, s0, 31
	s_wait_alu 0xfffe
	s_lshl_b64 s[0:1], s[0:1], 3
	s_cmp_lt_i32 s12, s8
	s_wait_alu 0xfffe
	s_add_nc_u64 s[0:1], s[2:3], s[0:1]
	s_load_b32 s11, s[0:1], 0x4
	s_cbranch_scc1 .LBB19_4
; %bb.2:
	s_load_b32 s0, s[0:1], 0x0
	s_add_co_i32 s13, ttmp9, 1
	s_lshl_b32 s12, s4, 8
	s_mul_i32 s1, s6, s13
	s_lshl_b32 s6, s7, 8
	s_lshl_b32 s7, s10, 6
	s_wait_alu 0xfffe
	s_lshl_b32 s14, s1, 12
	s_add_co_i32 s6, s7, s6
	s_lshl_b32 s1, s1, 6
	s_add_co_i32 s14, s6, s14
	s_wait_alu 0xfffe
	s_add_co_i32 s1, s10, s1
	v_or_b32_e32 v0, s14, v0
	s_lshl_b32 s4, s4, 6
	s_ashr_i32 s13, s12, 31
	s_wait_alu 0xfffe
	s_add_co_i32 s1, s1, s4
	s_wait_kmcnt 0x0
	v_dual_mov_b32 v6, s11 :: v_dual_add_nc_u32 v3, 0xffffe000, v0
	s_lshl_b64 s[6:7], s[12:13], 2
	s_wait_alu 0xfffe
	s_add_co_i32 s4, s1, s5
	s_add_nc_u64 s[6:7], s[2:3], s[6:7]
	s_add_co_i32 s1, s9, -1
	s_addk_co_i32 s4, 0xff80
.LBB19_3:                               ; =>This Inner Loop Header: Depth=1
	v_ashrrev_i32_e32 v4, 31, v3
	s_ashr_i32 s5, s4, 31
	v_mov_b32_e32 v10, v6
	s_lshl_b64 s[10:11], s[4:5], 3
	s_wait_loadcnt 0x0
	v_mov_b32_e32 v9, v5
	v_lshlrev_b64_e32 v[7:8], 2, v[3:4]
	s_wait_alu 0xfffe
	s_add_nc_u64 s[10:11], s[2:3], s[10:11]
	v_max_num_f32_e64 v4, s0, s0
	s_load_b64 s[10:11], s[10:11], 0x0
	v_add_nc_u32_e32 v3, 0xfffff000, v3
	v_add_co_u32 v7, vcc_lo, s6, v7
	s_wait_alu 0xfffd
	v_add_co_ci_u32_e64 v8, null, s7, v8, vcc_lo
	v_readfirstlane_b32 s5, v4
	global_load_b32 v0, v[7:8], off
	s_wait_kmcnt 0x0
	v_max_num_f32_e64 v4, s10, s10
	s_delay_alu instid0(VALU_DEP_1) | instskip(SKIP_1) | instid1(SALU_CYCLE_3)
	v_readfirstlane_b32 s9, v4
	s_max_num_f32 s5, s5, s9
	s_sub_f32 s0, s0, s5
	s_sub_f32 s9, s10, s5
	s_wait_alu 0xfffe
	s_delay_alu instid0(SALU_CYCLE_1) | instskip(NEXT) | instid1(SALU_CYCLE_1)
	s_mul_f32 s10, s0, 0x3fb8aa3b
	s_mul_f32 s12, s9, 0x3fb8aa3b
	s_wait_alu 0xfffe
	s_delay_alu instid0(SALU_CYCLE_1)
	s_xor_b32 s13, s10, 0x80000000
	s_rndne_f32 s14, s10
	s_fmamk_f32 s13, s0, 0x3fb8aa3b, s13
	s_cmp_nlt_f32 s0, 0xc2ce8ed0
	s_rndne_f32 s15, s12
	s_wait_alu 0xfffe
	s_sub_f32 s10, s10, s14
	s_fmamk_f32 s13, s0, 0x32a5705f, s13
	s_cvt_i32_f32 s14, s14
	s_cselect_b32 vcc_lo, -1, 0
	s_cmp_ngt_f32 s0, 0x42b17218
	s_wait_alu 0xfffe
	s_add_f32 s10, s10, s13
	s_sub_f32 s13, s12, s15
	s_wait_alu 0xfffe
	s_delay_alu instid0(SALU_CYCLE_1) | instskip(SKIP_1) | instid1(TRANS32_DEP_1)
	v_s_exp_f32 s10, s10
	s_wait_alu 0xf1ff
	v_ldexp_f32 v4, s10, s14
	s_cvt_i32_f32 s10, s15
	s_delay_alu instid0(VALU_DEP_1) | instskip(SKIP_3) | instid1(VALU_DEP_1)
	v_cndmask_b32_e32 v4, 0, v4, vcc_lo
	s_cselect_b32 vcc_lo, -1, 0
	s_cmp_ge_f32 s0, 0xc1a00000
	s_wait_alu 0xfffe
	v_cndmask_b32_e32 v4, 0x7f800000, v4, vcc_lo
	s_cselect_b32 vcc_lo, -1, 0
	s_xor_b32 s0, s12, 0x80000000
	s_cmp_nlt_f32 s9, 0xc2ce8ed0
	s_wait_alu 0xfffe
	s_fmamk_f32 s0, s9, 0x3fb8aa3b, s0
	s_wait_alu 0xfffe
	s_delay_alu instid0(SALU_CYCLE_2) | instskip(SKIP_1) | instid1(SALU_CYCLE_2)
	s_fmamk_f32 s0, s9, 0x32a5705f, s0
	s_wait_alu 0xfffe
	s_add_f32 s0, s13, s0
	s_wait_alu 0xfffe
	s_delay_alu instid0(SALU_CYCLE_2) | instskip(SKIP_1) | instid1(TRANS32_DEP_1)
	v_s_exp_f32 s0, s0
	s_wait_alu 0xf1ff
	v_ldexp_f32 v7, s0, s10
	s_cselect_b32 s0, -1, 0
	s_cmp_ngt_f32 s9, 0x42b17218
	s_wait_alu 0xfffe
	s_delay_alu instid0(VALU_DEP_1) | instskip(SKIP_3) | instid1(VALU_DEP_1)
	v_cndmask_b32_e64 v7, 0, v7, s0
	s_cselect_b32 s0, -1, 0
	s_cmp_ge_f32 s9, 0xc1a00000
	s_wait_alu 0xfffe
	v_cndmask_b32_e64 v7, 0x7f800000, v7, s0
	s_cselect_b32 s0, -1, 0
	s_add_co_i32 s1, s1, -1
	s_sub_co_i32 s4, s4, 64
	s_wait_alu 0xfffe
	s_cmp_le_i32 s1, s8
	v_cndmask_b32_e64 v7, 0, v7, s0
	s_mov_b32 s0, s5
	s_wait_loadcnt 0x0
	s_delay_alu instid0(VALU_DEP_1) | instskip(NEXT) | instid1(VALU_DEP_1)
	v_dual_mul_f32 v5, v0, v7 :: v_dual_cndmask_b32 v4, 0, v4
	v_dual_mul_f32 v8, s11, v7 :: v_dual_fmac_f32 v5, v9, v4
	s_delay_alu instid0(VALU_DEP_1) | instskip(NEXT) | instid1(VALU_DEP_1)
	v_mov_b32_e32 v6, v8
	v_fmac_f32_e32 v6, v10, v4
	s_cbranch_scc0 .LBB19_3
	s_branch .LBB19_5
.LBB19_4:
	s_wait_kmcnt 0x0
	v_mov_b32_e32 v6, s11
.LBB19_5:
	s_wait_loadcnt 0x0
	s_delay_alu instid0(VALU_DEP_1) | instskip(NEXT) | instid1(VALU_DEP_1)
	v_div_scale_f32 v0, null, v6, v6, v5
	v_rcp_f32_e32 v3, v0
	s_delay_alu instid0(TRANS32_DEP_1) | instskip(NEXT) | instid1(VALU_DEP_1)
	v_fma_f32 v4, -v0, v3, 1.0
	v_fmac_f32_e32 v3, v4, v3
	v_div_scale_f32 v4, vcc_lo, v5, v6, v5
	s_delay_alu instid0(VALU_DEP_1) | instskip(NEXT) | instid1(VALU_DEP_1)
	v_mul_f32_e32 v7, v4, v3
	v_fma_f32 v8, -v0, v7, v4
	s_delay_alu instid0(VALU_DEP_1) | instskip(NEXT) | instid1(VALU_DEP_1)
	v_fmac_f32_e32 v7, v8, v3
	v_fma_f32 v0, -v0, v7, v4
	s_wait_alu 0xfffd
	s_delay_alu instid0(VALU_DEP_1) | instskip(NEXT) | instid1(VALU_DEP_1)
	v_div_fmas_f32 v0, v0, v3, v7
	v_div_fixup_f32 v0, v0, v6, v5
	global_store_b32 v[1:2], v0, off
.LBB19_6:
	s_endpgm
	.section	.rodata,"a",@progbits
	.p2align	6, 0x0
	.amdhsa_kernel _ZL33flash_attn_stream_k_fixup_uniformILi64ELi16ELi4EEvPfPK15HIP_vector_typeIfLj2EEiiiiiiS1_IjLj3EES5_S5_
		.amdhsa_group_segment_fixed_size 0
		.amdhsa_private_segment_fixed_size 0
		.amdhsa_kernarg_size 76
		.amdhsa_user_sgpr_count 2
		.amdhsa_user_sgpr_dispatch_ptr 0
		.amdhsa_user_sgpr_queue_ptr 0
		.amdhsa_user_sgpr_kernarg_segment_ptr 1
		.amdhsa_user_sgpr_dispatch_id 0
		.amdhsa_user_sgpr_private_segment_size 0
		.amdhsa_wavefront_size32 1
		.amdhsa_uses_dynamic_stack 0
		.amdhsa_enable_private_segment 0
		.amdhsa_system_sgpr_workgroup_id_x 1
		.amdhsa_system_sgpr_workgroup_id_y 1
		.amdhsa_system_sgpr_workgroup_id_z 1
		.amdhsa_system_sgpr_workgroup_info 0
		.amdhsa_system_vgpr_workitem_id 0
		.amdhsa_next_free_vgpr 11
		.amdhsa_next_free_sgpr 16
		.amdhsa_reserve_vcc 1
		.amdhsa_float_round_mode_32 0
		.amdhsa_float_round_mode_16_64 0
		.amdhsa_float_denorm_mode_32 3
		.amdhsa_float_denorm_mode_16_64 3
		.amdhsa_fp16_overflow 0
		.amdhsa_workgroup_processor_mode 1
		.amdhsa_memory_ordered 1
		.amdhsa_forward_progress 1
		.amdhsa_inst_pref_size 9
		.amdhsa_round_robin_scheduling 0
		.amdhsa_exception_fp_ieee_invalid_op 0
		.amdhsa_exception_fp_denorm_src 0
		.amdhsa_exception_fp_ieee_div_zero 0
		.amdhsa_exception_fp_ieee_overflow 0
		.amdhsa_exception_fp_ieee_underflow 0
		.amdhsa_exception_fp_ieee_inexact 0
		.amdhsa_exception_int_div_zero 0
	.end_amdhsa_kernel
	.section	.text._ZL33flash_attn_stream_k_fixup_uniformILi64ELi16ELi4EEvPfPK15HIP_vector_typeIfLj2EEiiiiiiS1_IjLj3EES5_S5_,"axG",@progbits,_ZL33flash_attn_stream_k_fixup_uniformILi64ELi16ELi4EEvPfPK15HIP_vector_typeIfLj2EEiiiiiiS1_IjLj3EES5_S5_,comdat
.Lfunc_end19:
	.size	_ZL33flash_attn_stream_k_fixup_uniformILi64ELi16ELi4EEvPfPK15HIP_vector_typeIfLj2EEiiiiiiS1_IjLj3EES5_S5_, .Lfunc_end19-_ZL33flash_attn_stream_k_fixup_uniformILi64ELi16ELi4EEvPfPK15HIP_vector_typeIfLj2EEiiiiiiS1_IjLj3EES5_S5_
                                        ; -- End function
	.set _ZL33flash_attn_stream_k_fixup_uniformILi64ELi16ELi4EEvPfPK15HIP_vector_typeIfLj2EEiiiiiiS1_IjLj3EES5_S5_.num_vgpr, 11
	.set _ZL33flash_attn_stream_k_fixup_uniformILi64ELi16ELi4EEvPfPK15HIP_vector_typeIfLj2EEiiiiiiS1_IjLj3EES5_S5_.num_agpr, 0
	.set _ZL33flash_attn_stream_k_fixup_uniformILi64ELi16ELi4EEvPfPK15HIP_vector_typeIfLj2EEiiiiiiS1_IjLj3EES5_S5_.numbered_sgpr, 16
	.set _ZL33flash_attn_stream_k_fixup_uniformILi64ELi16ELi4EEvPfPK15HIP_vector_typeIfLj2EEiiiiiiS1_IjLj3EES5_S5_.num_named_barrier, 0
	.set _ZL33flash_attn_stream_k_fixup_uniformILi64ELi16ELi4EEvPfPK15HIP_vector_typeIfLj2EEiiiiiiS1_IjLj3EES5_S5_.private_seg_size, 0
	.set _ZL33flash_attn_stream_k_fixup_uniformILi64ELi16ELi4EEvPfPK15HIP_vector_typeIfLj2EEiiiiiiS1_IjLj3EES5_S5_.uses_vcc, 1
	.set _ZL33flash_attn_stream_k_fixup_uniformILi64ELi16ELi4EEvPfPK15HIP_vector_typeIfLj2EEiiiiiiS1_IjLj3EES5_S5_.uses_flat_scratch, 0
	.set _ZL33flash_attn_stream_k_fixup_uniformILi64ELi16ELi4EEvPfPK15HIP_vector_typeIfLj2EEiiiiiiS1_IjLj3EES5_S5_.has_dyn_sized_stack, 0
	.set _ZL33flash_attn_stream_k_fixup_uniformILi64ELi16ELi4EEvPfPK15HIP_vector_typeIfLj2EEiiiiiiS1_IjLj3EES5_S5_.has_recursion, 0
	.set _ZL33flash_attn_stream_k_fixup_uniformILi64ELi16ELi4EEvPfPK15HIP_vector_typeIfLj2EEiiiiiiS1_IjLj3EES5_S5_.has_indirect_call, 0
	.section	.AMDGPU.csdata,"",@progbits
; Kernel info:
; codeLenInByte = 1140
; TotalNumSgprs: 18
; NumVgprs: 11
; ScratchSize: 0
; MemoryBound: 0
; FloatMode: 240
; IeeeMode: 1
; LDSByteSize: 0 bytes/workgroup (compile time only)
; SGPRBlocks: 0
; VGPRBlocks: 1
; NumSGPRsForWavesPerEU: 18
; NumVGPRsForWavesPerEU: 11
; Occupancy: 16
; WaveLimiterHint : 0
; COMPUTE_PGM_RSRC2:SCRATCH_EN: 0
; COMPUTE_PGM_RSRC2:USER_SGPR: 2
; COMPUTE_PGM_RSRC2:TRAP_HANDLER: 0
; COMPUTE_PGM_RSRC2:TGID_X_EN: 1
; COMPUTE_PGM_RSRC2:TGID_Y_EN: 1
; COMPUTE_PGM_RSRC2:TGID_Z_EN: 1
; COMPUTE_PGM_RSRC2:TIDIG_COMP_CNT: 0
	.section	.text._ZL33flash_attn_stream_k_fixup_generalILi64ELi16ELi4EEvPfPK15HIP_vector_typeIfLj2EEiiiiS1_IjLj3EES5_S5_S5_,"axG",@progbits,_ZL33flash_attn_stream_k_fixup_generalILi64ELi16ELi4EEvPfPK15HIP_vector_typeIfLj2EEiiiiS1_IjLj3EES5_S5_S5_,comdat
	.globl	_ZL33flash_attn_stream_k_fixup_generalILi64ELi16ELi4EEvPfPK15HIP_vector_typeIfLj2EEiiiiS1_IjLj3EES5_S5_S5_ ; -- Begin function _ZL33flash_attn_stream_k_fixup_generalILi64ELi16ELi4EEvPfPK15HIP_vector_typeIfLj2EEiiiiS1_IjLj3EES5_S5_S5_
	.p2align	8
	.type	_ZL33flash_attn_stream_k_fixup_generalILi64ELi16ELi4EEvPfPK15HIP_vector_typeIfLj2EEiiiiS1_IjLj3EES5_S5_S5_,@function
_ZL33flash_attn_stream_k_fixup_generalILi64ELi16ELi4EEvPfPK15HIP_vector_typeIfLj2EEiiiiS1_IjLj3EES5_S5_S5_: ; @_ZL33flash_attn_stream_k_fixup_generalILi64ELi16ELi4EEvPfPK15HIP_vector_typeIfLj2EEiiiiS1_IjLj3EES5_S5_S5_
; %bb.0:
	s_clause 0x1
	s_load_b128 s[4:7], s[0:1], 0x10
	s_load_b32 s16, s[0:1], 0x50
	s_mov_b32 s2, ttmp9
	s_ashr_i32 s3, ttmp9, 31
	s_mov_b32 s17, 0
	s_delay_alu instid0(SALU_CYCLE_1) | instskip(SKIP_3) | instid1(SALU_CYCLE_1)
	s_mov_b32 s8, s17
	s_wait_kmcnt 0x0
	s_ashr_i32 s19, s7, 31
	s_mov_b32 s18, s7
	s_mul_u64 s[2:3], s[18:19], s[2:3]
	s_delay_alu instid0(SALU_CYCLE_1) | instskip(NEXT) | instid1(SALU_CYCLE_1)
	s_mov_b32 s9, s3
	s_cmp_lg_u64 s[8:9], 0
	s_cbranch_scc0 .LBB20_21
; %bb.1:
	s_add_nc_u64 s[8:9], s[16:17], 0
	s_mov_b32 s15, s17
	s_xor_b64 s[8:9], s[8:9], 0
	s_mov_b32 s23, s17
	s_cvt_f32_u32 s7, s8
	s_cvt_f32_u32 s10, s9
	s_sub_nc_u64 s[12:13], 0, s[8:9]
	s_delay_alu instid0(SALU_CYCLE_2) | instskip(NEXT) | instid1(SALU_CYCLE_3)
	s_fmamk_f32 s7, s10, 0x4f800000, s7
	v_s_rcp_f32 s7, s7
	s_delay_alu instid0(TRANS32_DEP_1) | instskip(SKIP_1) | instid1(SALU_CYCLE_2)
	s_mul_f32 s7, s7, 0x5f7ffffc
	s_wait_alu 0xfffe
	s_mul_f32 s10, s7, 0x2f800000
	s_delay_alu instid0(SALU_CYCLE_3) | instskip(NEXT) | instid1(SALU_CYCLE_3)
	s_trunc_f32 s10, s10
	s_fmamk_f32 s7, s10, 0xcf800000, s7
	s_cvt_u32_f32 s11, s10
	s_wait_alu 0xfffe
	s_delay_alu instid0(SALU_CYCLE_1) | instskip(NEXT) | instid1(SALU_CYCLE_3)
	s_cvt_u32_f32 s10, s7
	s_mul_u64 s[20:21], s[12:13], s[10:11]
	s_delay_alu instid0(SALU_CYCLE_1)
	s_mul_hi_u32 s25, s10, s21
	s_mul_i32 s24, s10, s21
	s_mul_hi_u32 s14, s10, s20
	s_mul_i32 s22, s11, s20
	s_add_nc_u64 s[14:15], s[14:15], s[24:25]
	s_mul_hi_u32 s7, s11, s20
	s_mul_hi_u32 s26, s11, s21
	s_add_co_u32 s14, s14, s22
	s_wait_alu 0xfffe
	s_add_co_ci_u32 s22, s15, s7
	s_mul_i32 s20, s11, s21
	s_add_co_ci_u32 s21, s26, 0
	s_delay_alu instid0(SALU_CYCLE_1)
	s_add_nc_u64 s[14:15], s[22:23], s[20:21]
	s_mov_b32 s21, s17
	s_add_co_u32 s10, s10, s14
	s_cselect_b32 s7, -1, 0
	s_wait_alu 0xfffe
	s_cmp_lg_u32 s7, 0
	s_add_co_ci_u32 s11, s11, s15
	s_mov_b32 s15, s17
	s_mul_u64 s[12:13], s[12:13], s[10:11]
	s_delay_alu instid0(SALU_CYCLE_1)
	s_mul_hi_u32 s23, s10, s13
	s_mul_i32 s22, s10, s13
	s_mul_hi_u32 s14, s10, s12
	s_mul_i32 s20, s11, s12
	s_add_nc_u64 s[14:15], s[14:15], s[22:23]
	s_mul_hi_u32 s7, s11, s12
	s_mul_hi_u32 s24, s11, s13
	s_mul_i32 s12, s11, s13
	s_add_co_u32 s13, s14, s20
	s_wait_alu 0xfffe
	s_add_co_ci_u32 s20, s15, s7
	s_add_co_ci_u32 s13, s24, 0
	s_mov_b32 s15, s17
	s_add_nc_u64 s[12:13], s[20:21], s[12:13]
	s_delay_alu instid0(SALU_CYCLE_1) | instskip(SKIP_1) | instid1(SALU_CYCLE_1)
	s_add_co_u32 s7, s10, s12
	s_cselect_b32 s10, -1, 0
	s_cmp_lg_u32 s10, 0
	s_add_co_ci_u32 s20, s11, s13
	s_ashr_i32 s10, s3, 31
	s_delay_alu instid0(SALU_CYCLE_1) | instskip(NEXT) | instid1(SALU_CYCLE_1)
	s_mov_b32 s11, s10
	s_add_nc_u64 s[12:13], s[2:3], s[10:11]
	s_delay_alu instid0(SALU_CYCLE_1) | instskip(NEXT) | instid1(SALU_CYCLE_1)
	s_xor_b64 s[12:13], s[12:13], s[10:11]
	s_mul_hi_u32 s23, s12, s20
	s_mul_i32 s22, s12, s20
	s_wait_alu 0xfffe
	s_mul_hi_u32 s14, s12, s7
	s_mul_hi_u32 s24, s13, s7
	s_mul_i32 s7, s13, s7
	s_add_nc_u64 s[14:15], s[14:15], s[22:23]
	s_mul_hi_u32 s3, s13, s20
	s_wait_alu 0xfffe
	s_add_co_u32 s7, s14, s7
	s_mul_i32 s22, s13, s20
	s_add_co_ci_u32 s20, s15, s24
	s_add_co_ci_u32 s23, s3, 0
	s_delay_alu instid0(SALU_CYCLE_1) | instskip(NEXT) | instid1(SALU_CYCLE_1)
	s_add_nc_u64 s[14:15], s[20:21], s[22:23]
	s_mul_u64 s[20:21], s[8:9], s[14:15]
	s_delay_alu instid0(SALU_CYCLE_1)
	s_sub_co_u32 s3, s12, s20
	s_cselect_b32 s7, -1, 0
	s_sub_co_i32 s12, s13, s21
	s_wait_alu 0xfffe
	s_cmp_lg_u32 s7, 0
	s_sub_co_ci_u32 s12, s12, s9
	s_sub_co_u32 s20, s3, s8
	s_cselect_b32 s22, -1, 0
	s_delay_alu instid0(SALU_CYCLE_1) | instskip(SKIP_2) | instid1(SALU_CYCLE_1)
	s_cmp_lg_u32 s22, 0
	s_add_nc_u64 s[22:23], s[14:15], 1
	s_sub_co_ci_u32 s12, s12, 0
	s_cmp_ge_u32 s12, s9
	s_cselect_b32 s24, -1, 0
	s_cmp_ge_u32 s20, s8
	s_cselect_b32 s20, -1, 0
	s_cmp_eq_u32 s12, s9
	s_cselect_b32 s12, s20, s24
	s_add_nc_u64 s[24:25], s[14:15], 2
	s_cmp_lg_u32 s12, 0
	s_cselect_b32 s12, s24, s22
	s_cselect_b32 s20, s25, s23
	s_cmp_lg_u32 s7, 0
	s_sub_co_ci_u32 s7, s13, s21
	s_wait_alu 0xfffe
	s_cmp_ge_u32 s7, s9
	s_cselect_b32 s13, -1, 0
	s_cmp_ge_u32 s3, s8
	s_cselect_b32 s3, -1, 0
	s_cmp_eq_u32 s7, s9
	s_cselect_b32 s3, s3, s13
	s_delay_alu instid0(SALU_CYCLE_1) | instskip(SKIP_4) | instid1(SALU_CYCLE_1)
	s_cmp_lg_u32 s3, 0
	s_mov_b32 s3, s17
	s_cselect_b32 s9, s20, s15
	s_cselect_b32 s8, s12, s14
	s_xor_b64 s[10:11], s[10:11], 0
	s_xor_b64 s[8:9], s[8:9], s[10:11]
	s_delay_alu instid0(SALU_CYCLE_1)
	s_sub_nc_u64 s[20:21], s[8:9], s[10:11]
	s_and_not1_b32 vcc_lo, exec_lo, s3
	s_cbranch_vccnz .LBB20_3
.LBB20_2:
	v_cvt_f32_u32_e32 v1, s16
	s_sub_co_i32 s7, 0, s16
	s_delay_alu instid0(VALU_DEP_1) | instskip(NEXT) | instid1(TRANS32_DEP_1)
	v_rcp_iflag_f32_e32 v1, v1
	v_mul_f32_e32 v1, 0x4f7ffffe, v1
	s_delay_alu instid0(VALU_DEP_1) | instskip(NEXT) | instid1(VALU_DEP_1)
	v_cvt_u32_f32_e32 v1, v1
	v_readfirstlane_b32 s3, v1
	s_wait_alu 0xfffe
	s_mul_i32 s7, s7, s3
	s_wait_alu 0xfffe
	s_mul_hi_u32 s7, s3, s7
	s_wait_alu 0xfffe
	s_add_co_i32 s3, s3, s7
	s_delay_alu instid0(SALU_CYCLE_1) | instskip(NEXT) | instid1(SALU_CYCLE_1)
	s_mul_hi_u32 s3, s2, s3
	s_mul_i32 s7, s3, s16
	s_wait_alu 0xfffe
	s_sub_co_i32 s2, s2, s7
	s_add_co_i32 s7, s3, 1
	s_sub_co_i32 s8, s2, s16
	s_cmp_ge_u32 s2, s16
	s_wait_alu 0xfffe
	s_cselect_b32 s3, s7, s3
	s_cselect_b32 s2, s8, s2
	s_add_co_i32 s7, s3, 1
	s_cmp_ge_u32 s2, s16
	s_wait_alu 0xfffe
	s_cselect_b32 s20, s7, s3
.LBB20_3:
	s_add_co_i32 s2, ttmp9, 1
	s_mov_b32 s8, 0
	s_ashr_i32 s3, s2, 31
	s_delay_alu instid0(SALU_CYCLE_1) | instskip(NEXT) | instid1(SALU_CYCLE_1)
	s_mul_u64 s[2:3], s[18:19], s[2:3]
	s_mov_b32 s9, s3
	s_delay_alu instid0(SALU_CYCLE_1)
	s_cmp_lg_u64 s[8:9], 0
	s_cbranch_scc0 .LBB20_22
; %bb.4:
	s_add_nc_u64 s[10:11], s[16:17], 0
	s_mov_b32 s23, s8
	s_xor_b64 s[10:11], s[10:11], 0
	s_mov_b32 s27, s8
	s_cvt_f32_u32 s7, s10
	s_cvt_f32_u32 s9, s11
	s_sub_nc_u64 s[14:15], 0, s[10:11]
	s_wait_alu 0xfffe
	s_delay_alu instid0(SALU_CYCLE_1) | instskip(SKIP_1) | instid1(SALU_CYCLE_2)
	s_fmamk_f32 s7, s9, 0x4f800000, s7
	s_wait_alu 0xfffe
	v_s_rcp_f32 s7, s7
	s_delay_alu instid0(TRANS32_DEP_1) | instskip(SKIP_1) | instid1(SALU_CYCLE_2)
	s_mul_f32 s7, s7, 0x5f7ffffc
	s_wait_alu 0xfffe
	s_mul_f32 s9, s7, 0x2f800000
	s_delay_alu instid0(SALU_CYCLE_3) | instskip(NEXT) | instid1(SALU_CYCLE_3)
	s_trunc_f32 s9, s9
	s_fmamk_f32 s7, s9, 0xcf800000, s7
	s_cvt_u32_f32 s13, s9
	s_wait_alu 0xfffe
	s_delay_alu instid0(SALU_CYCLE_1) | instskip(NEXT) | instid1(SALU_CYCLE_3)
	s_cvt_u32_f32 s12, s7
	s_mul_u64 s[24:25], s[14:15], s[12:13]
	s_delay_alu instid0(SALU_CYCLE_1)
	s_mul_hi_u32 s29, s12, s25
	s_mul_i32 s28, s12, s25
	s_mul_hi_u32 s22, s12, s24
	s_mul_i32 s9, s13, s24
	s_add_nc_u64 s[22:23], s[22:23], s[28:29]
	s_mul_hi_u32 s7, s13, s24
	s_mul_hi_u32 s21, s13, s25
	s_add_co_u32 s9, s22, s9
	s_wait_alu 0xfffe
	s_add_co_ci_u32 s26, s23, s7
	s_mul_i32 s24, s13, s25
	s_add_co_ci_u32 s25, s21, 0
	s_delay_alu instid0(SALU_CYCLE_1)
	s_add_nc_u64 s[22:23], s[26:27], s[24:25]
	s_mov_b32 s25, s8
	s_add_co_u32 s12, s12, s22
	s_cselect_b32 s7, -1, 0
	s_wait_alu 0xfffe
	s_cmp_lg_u32 s7, 0
	s_add_co_ci_u32 s13, s13, s23
	s_mov_b32 s23, s8
	s_mul_u64 s[14:15], s[14:15], s[12:13]
	s_delay_alu instid0(SALU_CYCLE_1)
	s_mul_hi_u32 s27, s12, s15
	s_mul_i32 s26, s12, s15
	s_mul_hi_u32 s22, s12, s14
	s_mul_i32 s9, s13, s14
	s_add_nc_u64 s[22:23], s[22:23], s[26:27]
	s_mul_hi_u32 s7, s13, s14
	s_mul_hi_u32 s21, s13, s15
	s_add_co_u32 s9, s22, s9
	s_wait_alu 0xfffe
	s_add_co_ci_u32 s24, s23, s7
	s_mul_i32 s14, s13, s15
	s_add_co_ci_u32 s15, s21, 0
	s_mov_b32 s23, s8
	s_add_nc_u64 s[14:15], s[24:25], s[14:15]
	s_delay_alu instid0(SALU_CYCLE_1) | instskip(SKIP_1) | instid1(SALU_CYCLE_1)
	s_add_co_u32 s7, s12, s14
	s_cselect_b32 s9, -1, 0
	s_cmp_lg_u32 s9, 0
	s_add_co_ci_u32 s9, s13, s15
	s_ashr_i32 s12, s3, 31
	s_delay_alu instid0(SALU_CYCLE_1) | instskip(NEXT) | instid1(SALU_CYCLE_1)
	s_mov_b32 s13, s12
	s_add_nc_u64 s[14:15], s[2:3], s[12:13]
	s_delay_alu instid0(SALU_CYCLE_1) | instskip(NEXT) | instid1(SALU_CYCLE_1)
	s_xor_b64 s[14:15], s[14:15], s[12:13]
	s_mul_hi_u32 s27, s14, s9
	s_mul_i32 s26, s14, s9
	s_wait_alu 0xfffe
	s_mul_hi_u32 s22, s14, s7
	s_mul_hi_u32 s21, s15, s7
	s_mul_i32 s7, s15, s7
	s_add_nc_u64 s[22:23], s[22:23], s[26:27]
	s_mul_hi_u32 s3, s15, s9
	s_wait_alu 0xfffe
	s_add_co_u32 s7, s22, s7
	s_add_co_ci_u32 s24, s23, s21
	s_mul_i32 s26, s15, s9
	s_add_co_ci_u32 s27, s3, 0
	s_delay_alu instid0(SALU_CYCLE_1) | instskip(NEXT) | instid1(SALU_CYCLE_1)
	s_add_nc_u64 s[22:23], s[24:25], s[26:27]
	s_mul_u64 s[24:25], s[10:11], s[22:23]
	s_add_nc_u64 s[26:27], s[22:23], 1
	s_sub_co_u32 s3, s14, s24
	s_cselect_b32 s7, -1, 0
	s_sub_co_i32 s9, s15, s25
	s_wait_alu 0xfffe
	s_cmp_lg_u32 s7, 0
	s_add_nc_u64 s[28:29], s[22:23], 2
	s_sub_co_ci_u32 s9, s9, s11
	s_sub_co_u32 s14, s3, s10
	s_cselect_b32 s21, -1, 0
	s_delay_alu instid0(SALU_CYCLE_1) | instskip(SKIP_1) | instid1(SALU_CYCLE_1)
	s_cmp_lg_u32 s21, 0
	s_sub_co_ci_u32 s9, s9, 0
	s_cmp_ge_u32 s9, s11
	s_cselect_b32 s21, -1, 0
	s_cmp_ge_u32 s14, s10
	s_cselect_b32 s14, -1, 0
	s_cmp_eq_u32 s9, s11
	s_cselect_b32 s9, s14, s21
	s_delay_alu instid0(SALU_CYCLE_1)
	s_cmp_lg_u32 s9, 0
	s_cselect_b32 s9, s28, s26
	s_cselect_b32 s14, s29, s27
	s_cmp_lg_u32 s7, 0
	s_sub_co_ci_u32 s7, s15, s25
	s_wait_alu 0xfffe
	s_cmp_ge_u32 s7, s11
	s_cselect_b32 s15, -1, 0
	s_cmp_ge_u32 s3, s10
	s_cselect_b32 s3, -1, 0
	s_cmp_eq_u32 s7, s11
	s_cselect_b32 s3, s3, s15
	s_delay_alu instid0(SALU_CYCLE_1) | instskip(SKIP_3) | instid1(SALU_CYCLE_1)
	s_cmp_lg_u32 s3, 0
	s_cselect_b32 s11, s14, s23
	s_cselect_b32 s10, s9, s22
	s_xor_b64 s[12:13], s[12:13], 0
	s_xor_b64 s[10:11], s[10:11], s[12:13]
	s_delay_alu instid0(SALU_CYCLE_1)
	s_sub_nc_u64 s[10:11], s[10:11], s[12:13]
	s_load_b96 s[12:14], s[0:1], 0x44
	s_and_not1_b32 vcc_lo, exec_lo, s8
	s_cbranch_vccnz .LBB20_6
.LBB20_5:
	v_cvt_f32_u32_e32 v1, s16
	s_sub_co_i32 s7, 0, s16
	s_delay_alu instid0(VALU_DEP_1) | instskip(NEXT) | instid1(TRANS32_DEP_1)
	v_rcp_iflag_f32_e32 v1, v1
	v_mul_f32_e32 v1, 0x4f7ffffe, v1
	s_delay_alu instid0(VALU_DEP_1) | instskip(NEXT) | instid1(VALU_DEP_1)
	v_cvt_u32_f32_e32 v1, v1
	v_readfirstlane_b32 s3, v1
	s_wait_alu 0xfffe
	s_mul_i32 s7, s7, s3
	s_wait_alu 0xfffe
	s_mul_hi_u32 s7, s3, s7
	s_wait_alu 0xfffe
	s_add_co_i32 s3, s3, s7
	s_delay_alu instid0(SALU_CYCLE_1) | instskip(NEXT) | instid1(SALU_CYCLE_1)
	s_mul_hi_u32 s3, s2, s3
	s_mul_i32 s7, s3, s16
	s_wait_alu 0xfffe
	s_sub_co_i32 s2, s2, s7
	s_add_co_i32 s7, s3, 1
	s_sub_co_i32 s8, s2, s16
	s_cmp_ge_u32 s2, s16
	s_wait_alu 0xfffe
	s_cselect_b32 s3, s7, s3
	s_cselect_b32 s2, s8, s2
	s_add_co_i32 s7, s3, 1
	s_cmp_ge_u32 s2, s16
	s_wait_alu 0xfffe
	s_cselect_b32 s10, s7, s3
.LBB20_6:
	s_mov_b32 s21, 0
	s_wait_kmcnt 0x0
	s_mov_b32 s22, s12
	s_mov_b32 s23, s21
	s_cmp_eq_u32 s20, s10
	s_mul_u64 s[2:3], s[20:21], s[22:23]
	s_cselect_b32 s7, -1, 0
	s_add_co_i32 s2, s3, s20
	s_mov_b32 s11, s21
	s_lshr_b32 s12, s2, s13
	s_mul_u64 s[2:3], s[10:11], s[22:23]
	s_mul_i32 s2, s12, s14
	s_delay_alu instid0(SALU_CYCLE_1) | instskip(SKIP_2) | instid1(SALU_CYCLE_1)
	s_cmp_eq_u32 s2, s20
	s_cselect_b32 s2, -1, 0
	s_add_co_i32 s3, s3, s10
	s_lshr_b32 s3, s3, s13
	s_delay_alu instid0(SALU_CYCLE_1)
	s_cmp_eq_u32 s12, s3
	s_mul_i32 s3, s3, s14
	s_cselect_b32 s8, -1, 0
	s_cmp_lg_u32 s3, s10
	s_cselect_b32 s3, -1, 0
	s_wait_alu 0xfffe
	s_or_b32 s2, s7, s2
	s_and_b32 s3, s8, s3
	s_delay_alu instid0(SALU_CYCLE_1) | instskip(NEXT) | instid1(SALU_CYCLE_1)
	s_or_b32 s2, s2, s3
	s_and_b32 vcc_lo, exec_lo, s2
	s_cbranch_vccnz .LBB20_24
; %bb.7:
	s_load_b256 s[24:31], s[0:1], 0x20
	s_mov_b32 s3, s21
	s_wait_kmcnt 0x0
	s_mov_b32 s2, s24
	s_delay_alu instid0(SALU_CYCLE_1) | instskip(NEXT) | instid1(SALU_CYCLE_1)
	s_mul_u64 s[2:3], s[20:21], s[2:3]
	s_add_co_i32 s2, s3, s20
	s_delay_alu instid0(SALU_CYCLE_1) | instskip(SKIP_2) | instid1(SALU_CYCLE_1)
	s_lshr_b32 s7, s2, s25
	s_load_b32 s2, s[0:1], 0x40
	s_mul_i32 s3, s7, s26
	s_sub_co_i32 s3, s20, s3
	s_delay_alu instid0(SALU_CYCLE_1) | instskip(NEXT) | instid1(SALU_CYCLE_1)
	s_mul_hi_u32 s8, s3, s27
	s_add_co_i32 s8, s3, s8
	s_delay_alu instid0(SALU_CYCLE_1) | instskip(NEXT) | instid1(SALU_CYCLE_1)
	s_lshr_b32 s8, s8, s28
	s_mul_i32 s9, s8, s29
	s_delay_alu instid0(SALU_CYCLE_1) | instskip(NEXT) | instid1(SALU_CYCLE_1)
	s_sub_co_i32 s9, s3, s9
	s_mul_hi_u32 s3, s9, s30
	s_delay_alu instid0(SALU_CYCLE_1) | instskip(NEXT) | instid1(SALU_CYCLE_1)
	s_add_co_i32 s3, s9, s3
	s_lshr_b32 s24, s3, s31
	s_mov_b32 s3, s21
	s_wait_kmcnt 0x0
	s_mul_i32 s2, s24, s2
	s_lshl_b32 s21, s24, 2
	s_sub_co_i32 s2, s9, s2
	s_delay_alu instid0(SALU_CYCLE_1) | instskip(SKIP_2) | instid1(SALU_CYCLE_1)
	s_mul_u64 s[10:11], s[2:3], s[22:23]
	s_lshr_b32 s3, ttmp7, 16
	s_add_co_i32 s2, s2, s11
	s_lshr_b32 s15, s2, s13
	s_and_b32 s2, ttmp7, 0xffff
	s_lshl_b32 s9, s15, 4
	s_delay_alu instid0(SALU_CYCLE_1) | instskip(NEXT) | instid1(SALU_CYCLE_1)
	s_add_co_i32 s9, s9, s2
	s_cmp_lt_i32 s9, s4
	s_cselect_b32 s9, -1, 0
	s_add_co_i32 s10, s21, s3
	s_delay_alu instid0(SALU_CYCLE_1) | instskip(SKIP_1) | instid1(SALU_CYCLE_1)
	s_cmp_lt_i32 s10, s6
	s_cselect_b32 s10, -1, 0
	s_and_b32 s9, s9, s10
	s_delay_alu instid0(SALU_CYCLE_1)
	s_and_not1_b32 vcc_lo, exec_lo, s9
	s_cbranch_vccnz .LBB20_24
; %bb.8:
	s_mul_i32 s4, s7, s4
	s_mul_i32 s6, s8, s6
	s_add_co_i32 s4, s4, s2
	s_load_b128 s[8:11], s[0:1], 0x0
	s_mul_i32 s4, s4, s5
	s_mul_i32 s1, s5, s15
	s_add_co_i32 s4, s4, s3
	s_lshl_b32 s1, s1, 10
	s_add_co_i32 s0, s4, s6
	s_lshl_b32 s15, s2, 2
	s_add_co_i32 s0, s0, s21
	s_add_co_i32 s15, s15, s3
	s_lshl_b32 s0, s0, 6
	v_cvt_f32_u32_e32 v4, s16
	s_add_co_i32 s1, s1, s0
	s_add_co_i32 s34, ttmp9, -1
	v_or_b32_e32 v1, s1, v0
	s_add_nc_u64 s[0:1], s[16:17], 0
	v_rcp_iflag_f32_e32 v4, v4
	s_wait_alu 0xfffe
	s_xor_b64 s[6:7], s[0:1], 0
	s_lshl_b32 s0, ttmp9, 6
	v_ashrrev_i32_e32 v2, 31, v1
	s_wait_alu 0xfffe
	s_cvt_f32_u32 s1, s6
	s_cvt_f32_u32 s2, s7
	s_add_co_i32 s0, s15, s0
	v_lshl_or_b32 v0, s15, 6, v0
	v_lshlrev_b64_e32 v[1:2], 2, v[1:2]
	s_wait_alu 0xfffe
	s_fmamk_f32 s2, s2, 0x4f800000, s1
	s_ashr_i32 s1, s0, 31
	s_sub_nc_u64 s[30:31], 0, s[6:7]
	s_wait_alu 0xfffe
	s_lshl_b64 s[0:1], s[0:1], 3
	v_s_rcp_f32 s2, s2
	s_wait_kmcnt 0x0
	v_add_co_u32 v1, vcc_lo, s8, v1
	s_delay_alu instid0(VALU_DEP_1)
	v_add_co_ci_u32_e64 v2, null, s9, v2, vcc_lo
	s_wait_alu 0xfffe
	s_add_nc_u64 s[0:1], s[10:11], s[0:1]
	s_mov_b32 s8, 0
	s_load_b64 s[26:27], s[0:1], 0x0
	global_load_b32 v3, v[1:2], off
	s_mul_f32 s2, s2, 0x5f7ffffc
	v_mul_f32_e32 v4, 0x4f7ffffe, v4
	s_lshl_b32 s0, s16, 8
	s_wait_alu 0xfffe
	s_mul_f32 s1, s2, 0x2f800000
	s_wait_alu 0xfffe
	s_delay_alu instid0(SALU_CYCLE_2)
	s_trunc_f32 s3, s1
	s_mov_b32 s1, s8
	s_wait_alu 0xfffe
	s_lshl_b64 s[0:1], s[0:1], 2
	s_fmamk_f32 s2, s3, 0xcf800000, s2
	s_cvt_u32_f32 s29, s3
	s_wait_alu 0xfffe
	s_add_nc_u64 s[24:25], s[10:11], s[0:1]
	s_cvt_u32_f32 s28, s2
	s_wait_kmcnt 0x0
	v_mov_b32_e32 v5, s27
	v_cvt_u32_f32_e32 v4, v4
.LBB20_9:                               ; =>This Inner Loop Header: Depth=1
	s_wait_alu 0xfffe
	s_ashr_i32 s35, s34, 31
	s_mov_b32 s2, -1
	s_wait_alu 0xfffe
	s_mul_u64 s[0:1], s[34:35], s[18:19]
                                        ; implicit-def: $sgpr38_sgpr39
	s_wait_alu 0xfffe
	s_mov_b32 s9, s1
	s_wait_alu 0xfffe
	s_cmp_lg_u64 s[8:9], 0
	s_cbranch_scc0 .LBB20_11
; %bb.10:                               ;   in Loop: Header=BB20_9 Depth=1
	s_mul_u64 s[2:3], s[30:31], s[28:29]
	s_mov_b32 s37, s8
	s_wait_alu 0xfffe
	s_mul_hi_u32 s5, s28, s3
	s_mul_i32 s4, s28, s3
	s_mul_hi_u32 s36, s28, s2
	s_mul_hi_u32 s9, s29, s2
	s_wait_alu 0xfffe
	s_add_nc_u64 s[4:5], s[36:37], s[4:5]
	s_mul_i32 s2, s29, s2
	s_mul_hi_u32 s17, s29, s3
	s_wait_alu 0xfffe
	s_add_co_u32 s2, s4, s2
	s_add_co_ci_u32 s2, s5, s9
	s_add_co_ci_u32 s5, s17, 0
	s_mul_i32 s4, s29, s3
	s_mov_b32 s3, s8
	s_mov_b32 s39, s8
	s_wait_alu 0xfffe
	s_add_nc_u64 s[2:3], s[2:3], s[4:5]
	s_wait_alu 0xfffe
	s_add_co_u32 s2, s28, s2
	s_cselect_b32 s4, -1, 0
	s_wait_alu 0xfffe
	s_cmp_lg_u32 s4, 0
	s_add_co_ci_u32 s3, s29, s3
	s_wait_alu 0xfffe
	s_mul_u64 s[4:5], s[30:31], s[2:3]
	s_wait_alu 0xfffe
	s_mul_hi_u32 s37, s2, s5
	s_mul_i32 s36, s2, s5
	s_mul_hi_u32 s38, s2, s4
	s_mul_hi_u32 s9, s3, s4
	s_mul_i32 s4, s3, s4
	s_wait_alu 0xfffe
	s_add_nc_u64 s[36:37], s[38:39], s[36:37]
	s_mul_hi_u32 s17, s3, s5
	s_wait_alu 0xfffe
	s_add_co_u32 s4, s36, s4
	s_add_co_ci_u32 s4, s37, s9
	s_add_co_ci_u32 s37, s17, 0
	s_mul_i32 s36, s3, s5
	s_mov_b32 s5, s8
	s_wait_alu 0xfffe
	s_add_nc_u64 s[4:5], s[4:5], s[36:37]
	s_mov_b32 s37, s8
	s_wait_alu 0xfffe
	s_add_co_u32 s9, s2, s4
	s_cselect_b32 s2, -1, 0
	s_wait_alu 0xfffe
	s_cmp_lg_u32 s2, 0
	s_add_co_ci_u32 s17, s3, s5
	s_ashr_i32 s2, s1, 31
	s_wait_alu 0xfffe
	s_mov_b32 s3, s2
	s_wait_alu 0xfffe
	s_add_nc_u64 s[4:5], s[0:1], s[2:3]
	s_wait_alu 0xfffe
	s_xor_b64 s[4:5], s[4:5], s[2:3]
	s_wait_alu 0xfffe
	s_mul_hi_u32 s39, s4, s17
	s_mul_i32 s38, s4, s17
	s_mul_hi_u32 s36, s4, s9
	s_mul_i32 s21, s5, s9
	s_wait_alu 0xfffe
	s_add_nc_u64 s[36:37], s[36:37], s[38:39]
	s_mul_hi_u32 s9, s5, s9
	s_mul_hi_u32 s1, s5, s17
	s_wait_alu 0xfffe
	s_add_co_u32 s21, s36, s21
	s_add_co_ci_u32 s36, s37, s9
	s_add_co_ci_u32 s39, s1, 0
	s_mul_i32 s38, s5, s17
	s_mov_b32 s37, s8
	s_wait_alu 0xfffe
	s_add_nc_u64 s[36:37], s[36:37], s[38:39]
	s_wait_alu 0xfffe
	s_mul_u64 s[38:39], s[6:7], s[36:37]
	s_add_nc_u64 s[40:41], s[36:37], 1
	s_sub_co_u32 s1, s4, s38
	s_cselect_b32 s4, -1, 0
	s_sub_co_i32 s9, s5, s39
	s_wait_alu 0xfffe
	s_cmp_lg_u32 s4, 0
	s_add_nc_u64 s[42:43], s[36:37], 2
	s_sub_co_ci_u32 s9, s9, s7
	s_sub_co_u32 s17, s1, s6
	s_cselect_b32 s21, -1, 0
	s_delay_alu instid0(SALU_CYCLE_1)
	s_cmp_lg_u32 s21, 0
	s_wait_alu 0xfffe
	s_sub_co_ci_u32 s9, s9, 0
	s_wait_alu 0xfffe
	s_cmp_ge_u32 s9, s7
	s_cselect_b32 s21, -1, 0
	s_cmp_ge_u32 s17, s6
	s_cselect_b32 s17, -1, 0
	s_cmp_eq_u32 s9, s7
	s_wait_alu 0xfffe
	s_cselect_b32 s9, s17, s21
	s_wait_alu 0xfffe
	s_cmp_lg_u32 s9, 0
	s_cselect_b32 s9, s42, s40
	s_cselect_b32 s17, s43, s41
	s_cmp_lg_u32 s4, 0
	s_sub_co_ci_u32 s4, s5, s39
	s_wait_alu 0xfffe
	s_cmp_ge_u32 s4, s7
	s_cselect_b32 s5, -1, 0
	s_cmp_ge_u32 s1, s6
	s_cselect_b32 s1, -1, 0
	s_cmp_eq_u32 s4, s7
	s_wait_alu 0xfffe
	s_cselect_b32 s1, s1, s5
	s_wait_alu 0xfffe
	s_cmp_lg_u32 s1, 0
	s_cselect_b32 s5, s17, s37
	s_cselect_b32 s4, s9, s36
	s_xor_b64 s[2:3], s[2:3], 0
	s_wait_alu 0xfffe
	s_xor_b64 s[4:5], s[4:5], s[2:3]
	s_wait_alu 0xfffe
	s_sub_nc_u64 s[38:39], s[4:5], s[2:3]
	s_mov_b32 s2, 0
.LBB20_11:                              ;   in Loop: Header=BB20_9 Depth=1
	s_wait_alu 0xfffe
	s_and_not1_b32 vcc_lo, exec_lo, s2
	s_wait_alu 0xfffe
	s_cbranch_vccnz .LBB20_13
; %bb.12:                               ;   in Loop: Header=BB20_9 Depth=1
	v_readfirstlane_b32 s1, v4
	s_sub_co_i32 s2, 0, s16
	s_wait_alu 0xfffe
	s_mul_i32 s2, s2, s1
	s_wait_alu 0xfffe
	s_mul_hi_u32 s2, s1, s2
	s_wait_alu 0xfffe
	s_add_co_i32 s1, s1, s2
	s_wait_alu 0xfffe
	s_mul_hi_u32 s1, s0, s1
	s_wait_alu 0xfffe
	s_mul_i32 s2, s1, s16
	s_wait_alu 0xfffe
	s_sub_co_i32 s0, s0, s2
	s_add_co_i32 s2, s1, 1
	s_wait_alu 0xfffe
	s_sub_co_i32 s3, s0, s16
	s_cmp_ge_u32 s0, s16
	s_cselect_b32 s1, s2, s1
	s_wait_alu 0xfffe
	s_cselect_b32 s0, s3, s0
	s_add_co_i32 s2, s1, 1
	s_wait_alu 0xfffe
	s_cmp_ge_u32 s0, s16
	s_cselect_b32 s38, s2, s1
.LBB20_13:                              ;   in Loop: Header=BB20_9 Depth=1
	v_readfirstlane_b32 s9, v0
	s_cmp_lg_u32 s20, s38
	s_mov_b32 s0, -1
                                        ; implicit-def: $sgpr21
                                        ; implicit-def: $vgpr6
                                        ; implicit-def: $vgpr7
                                        ; implicit-def: $sgpr17
                                        ; implicit-def: $sgpr27
	s_cbranch_scc1 .LBB20_16
; %bb.14:                               ;   in Loop: Header=BB20_9 Depth=1
	s_wait_alu 0xfffe
	s_and_not1_b32 vcc_lo, exec_lo, s0
	s_wait_alu 0xfffe
	s_cbranch_vccz .LBB20_19
.LBB20_15:                              ;   in Loop: Header=BB20_9 Depth=1
	s_and_not1_b32 vcc_lo, exec_lo, s21
	s_wait_alu 0xfffe
	s_cbranch_vccnz .LBB20_20
	s_branch .LBB20_23
.LBB20_16:                              ;   in Loop: Header=BB20_9 Depth=1
	s_add_co_i32 s0, s34, s16
	s_mov_b32 s1, s8
	s_wait_alu 0xfffe
	s_lshl_b32 s0, s0, 6
	v_max_num_f32_e64 v6, s26, s26
	s_wait_alu 0xfffe
	s_add_co_i32 s0, s0, s15
	s_mov_b32 s39, s8
	s_wait_alu 0xfffe
	s_lshl_b64 s[0:1], s[0:1], 3
	s_mul_u64 s[40:41], s[38:39], s[22:23]
	s_wait_alu 0xfffe
	s_add_nc_u64 s[0:1], s[10:11], s[0:1]
	s_mov_b32 s27, s20
	s_load_b64 s[36:37], s[0:1], 0x0
	v_readfirstlane_b32 s0, v6
	s_wait_kmcnt 0x0
	v_max_num_f32_e64 v7, s36, s36
	s_delay_alu instid0(VALU_DEP_1) | instskip(SKIP_2) | instid1(SALU_CYCLE_2)
	v_readfirstlane_b32 s1, v7
	s_max_num_f32 s9, s0, s1
	s_wait_alu 0xfffe
	s_sub_f32 s33, s26, s9
	s_sub_f32 s35, s36, s9
	s_wait_alu 0xfffe
	s_delay_alu instid0(SALU_CYCLE_1)
	s_cmp_nlt_f32 s33, 0xc2ce8ed0
	s_cselect_b32 s0, -1, 0
	s_cmp_ngt_f32 s33, 0x42b17218
	s_cselect_b32 s1, -1, 0
	s_cmp_ge_f32 s33, 0xc1a00000
	s_cselect_b32 s2, -1, 0
	s_cmp_nlt_f32 s35, 0xc2ce8ed0
	s_cselect_b32 s3, -1, 0
	s_cmp_ngt_f32 s35, 0x42b17218
	s_cselect_b32 s4, -1, 0
	s_cmp_ge_f32 s35, 0xc1a00000
	s_cselect_b32 s5, -1, 0
	s_add_co_i32 s17, s41, s38
	s_wait_alu 0xfffe
	s_lshr_b32 s17, s17, s13
	s_wait_alu 0xfffe
	s_mul_i32 s21, s17, s14
	s_delay_alu instid0(SALU_CYCLE_1)
	s_cmp_eq_u32 s21, s38
	s_cselect_b32 s21, -1, 0
	s_cmp_lt_u32 s17, s12
	s_cselect_b32 s17, -1, 0
	s_wait_alu 0xfffe
	s_or_b32 s17, s17, s21
	s_mov_b32 s21, -1
	s_wait_alu 0xfffe
	s_and_b32 vcc_lo, exec_lo, s17
	s_mov_b32 s17, s34
	s_wait_alu 0xfffe
	s_cbranch_vccnz .LBB20_18
; %bb.17:                               ;   in Loop: Header=BB20_9 Depth=1
	s_add_co_i32 s17, s34, -1
	s_mov_b32 s21, 0
	s_mov_b32 s27, s38
.LBB20_18:                              ;   in Loop: Header=BB20_9 Depth=1
	v_lshl_add_u32 v6, s34, 12, v0
	s_mul_f32 s36, s35, 0x3fb8aa3b
	s_mul_f32 s38, s33, 0x3fb8aa3b
	s_wait_alu 0xfffe
	s_delay_alu instid0(SALU_CYCLE_1)
	s_xor_b32 s39, s36, 0x80000000
	v_ashrrev_i32_e32 v7, 31, v6
	s_rndne_f32 s40, s36
	s_fmamk_f32 s39, s35, 0x3fb8aa3b, s39
	s_xor_b32 s41, s38, 0x80000000
	s_rndne_f32 s42, s38
	v_lshlrev_b64_e32 v[6:7], 2, v[6:7]
	s_sub_f32 s36, s36, s40
	s_fmamk_f32 s35, s35, 0x32a5705f, s39
	s_fmamk_f32 s39, s33, 0x3fb8aa3b, s41
	s_sub_f32 s38, s38, s42
	s_delay_alu instid0(VALU_DEP_1)
	v_add_co_u32 v6, vcc_lo, s24, v6
	s_wait_alu 0xfffd
	v_add_co_ci_u32_e64 v7, null, s25, v7, vcc_lo
	s_wait_alu 0xfffe
	s_add_f32 s35, s36, s35
	s_fmamk_f32 s33, s33, 0x32a5705f, s39
	s_cvt_i32_f32 s36, s40
	global_load_b32 v6, v[6:7], off
	s_wait_alu 0xfffe
	v_s_exp_f32 s35, s35
	s_add_f32 s33, s38, s33
	s_wait_alu 0xfffe
	s_delay_alu instid0(SALU_CYCLE_2) | instskip(NEXT) | instid1(TRANS32_DEP_2)
	v_s_exp_f32 s33, s33
	v_ldexp_f32 v7, s35, s36
	s_cvt_i32_f32 s35, s42
	s_wait_alu 0xf1fe
	s_delay_alu instid0(TRANS32_DEP_1) | instid1(SALU_CYCLE_2)
	v_ldexp_f32 v8, s33, s35
	s_delay_alu instid0(VALU_DEP_2) | instskip(NEXT) | instid1(VALU_DEP_2)
	v_cndmask_b32_e64 v7, 0, v7, s3
	v_cndmask_b32_e64 v8, 0, v8, s0
	s_delay_alu instid0(VALU_DEP_2) | instskip(NEXT) | instid1(VALU_DEP_2)
	v_cndmask_b32_e64 v7, 0x7f800000, v7, s4
	v_cndmask_b32_e64 v8, 0x7f800000, v8, s1
	;; [unrolled: 3-line block ×3, first 2 shown]
	s_wait_loadcnt 0x0
	s_delay_alu instid0(VALU_DEP_2) | instskip(SKIP_1) | instid1(VALU_DEP_1)
	v_mul_f32_e32 v6, v6, v7
	v_mul_f32_e32 v7, s37, v7
	v_fmac_f32_e32 v7, v5, v8
	s_delay_alu instid0(VALU_DEP_3)
	v_fmac_f32_e32 v6, v3, v8
	s_cbranch_execnz .LBB20_15
.LBB20_19:                              ;   in Loop: Header=BB20_9 Depth=1
	s_wait_loadcnt 0x0
	v_dual_mov_b32 v7, v5 :: v_dual_mov_b32 v6, v3
	s_add_co_i32 s17, s34, -1
	s_mov_b32 s27, s20
	s_mov_b32 s9, s26
	s_cbranch_execz .LBB20_23
.LBB20_20:                              ;   in Loop: Header=BB20_9 Depth=1
	v_mov_b32_e32 v5, v7
	s_wait_loadcnt 0x0
	v_mov_b32_e32 v3, v6
	s_wait_alu 0xfffe
	s_mov_b32 s20, s27
	s_mov_b32 s34, s17
	;; [unrolled: 1-line block ×3, first 2 shown]
	s_branch .LBB20_9
.LBB20_21:
                                        ; implicit-def: $sgpr20_sgpr21
	s_branch .LBB20_2
.LBB20_22:
                                        ; implicit-def: $sgpr10_sgpr11
	s_load_b96 s[12:14], s[0:1], 0x44
	s_branch .LBB20_5
.LBB20_23:
	v_div_scale_f32 v0, null, v7, v7, v6
	s_wait_loadcnt 0x0
	s_delay_alu instid0(VALU_DEP_1) | instskip(NEXT) | instid1(TRANS32_DEP_1)
	v_rcp_f32_e32 v3, v0
	v_fma_f32 v4, -v0, v3, 1.0
	s_delay_alu instid0(VALU_DEP_1) | instskip(SKIP_1) | instid1(VALU_DEP_1)
	v_fmac_f32_e32 v3, v4, v3
	v_div_scale_f32 v4, vcc_lo, v6, v7, v6
	v_mul_f32_e32 v5, v4, v3
	s_delay_alu instid0(VALU_DEP_1) | instskip(NEXT) | instid1(VALU_DEP_1)
	v_fma_f32 v8, -v0, v5, v4
	v_fmac_f32_e32 v5, v8, v3
	s_delay_alu instid0(VALU_DEP_1) | instskip(SKIP_1) | instid1(VALU_DEP_1)
	v_fma_f32 v0, -v0, v5, v4
	s_wait_alu 0xfffd
	v_div_fmas_f32 v0, v0, v3, v5
	s_delay_alu instid0(VALU_DEP_1)
	v_div_fixup_f32 v0, v0, v7, v6
	global_store_b32 v[1:2], v0, off
.LBB20_24:
	s_endpgm
	.section	.rodata,"a",@progbits
	.p2align	6, 0x0
	.amdhsa_kernel _ZL33flash_attn_stream_k_fixup_generalILi64ELi16ELi4EEvPfPK15HIP_vector_typeIfLj2EEiiiiS1_IjLj3EES5_S5_S5_
		.amdhsa_group_segment_fixed_size 0
		.amdhsa_private_segment_fixed_size 0
		.amdhsa_kernarg_size 336
		.amdhsa_user_sgpr_count 2
		.amdhsa_user_sgpr_dispatch_ptr 0
		.amdhsa_user_sgpr_queue_ptr 0
		.amdhsa_user_sgpr_kernarg_segment_ptr 1
		.amdhsa_user_sgpr_dispatch_id 0
		.amdhsa_user_sgpr_private_segment_size 0
		.amdhsa_wavefront_size32 1
		.amdhsa_uses_dynamic_stack 0
		.amdhsa_enable_private_segment 0
		.amdhsa_system_sgpr_workgroup_id_x 1
		.amdhsa_system_sgpr_workgroup_id_y 1
		.amdhsa_system_sgpr_workgroup_id_z 1
		.amdhsa_system_sgpr_workgroup_info 0
		.amdhsa_system_vgpr_workitem_id 0
		.amdhsa_next_free_vgpr 9
		.amdhsa_next_free_sgpr 44
		.amdhsa_reserve_vcc 1
		.amdhsa_float_round_mode_32 0
		.amdhsa_float_round_mode_16_64 0
		.amdhsa_float_denorm_mode_32 3
		.amdhsa_float_denorm_mode_16_64 3
		.amdhsa_fp16_overflow 0
		.amdhsa_workgroup_processor_mode 1
		.amdhsa_memory_ordered 1
		.amdhsa_forward_progress 1
		.amdhsa_inst_pref_size 28
		.amdhsa_round_robin_scheduling 0
		.amdhsa_exception_fp_ieee_invalid_op 0
		.amdhsa_exception_fp_denorm_src 0
		.amdhsa_exception_fp_ieee_div_zero 0
		.amdhsa_exception_fp_ieee_overflow 0
		.amdhsa_exception_fp_ieee_underflow 0
		.amdhsa_exception_fp_ieee_inexact 0
		.amdhsa_exception_int_div_zero 0
	.end_amdhsa_kernel
	.section	.text._ZL33flash_attn_stream_k_fixup_generalILi64ELi16ELi4EEvPfPK15HIP_vector_typeIfLj2EEiiiiS1_IjLj3EES5_S5_S5_,"axG",@progbits,_ZL33flash_attn_stream_k_fixup_generalILi64ELi16ELi4EEvPfPK15HIP_vector_typeIfLj2EEiiiiS1_IjLj3EES5_S5_S5_,comdat
.Lfunc_end20:
	.size	_ZL33flash_attn_stream_k_fixup_generalILi64ELi16ELi4EEvPfPK15HIP_vector_typeIfLj2EEiiiiS1_IjLj3EES5_S5_S5_, .Lfunc_end20-_ZL33flash_attn_stream_k_fixup_generalILi64ELi16ELi4EEvPfPK15HIP_vector_typeIfLj2EEiiiiS1_IjLj3EES5_S5_S5_
                                        ; -- End function
	.set _ZL33flash_attn_stream_k_fixup_generalILi64ELi16ELi4EEvPfPK15HIP_vector_typeIfLj2EEiiiiS1_IjLj3EES5_S5_S5_.num_vgpr, 9
	.set _ZL33flash_attn_stream_k_fixup_generalILi64ELi16ELi4EEvPfPK15HIP_vector_typeIfLj2EEiiiiS1_IjLj3EES5_S5_S5_.num_agpr, 0
	.set _ZL33flash_attn_stream_k_fixup_generalILi64ELi16ELi4EEvPfPK15HIP_vector_typeIfLj2EEiiiiS1_IjLj3EES5_S5_S5_.numbered_sgpr, 44
	.set _ZL33flash_attn_stream_k_fixup_generalILi64ELi16ELi4EEvPfPK15HIP_vector_typeIfLj2EEiiiiS1_IjLj3EES5_S5_S5_.num_named_barrier, 0
	.set _ZL33flash_attn_stream_k_fixup_generalILi64ELi16ELi4EEvPfPK15HIP_vector_typeIfLj2EEiiiiS1_IjLj3EES5_S5_S5_.private_seg_size, 0
	.set _ZL33flash_attn_stream_k_fixup_generalILi64ELi16ELi4EEvPfPK15HIP_vector_typeIfLj2EEiiiiS1_IjLj3EES5_S5_S5_.uses_vcc, 1
	.set _ZL33flash_attn_stream_k_fixup_generalILi64ELi16ELi4EEvPfPK15HIP_vector_typeIfLj2EEiiiiS1_IjLj3EES5_S5_S5_.uses_flat_scratch, 0
	.set _ZL33flash_attn_stream_k_fixup_generalILi64ELi16ELi4EEvPfPK15HIP_vector_typeIfLj2EEiiiiS1_IjLj3EES5_S5_S5_.has_dyn_sized_stack, 0
	.set _ZL33flash_attn_stream_k_fixup_generalILi64ELi16ELi4EEvPfPK15HIP_vector_typeIfLj2EEiiiiS1_IjLj3EES5_S5_S5_.has_recursion, 0
	.set _ZL33flash_attn_stream_k_fixup_generalILi64ELi16ELi4EEvPfPK15HIP_vector_typeIfLj2EEiiiiS1_IjLj3EES5_S5_S5_.has_indirect_call, 0
	.section	.AMDGPU.csdata,"",@progbits
; Kernel info:
; codeLenInByte = 3548
; TotalNumSgprs: 46
; NumVgprs: 9
; ScratchSize: 0
; MemoryBound: 0
; FloatMode: 240
; IeeeMode: 1
; LDSByteSize: 0 bytes/workgroup (compile time only)
; SGPRBlocks: 0
; VGPRBlocks: 1
; NumSGPRsForWavesPerEU: 46
; NumVGPRsForWavesPerEU: 9
; Occupancy: 16
; WaveLimiterHint : 0
; COMPUTE_PGM_RSRC2:SCRATCH_EN: 0
; COMPUTE_PGM_RSRC2:USER_SGPR: 2
; COMPUTE_PGM_RSRC2:TRAP_HANDLER: 0
; COMPUTE_PGM_RSRC2:TGID_X_EN: 1
; COMPUTE_PGM_RSRC2:TGID_Y_EN: 1
; COMPUTE_PGM_RSRC2:TGID_Z_EN: 1
; COMPUTE_PGM_RSRC2:TIDIG_COMP_CNT: 0
	.section	.text._ZL15flash_attn_tileILi64ELi64ELi8ELi4ELb0EEvPKcS1_S1_S1_S1_PKiPfP15HIP_vector_typeIfLj2EEffffjfiS5_IjLj3EEiiiiiiiiiiiliiliiiiil,"axG",@progbits,_ZL15flash_attn_tileILi64ELi64ELi8ELi4ELb0EEvPKcS1_S1_S1_S1_PKiPfP15HIP_vector_typeIfLj2EEffffjfiS5_IjLj3EEiiiiiiiiiiiliiliiiiil,comdat
	.globl	_ZL15flash_attn_tileILi64ELi64ELi8ELi4ELb0EEvPKcS1_S1_S1_S1_PKiPfP15HIP_vector_typeIfLj2EEffffjfiS5_IjLj3EEiiiiiiiiiiiliiliiiiil ; -- Begin function _ZL15flash_attn_tileILi64ELi64ELi8ELi4ELb0EEvPKcS1_S1_S1_S1_PKiPfP15HIP_vector_typeIfLj2EEffffjfiS5_IjLj3EEiiiiiiiiiiiliiliiiiil
	.p2align	8
	.type	_ZL15flash_attn_tileILi64ELi64ELi8ELi4ELb0EEvPKcS1_S1_S1_S1_PKiPfP15HIP_vector_typeIfLj2EEffffjfiS5_IjLj3EEiiiiiiiiiiiliiliiiiil,@function
_ZL15flash_attn_tileILi64ELi64ELi8ELi4ELb0EEvPKcS1_S1_S1_S1_PKiPfP15HIP_vector_typeIfLj2EEffffjfiS5_IjLj3EEiiiiiiiiiiiliiliiiiil: ; @_ZL15flash_attn_tileILi64ELi64ELi8ELi4ELb0EEvPKcS1_S1_S1_S1_PKiPfP15HIP_vector_typeIfLj2EEffffjfiS5_IjLj3EEiiiiiiiiiiiliiliiiiil
; %bb.0:
	s_clause 0x1
	s_load_b128 s[20:23], s[0:1], 0x5c
	s_load_b64 s[30:31], s[0:1], 0x80
	s_lshr_b32 s5, ttmp7, 16
	s_load_b64 s[38:39], s[0:1], 0xb8
	s_mov_b32 s37, 0
	s_mov_b64 s[34:35], 0
	s_wait_kmcnt 0x0
	s_ashr_i32 s2, s23, 31
	s_delay_alu instid0(SALU_CYCLE_1) | instskip(NEXT) | instid1(SALU_CYCLE_1)
	s_lshr_b32 s2, s2, 30
	s_add_co_i32 s2, s23, s2
	s_delay_alu instid0(SALU_CYCLE_1) | instskip(NEXT) | instid1(SALU_CYCLE_1)
	s_ashr_i32 s2, s2, 2
	s_cvt_f32_u32 s3, s2
	s_sub_co_i32 s4, 0, s2
	s_delay_alu instid0(SALU_CYCLE_2) | instskip(NEXT) | instid1(TRANS32_DEP_1)
	v_rcp_iflag_f32_e32 v1, s3
	v_readfirstlane_b32 s3, v1
	s_mul_f32 s3, s3, 0x4f7ffffe
	s_wait_alu 0xfffe
	s_delay_alu instid0(SALU_CYCLE_2) | instskip(SKIP_1) | instid1(SALU_CYCLE_2)
	s_cvt_u32_f32 s3, s3
	s_wait_alu 0xfffe
	s_mul_i32 s4, s4, s3
	s_delay_alu instid0(SALU_CYCLE_1) | instskip(NEXT) | instid1(SALU_CYCLE_1)
	s_mul_hi_u32 s4, s3, s4
	s_add_co_i32 s3, s3, s4
	s_wait_alu 0xfffe
	s_mul_hi_u32 s3, s5, s3
	s_wait_alu 0xfffe
	s_mul_i32 s4, s3, s2
	s_add_co_i32 s6, s3, 1
	s_sub_co_i32 s4, s5, s4
	s_delay_alu instid0(SALU_CYCLE_1)
	s_sub_co_i32 s7, s4, s2
	s_cmp_ge_u32 s4, s2
	s_cselect_b32 s3, s6, s3
	s_cselect_b32 s4, s7, s4
	s_wait_alu 0xfffe
	s_add_co_i32 s6, s3, 1
	s_cmp_ge_u32 s4, s2
	s_cselect_b32 s28, s6, s3
	s_abs_i32 s3, s31
	s_abs_i32 s7, s23
	s_wait_alu 0xfffe
	s_cvt_f32_u32 s2, s3
	s_sub_co_i32 s4, 0, s3
	s_lshl_b32 s5, s5, 2
	s_mul_i32 s6, s28, s23
	s_wait_alu 0xfffe
	v_rcp_iflag_f32_e32 v1, s2
	s_delay_alu instid0(TRANS32_DEP_1) | instskip(SKIP_2) | instid1(SALU_CYCLE_2)
	v_readfirstlane_b32 s2, v1
	s_mul_f32 s2, s2, 0x4f7ffffe
	s_wait_alu 0xfffe
	s_cvt_u32_f32 s2, s2
	s_wait_alu 0xfffe
	s_delay_alu instid0(SALU_CYCLE_2) | instskip(NEXT) | instid1(SALU_CYCLE_1)
	s_mul_i32 s4, s4, s2
	s_mul_hi_u32 s4, s2, s4
	s_delay_alu instid0(SALU_CYCLE_1)
	s_add_co_i32 s4, s2, s4
	s_sub_co_i32 s2, s5, s6
	s_mul_hi_u32 s4, s7, s4
	s_xor_b32 s5, s23, s31
	s_mul_i32 s6, s4, s3
	s_ashr_i32 s24, s5, 31
	s_sub_co_i32 s5, s7, s6
	s_add_co_i32 s6, s4, 1
	s_sub_co_i32 s7, s5, s3
	s_cmp_ge_u32 s5, s3
	s_cselect_b32 s4, s6, s4
	s_cselect_b32 s5, s7, s5
	s_add_co_i32 s6, s4, 1
	s_cmp_ge_u32 s5, s3
	s_cselect_b32 s3, s6, s4
	s_load_b512 s[4:19], s[0:1], 0x0
	s_xor_b32 s3, s3, s24
	s_wait_alu 0xfffe
	s_sub_co_i32 s33, s3, s24
	s_delay_alu instid0(SALU_CYCLE_1) | instskip(SKIP_2) | instid1(SALU_CYCLE_3)
	s_abs_i32 s3, s33
	s_wait_alu 0xfffe
	s_cvt_f32_u32 s24, s3
	v_rcp_iflag_f32_e32 v1, s24
	s_wait_kmcnt 0x0
	s_cmp_eq_u64 s[10:11], 0
	s_delay_alu instid0(TRANS32_DEP_1)
	v_readfirstlane_b32 s27, v1
	s_cbranch_scc1 .LBB21_2
; %bb.1:
	s_abs_i32 s26, s38
	s_delay_alu instid0(SALU_CYCLE_1) | instskip(SKIP_1) | instid1(SALU_CYCLE_2)
	s_cvt_f32_u32 s24, s26
	s_wait_alu 0xfffe
	v_rcp_iflag_f32_e32 v1, s24
	s_delay_alu instid0(TRANS32_DEP_1) | instskip(SKIP_2) | instid1(SALU_CYCLE_2)
	v_readfirstlane_b32 s24, v1
	s_mul_f32 s24, s24, 0x4f7ffffe
	s_wait_alu 0xfffe
	s_cvt_u32_f32 s29, s24
	s_sub_co_i32 s24, 0, s26
	s_wait_alu 0xfffe
	s_delay_alu instid0(SALU_CYCLE_1) | instskip(SKIP_4) | instid1(SALU_CYCLE_1)
	s_mul_i32 s24, s24, s29
	s_wait_alu 0xfffe
	s_mul_hi_u32 s31, s29, s24
	s_load_b64 s[24:25], s[0:1], 0xc8
	s_add_co_i32 s29, s29, s31
	s_mul_hi_u32 s29, s28, s29
	s_delay_alu instid0(SALU_CYCLE_1) | instskip(NEXT) | instid1(SALU_CYCLE_1)
	s_mul_i32 s29, s29, s26
	s_sub_co_i32 s29, s28, s29
	s_delay_alu instid0(SALU_CYCLE_1) | instskip(SKIP_2) | instid1(SALU_CYCLE_1)
	s_sub_co_i32 s31, s29, s26
	s_cmp_ge_u32 s29, s26
	s_cselect_b32 s29, s31, s29
	s_sub_co_i32 s31, s29, s26
	s_cmp_ge_u32 s29, s26
	s_cselect_b32 s34, s31, s29
	s_delay_alu instid0(SALU_CYCLE_1)
	s_ashr_i32 s35, s34, 31
	s_wait_kmcnt 0x0
	s_mul_u64 s[24:25], s[24:25], s[34:35]
	s_wait_alu 0xfffe
	s_add_nc_u64 s[34:35], s[10:11], s[24:25]
.LBB21_2:
	v_bfe_u32 v1, v0, 10, 10
	s_lshl_b32 s31, ttmp9, 3
	v_and_b32_e32 v40, 0x3ff, v0
	s_load_b96 s[24:26], s[0:1], 0x70
	s_delay_alu instid0(VALU_DEP_2) | instskip(SKIP_1) | instid1(VALU_DEP_3)
	v_lshlrev_b32_e32 v41, 1, v1
	v_lshlrev_b32_e32 v0, 3, v1
	;; [unrolled: 1-line block ×3, first 2 shown]
	s_delay_alu instid0(VALU_DEP_3) | instskip(NEXT) | instid1(VALU_DEP_3)
	v_add_nc_u32_e32 v42, s31, v41
	v_or_b32_e32 v23, 4, v0
	v_or_b32_e32 v24, 5, v0
	;; [unrolled: 1-line block ×4, first 2 shown]
	v_mul_hi_u32 v2, v42, s20
	v_lshrrev_b32_e32 v38, 2, v23
	v_lshrrev_b32_e32 v36, 2, v24
	;; [unrolled: 1-line block ×4, first 2 shown]
	s_delay_alu instid0(VALU_DEP_4) | instskip(NEXT) | instid1(VALU_DEP_4)
	v_add_nc_u32_e32 v39, s31, v38
	v_add_nc_u32_e32 v37, s31, v36
	;; [unrolled: 1-line block ×3, first 2 shown]
	s_wait_kmcnt 0x0
	s_ashr_i32 s41, s24, 31
	s_mov_b32 s40, s24
	v_mul_hi_u32 v4, v39, s20
	s_lshr_b64 s[44:45], s[40:41], 2
	v_lshrrev_b32_e32 v2, s21, v2
	s_mul_i32 s10, s28, s26
	s_lshr_b32 s26, s41, 2
	s_mul_i32 s42, s2, s25
	s_ashr_i32 s11, s10, 31
	v_mul_lo_u32 v0, v2, s22
	v_add_nc_u32_e32 v4, v39, v4
	s_ashr_i32 s47, s25, 31
	s_mov_b32 s46, s25
	v_add_nc_u32_e32 v35, s31, v33
	s_ashr_i32 s43, s42, 31
	v_lshrrev_b32_e32 v5, s21, v4
	s_add_nc_u64 s[4:5], s[4:5], s[10:11]
	v_sub_nc_u32_e32 v0, v42, v0
	s_lshr_b64 s[48:49], s[46:47], 2
	s_and_b32 s46, s25, -4
	v_mul_lo_u32 v5, v5, s22
	s_add_nc_u64 s[4:5], s[4:5], s[42:43]
	v_mad_co_u64_u32 v[2:3], null, s44, v0, 0
	s_lshl_b64 s[10:11], s[48:49], 3
	s_add_nc_u64 s[40:41], s[4:5], s[46:47]
	v_mul_hi_u32 v12, v35, s20
	s_add_nc_u64 s[10:11], s[4:5], s[10:11]
	v_sub_nc_u32_e32 v13, v39, v5
	v_add_nc_u32_e32 v34, s31, v32
	v_mad_co_u64_u32 v[3:4], null, s26, v0, v[3:4]
	v_mul_hi_u32 v4, v37, s20
	s_mul_u64 s[24:25], s[48:49], 12
	v_add_nc_u32_e32 v15, v35, v12
	s_wait_alu 0xfffe
	s_add_nc_u64 s[24:25], s[4:5], s[24:25]
	v_mul_hi_u32 v16, v34, s20
	s_cmp_eq_u64 s[14:15], 0
	v_lshlrev_b64_e32 v[2:3], 2, v[2:3]
	v_add_nc_u32_e32 v4, v37, v4
	s_delay_alu instid0(VALU_DEP_2) | instskip(NEXT) | instid1(VALU_DEP_1)
	v_add_co_u32 v6, vcc_lo, s4, v2
	v_add_co_ci_u32_e64 v7, null, s5, v3, vcc_lo
	v_add_co_u32 v8, vcc_lo, s40, v2
	s_delay_alu instid0(VALU_DEP_4)
	v_lshrrev_b32_e32 v14, s21, v4
	v_mad_co_u64_u32 v[4:5], null, s44, v13, 0
	s_wait_alu 0xfffd
	v_add_co_ci_u32_e64 v9, null, s41, v3, vcc_lo
	v_add_co_u32 v10, vcc_lo, s10, v2
	s_wait_alu 0xfffd
	v_add_co_ci_u32_e64 v11, null, s11, v3, vcc_lo
	v_add_co_u32 v6, vcc_lo, v6, v22
	;; [unrolled: 3-line block ×3, first 2 shown]
	s_delay_alu instid0(VALU_DEP_3)
	v_mad_co_u64_u32 v[12:13], null, s26, v13, v[5:6]
	s_wait_alu 0xfffd
	v_add_co_ci_u32_e64 v9, null, 0, v9, vcc_lo
	v_add_co_u32 v10, vcc_lo, v10, v22
	v_mul_lo_u32 v14, v14, s22
	s_wait_alu 0xfffd
	v_add_co_ci_u32_e64 v11, null, 0, v11, vcc_lo
	v_lshrrev_b32_e32 v13, s21, v15
	s_wait_alu 0xfffe
	v_add_co_u32 v15, vcc_lo, s24, v2
	s_wait_alu 0xfffd
	v_add_co_ci_u32_e64 v17, null, s25, v3, vcc_lo
	v_mov_b32_e32 v5, v12
	s_delay_alu instid0(VALU_DEP_3)
	v_add_co_u32 v12, vcc_lo, v15, v22
	v_sub_nc_u32_e32 v18, v37, v14
	v_add_nc_u32_e32 v14, v34, v16
	v_mul_lo_u32 v16, v13, s22
	s_wait_alu 0xfffd
	v_add_co_ci_u32_e64 v13, null, 0, v17, vcc_lo
	s_clause 0x3
	global_load_b64 v[6:7], v[6:7], off
	global_load_b64 v[8:9], v[8:9], off
	;; [unrolled: 1-line block ×4, first 2 shown]
	v_lshrrev_b32_e32 v14, s21, v14
	v_mad_co_u64_u32 v[2:3], null, s44, v18, 0
	v_lshlrev_b64_e32 v[4:5], 2, v[4:5]
	v_sub_nc_u32_e32 v20, v35, v16
	s_delay_alu instid0(VALU_DEP_4) | instskip(NEXT) | instid1(VALU_DEP_2)
	v_mul_lo_u32 v16, v14, s22
	v_mad_co_u64_u32 v[14:15], null, s44, v20, 0
	s_delay_alu instid0(VALU_DEP_4) | instskip(NEXT) | instid1(VALU_DEP_3)
	v_add_co_u32 v19, vcc_lo, s4, v4
	v_sub_nc_u32_e32 v21, v34, v16
	v_mad_co_u64_u32 v[3:4], null, s26, v18, v[3:4]
	s_wait_alu 0xfffd
	v_add_co_ci_u32_e64 v5, null, s5, v5, vcc_lo
	s_delay_alu instid0(VALU_DEP_3) | instskip(SKIP_4) | instid1(VALU_DEP_3)
	v_mad_co_u64_u32 v[16:17], null, s44, v21, 0
	v_mov_b32_e32 v4, v15
	v_add_co_u32 v18, vcc_lo, v19, v22
	s_wait_alu 0xfffd
	v_add_co_ci_u32_e64 v19, null, 0, v5, vcc_lo
	v_mad_co_u64_u32 v[4:5], null, s26, v20, v[4:5]
	v_mov_b32_e32 v5, v17
	v_lshlrev_b64_e32 v[2:3], 2, v[2:3]
	global_load_b64 v[18:19], v[18:19], off
	s_load_b32 s4, s[0:1], 0x40
	v_mov_b32_e32 v15, v4
	v_add_co_u32 v4, vcc_lo, s40, v2
	s_wait_loadcnt 0x4
	v_mad_co_u64_u32 v[20:21], null, s26, v21, v[5:6]
	s_wait_alu 0xfffd
	v_add_co_ci_u32_e64 v5, null, s41, v3, vcc_lo
	v_lshlrev_b64_e32 v[2:3], 2, v[14:15]
	v_add_co_u32 v4, vcc_lo, v4, v22
	s_wait_alu 0xfffd
	s_delay_alu instid0(VALU_DEP_3) | instskip(SKIP_1) | instid1(VALU_DEP_4)
	v_add_co_ci_u32_e64 v5, null, 0, v5, vcc_lo
	v_mov_b32_e32 v17, v20
	v_add_co_u32 v2, vcc_lo, s10, v2
	s_wait_alu 0xfffd
	v_add_co_ci_u32_e64 v3, null, s11, v3, vcc_lo
	s_delay_alu instid0(VALU_DEP_3)
	v_lshlrev_b64_e32 v[14:15], 2, v[16:17]
	s_wait_kmcnt 0x0
	v_fma_mixlo_f16 v6, s4, v6, 0
	v_fma_mixlo_f16 v7, s4, v7, 0
	s_wait_loadcnt 0x3
	v_fma_mixlo_f16 v8, s4, v8, 0
	v_fma_mixlo_f16 v9, s4, v9, 0
	s_wait_loadcnt 0x2
	v_fma_mixlo_f16 v10, s4, v10, 0
	v_add_co_u32 v14, vcc_lo, s24, v14
	s_wait_alu 0xfffd
	v_add_co_ci_u32_e64 v15, null, s25, v15, vcc_lo
	v_add_co_u32 v2, vcc_lo, v2, v22
	s_wait_alu 0xfffd
	v_add_co_ci_u32_e64 v3, null, 0, v3, vcc_lo
	;; [unrolled: 3-line block ×3, first 2 shown]
	s_clause 0x2
	global_load_b64 v[4:5], v[4:5], off
	global_load_b64 v[16:17], v[2:3], off
	;; [unrolled: 1-line block ×3, first 2 shown]
	v_fma_mixlo_f16 v11, s4, v11, 0
	s_wait_loadcnt 0x4
	v_fma_mixlo_f16 v12, s4, v12, 0
	v_fma_mixlo_f16 v13, s4, v13, 0
	v_lshlrev_b32_e32 v7, 16, v7
	v_and_b32_e32 v6, 0xffff, v6
	v_lshlrev_b32_e32 v9, 16, v9
	v_and_b32_e32 v8, 0xffff, v8
	;; [unrolled: 2-line block ×4, first 2 shown]
	v_lshl_add_u32 v3, v40, 2, 0x3400
	v_lshlrev_b32_e32 v2, 10, v1
	v_or_b32_e32 v6, v7, v6
	v_or_b32_e32 v7, v9, v8
	;; [unrolled: 1-line block ×3, first 2 shown]
	s_wait_loadcnt 0x3
	v_fma_mixlo_f16 v10, s4, v18, 0
	v_fma_mixlo_f16 v11, s4, v19, 0
	v_or_b32_e32 v9, v13, v12
	v_add_nc_u32_e32 v20, v3, v2
	v_lshl_add_u32 v21, v23, 7, v3
	v_and_b32_e32 v10, 0xffff, v10
	v_lshlrev_b32_e32 v11, 16, v11
	v_lshl_add_u32 v22, v24, 7, v3
	ds_store_2addr_b32 v20, v6, v7 offset1:32
	v_lshl_add_u32 v23, v25, 7, v3
	v_lshl_add_u32 v3, v26, 7, v3
	v_or_b32_e32 v6, v11, v10
	s_wait_loadcnt 0x2
	v_fma_mixlo_f16 v4, s4, v4, 0
	v_fma_mixlo_f16 v5, s4, v5, 0
	s_wait_loadcnt 0x1
	v_fma_mixlo_f16 v12, s4, v16, 0
	v_fma_mixlo_f16 v13, s4, v17, 0
	;; [unrolled: 3-line block ×3, first 2 shown]
	v_lshlrev_b32_e32 v5, 16, v5
	v_and_b32_e32 v4, 0xffff, v4
	v_lshlrev_b32_e32 v13, 16, v13
	v_and_b32_e32 v12, 0xffff, v12
	;; [unrolled: 2-line block ×3, first 2 shown]
	v_or_b32_e32 v4, v5, v4
	s_delay_alu instid0(VALU_DEP_4) | instskip(NEXT) | instid1(VALU_DEP_3)
	v_or_b32_e32 v5, v13, v12
	v_or_b32_e32 v7, v15, v14
	ds_store_2addr_b32 v20, v8, v9 offset0:64 offset1:96
	ds_store_b32 v21, v6
	ds_store_b32 v22, v4
	;; [unrolled: 1-line block ×4, first 2 shown]
	s_wait_dscnt 0x0
	s_barrier_signal -1
	s_barrier_wait -1
	global_inv scope:SCOPE_SE
	s_cbranch_scc1 .LBB21_4
; %bb.3:
	s_load_b32 s4, s[0:1], 0xd0
	s_mov_b32 s5, 0
	s_wait_kmcnt 0x0
	s_mul_i32 s4, s4, s28
	s_wait_alu 0xfffe
	s_add_co_i32 s4, s4, ttmp9
	s_wait_alu 0xfffe
	s_lshl_b64 s[4:5], s[4:5], 2
	s_wait_alu 0xfffe
	s_add_nc_u64 s[4:5], s[14:15], s[4:5]
	s_load_b32 s30, s[4:5], 0x0
.LBB21_4:
	s_and_b32 s4, ttmp7, 0xffff
	v_mbcnt_lo_u32_b32 v45, -1, 0
	s_wait_alu 0xfffe
	s_lshl_b32 s10, s4, 6
	s_wait_kmcnt 0x0
	s_wait_alu 0xfffe
	s_cmp_lt_i32 s10, s30
	s_cbranch_scc1 .LBB21_7
; %bb.5:
	v_mbcnt_lo_u32_b32 v8, -1, 0
	v_mov_b32_e32 v43, 32
	s_delay_alu instid0(VALU_DEP_2)
	v_xor_b32_e32 v50, 16, v8
	v_xor_b32_e32 v48, 8, v8
	;; [unrolled: 1-line block ×5, first 2 shown]
	s_mov_b32 s29, 0
	s_cbranch_execz .LBB21_8
; %bb.6:
	v_dual_mov_b32 v82, 0 :: v_dual_mov_b32 v49, 0
	v_dual_mov_b32 v7, 0xfeffffff :: v_dual_mov_b32 v6, 0xfeffffff
	;; [unrolled: 1-line block ×12, first 2 shown]
	s_branch .LBB21_11
.LBB21_7:
                                        ; implicit-def: $vgpr8
                                        ; implicit-def: $vgpr43
                                        ; implicit-def: $vgpr50
                                        ; implicit-def: $vgpr48
                                        ; implicit-def: $vgpr47
                                        ; implicit-def: $vgpr46
                                        ; implicit-def: $vgpr44
	s_mov_b32 s29, 0
.LBB21_8:
	s_mul_f32 s5, s27, 0x4f7ffffe
	s_clause 0x1
	s_load_b128 s[24:27], s[0:1], 0x98
	s_load_b64 s[40:41], s[0:1], 0x8c
	s_sub_co_i32 s11, 0, s3
	s_abs_i32 s36, s2
	s_cvt_u32_f32 s5, s5
	s_mov_b32 s15, s37
	s_ashr_i32 s38, s2, 31
	s_ashr_i32 s33, s33, 31
	s_wait_alu 0xfffe
	s_mul_i32 s11, s11, s5
	v_lshrrev_b32_e32 v3, 3, v40
	s_wait_alu 0xfffe
	s_mul_hi_u32 s11, s5, s11
	v_add3_u32 v7, s31, v41, 1
	s_wait_alu 0xfffe
	s_add_co_i32 s14, s5, s11
	s_xor_b32 s11, s38, s33
	s_mul_u64 s[14:15], s[36:37], s[14:15]
	s_ashr_i32 s5, s39, 1
	s_mul_i32 s33, s15, s3
	s_add_co_i32 s37, s15, 1
	s_sub_co_i32 s33, s36, s33
	v_lshl_add_u32 v8, v1, 2, v3
	s_wait_kmcnt 0x0
	s_ashr_i32 s14, s26, 2
	s_ashr_i32 s26, s40, 2
	s_sub_co_i32 s36, s33, s3
	s_cmp_ge_u32 s33, s3
	v_mul_hi_u32 v1, s20, v7
	s_cselect_b32 s15, s37, s15
	s_cselect_b32 s33, s36, s33
	s_add_co_i32 s36, s15, 1
	s_cmp_ge_u32 s33, s3
	s_wait_alu 0xfffe
	v_mul_lo_u32 v3, s26, v8
	s_cselect_b32 s3, s36, s15
	s_mul_u64 s[24:25], s[24:25], s[28:29]
	s_wait_alu 0xfffe
	s_xor_b32 s3, s3, s11
	v_dual_mov_b32 v28, 0 :: v_dual_add_nc_u32 v1, v7, v1
	s_wait_alu 0xfffe
	s_sub_co_i32 s3, s3, s11
	s_add_nc_u64 s[6:7], s[6:7], s[24:25]
	s_wait_alu 0xfffe
	s_mul_i32 s38, s3, s41
	s_mul_i32 s24, s3, s27
	s_lshl_b32 s3, s26, 4
	v_lshrrev_b32_e32 v1, s21, v1
	s_wait_alu 0xfffe
	v_dual_mov_b32 v30, 0 :: v_dual_add_nc_u32 v5, s3, v3
	v_dual_mov_b32 v26, 0 :: v_dual_lshlrev_b32 v51, 2, v40
	s_delay_alu instid0(VALU_DEP_3) | instskip(SKIP_1) | instid1(VALU_DEP_4)
	v_mul_lo_u32 v11, v1, s22
	v_mul_lo_u32 v1, s14, v8
	v_dual_mov_b32 v27, 0 :: v_dual_add_nc_u32 v12, s3, v5
	s_load_b64 s[42:43], s[0:1], 0xa8
	v_dual_mov_b32 v43, 32 :: v_dual_and_b32 v10, 28, v51
	s_delay_alu instid0(VALU_DEP_2)
	v_dual_mov_b32 v29, 0 :: v_dual_add_nc_u32 v14, s3, v12
	s_lshl_b32 s3, s14, 4
	v_dual_mov_b32 v81, 0 :: v_dual_add_nc_u32 v56, 0x3400, v2
	s_wait_alu 0xfffe
	v_add_nc_u32_e32 v18, s3, v1
	v_dual_mov_b32 v76, 0 :: v_dual_add_nc_u32 v61, 0x2400, v2
	v_ashrrev_i32_e32 v2, 31, v1
	v_lshlrev_b32_e32 v9, 2, v10
	v_ashrrev_i32_e32 v4, 31, v3
	v_ashrrev_i32_e32 v6, 31, v5
	v_mul_lo_u32 v58, v0, s5
	v_lshlrev_b64_e32 v[16:17], 2, v[1:2]
	v_dual_mov_b32 v1, 0xfeffffff :: v_dual_add_nc_u32 v20, s3, v18
	v_mov_b32_e32 v0, 0xfeffffff
	v_mad_u32_u24 v52, 0x90, v8, v9
	v_lshl_or_b32 v60, v8, 7, v9
	v_lshlrev_b64_e32 v[8:9], 2, v[3:4]
	v_dual_mov_b32 v3, 0xfeffffff :: v_dual_add_nc_u32 v22, s3, v20
	v_sub_nc_u32_e32 v7, v7, v11
	v_ashrrev_i32_e32 v13, 31, v12
	v_ashrrev_i32_e32 v15, 31, v14
	;; [unrolled: 1-line block ×4, first 2 shown]
	v_dual_mov_b32 v4, 0xfeffffff :: v_dual_lshlrev_b32 v65, 2, v10
	v_lshlrev_b64_e32 v[10:11], 2, v[5:6]
	v_mov_b32_e32 v5, 0xfeffffff
	v_ashrrev_i32_e32 v23, 31, v22
	v_mul_lo_u32 v59, v7, s5
	v_dual_mov_b32 v2, 0xfeffffff :: v_dual_lshlrev_b32 v7, 4, v40
	s_wait_kmcnt 0x0
	s_mul_u64 s[36:37], s[42:43], s[28:29]
	v_lshlrev_b64_e32 v[12:13], 2, v[12:13]
	v_lshlrev_b64_e32 v[14:15], 2, v[14:15]
	;; [unrolled: 1-line block ×5, first 2 shown]
	v_dual_mov_b32 v82, 0 :: v_dual_add_nc_u32 v53, 0x900, v52
	v_dual_mov_b32 v31, 0 :: v_dual_add_nc_u32 v54, 0x1200, v52
	;; [unrolled: 1-line block ×3, first 2 shown]
	v_mul_u32_u24_e32 v57, 0x90, v40
	v_dual_mov_b32 v75, 0 :: v_dual_add_nc_u32 v62, 0x800, v60
	v_dual_mov_b32 v78, 0 :: v_dual_add_nc_u32 v63, 0x1000, v60
	;; [unrolled: 1-line block ×3, first 2 shown]
	v_xor_b32_e32 v50, 16, v45
	v_xor_b32_e32 v48, 8, v45
	;; [unrolled: 1-line block ×5, first 2 shown]
	v_dual_mov_b32 v7, 0xfeffffff :: v_dual_add_nc_u32 v66, v61, v7
	v_dual_mov_b32 v80, 0 :: v_dual_add_nc_u32 v67, 0x400, v51
	;; [unrolled: 1-line block ×3, first 2 shown]
	v_add_nc_u32_e32 v69, 0xc00, v51
	v_dual_mov_b32 v49, 0 :: v_dual_add_nc_u32 v70, 0x1000, v51
	v_add_nc_u32_e32 v71, 0x1400, v51
	v_add_nc_u32_e32 v72, 0x1800, v51
	;; [unrolled: 1-line block ×3, first 2 shown]
	v_mov_b32_e32 v6, 0xfeffffff
	s_ashr_i32 s39, s38, 31
	s_add_nc_u64 s[8:9], s[8:9], s[36:37]
	s_ashr_i32 s25, s24, 31
	s_add_nc_u64 s[6:7], s[6:7], s[38:39]
	s_wait_alu 0xfffe
	s_add_nc_u64 s[8:9], s[8:9], s[24:25]
	s_ashr_i32 s27, s26, 31
	s_ashr_i32 s15, s14, 31
	s_add_nc_u64 s[20:21], s[0:1], 0xd0
.LBB21_9:                               ; =>This Inner Loop Header: Depth=1
	s_ashr_i32 s11, s10, 31
	v_mov_b32_e32 v24, v80
	s_wait_alu 0xfffe
	s_mul_u64 s[24:25], s[10:11], s[26:27]
	v_mov_b32_e32 v80, v79
	s_wait_alu 0xfffe
	s_lshl_b64 s[24:25], s[24:25], 2
	v_mov_b32_e32 v79, v78
	s_wait_alu 0xfffe
	s_add_nc_u64 s[24:25], s[6:7], s[24:25]
	v_dual_mov_b32 v78, v77 :: v_dual_mov_b32 v77, v76
	v_dual_mov_b32 v76, v75 :: v_dual_mov_b32 v25, v7
	;; [unrolled: 1-line block ×3, first 2 shown]
	s_wait_alu 0xfffe
	v_add_co_u32 v0, vcc_lo, s24, v8
	v_dual_mov_b32 v87, v2 :: v_dual_mov_b32 v88, v1
	s_wait_alu 0xfffd
	v_add_co_ci_u32_e64 v1, null, s25, v9, vcc_lo
	s_delay_alu instid0(VALU_DEP_3) | instskip(SKIP_2) | instid1(VALU_DEP_3)
	v_add_co_u32 v0, vcc_lo, v0, v65
	v_dual_mov_b32 v85, v4 :: v_dual_mov_b32 v86, v3
	s_wait_alu 0xfffd
	v_add_co_ci_u32_e64 v1, null, 0, v1, vcc_lo
	v_dual_mov_b32 v83, v6 :: v_dual_mov_b32 v84, v5
	v_dual_mov_b32 v4, 0 :: v_dual_mov_b32 v7, 0
	global_load_b128 v[0:3], v[0:1], off
	v_dual_mov_b32 v6, 0 :: v_dual_mov_b32 v95, 0
	v_dual_mov_b32 v96, 0 :: v_dual_mov_b32 v93, 0
	;; [unrolled: 1-line block ×3, first 2 shown]
	s_wait_loadcnt 0x0
	ds_store_b128 v52, v[0:3]
	v_add_co_u32 v0, vcc_lo, s24, v10
	s_wait_alu 0xfffd
	v_add_co_ci_u32_e64 v1, null, s25, v11, vcc_lo
	s_delay_alu instid0(VALU_DEP_2) | instskip(SKIP_1) | instid1(VALU_DEP_2)
	v_add_co_u32 v0, vcc_lo, v0, v65
	s_wait_alu 0xfffd
	v_add_co_ci_u32_e64 v1, null, 0, v1, vcc_lo
	global_load_b128 v[0:3], v[0:1], off
	s_wait_loadcnt 0x0
	ds_store_b128 v53, v[0:3]
	v_add_co_u32 v0, vcc_lo, s24, v12
	s_wait_alu 0xfffd
	v_add_co_ci_u32_e64 v1, null, s25, v13, vcc_lo
	s_delay_alu instid0(VALU_DEP_2) | instskip(SKIP_1) | instid1(VALU_DEP_2)
	v_add_co_u32 v0, vcc_lo, v0, v65
	s_wait_alu 0xfffd
	v_add_co_ci_u32_e64 v1, null, 0, v1, vcc_lo
	global_load_b128 v[0:3], v[0:1], off
	s_wait_loadcnt 0x0
	ds_store_b128 v54, v[0:3]
	v_add_co_u32 v0, vcc_lo, s24, v14
	s_wait_alu 0xfffd
	v_add_co_ci_u32_e64 v1, null, s25, v15, vcc_lo
	s_mul_u64 s[24:25], s[10:11], s[14:15]
	v_add_co_u32 v0, vcc_lo, v0, v65
	s_wait_alu 0xfffd
	v_add_co_ci_u32_e64 v1, null, 0, v1, vcc_lo
	v_cmp_gt_i32_e32 vcc_lo, 32, v50
	s_wait_alu 0xfffe
	s_lshl_b64 s[24:25], s[24:25], 2
	global_load_b128 v[0:3], v[0:1], off
	s_wait_alu 0xfffe
	s_add_nc_u64 s[24:25], s[8:9], s[24:25]
	s_wait_loadcnt 0x0
	ds_store_b128 v55, v[0:3]
	s_wait_dscnt 0x0
	s_barrier_signal -1
	s_barrier_wait -1
	global_inv scope:SCOPE_SE
	ds_load_b128 v[89:92], v57
	ds_load_b128 v[97:100], v57 offset:4608
	ds_load_b128 v[101:104], v56
	ds_load_b128 v[105:108], v56 offset:128
	ds_load_b128 v[109:112], v56 offset:256
	;; [unrolled: 1-line block ×7, first 2 shown]
	v_dual_mov_b32 v0, 0 :: v_dual_mov_b32 v3, 0
	s_wait_dscnt 0x7
	;;#ASMSTART
	v_dot2_f32_f16 v0, v89, v101, v0
	;;#ASMEND
	;;#ASMSTART
	v_dot2_f32_f16 v0, v90, v102, v0
	;;#ASMEND
	;; [unrolled: 3-line block ×3, first 2 shown]
	v_mov_b32_e32 v1, 0
	;;#ASMSTART
	v_dot2_f32_f16 v0, v92, v104, v0
	;;#ASMEND
	s_wait_dscnt 0x6
	;;#ASMSTART
	v_dot2_f32_f16 v1, v89, v105, v1
	;;#ASMEND
	;;#ASMSTART
	v_dot2_f32_f16 v1, v90, v106, v1
	;;#ASMEND
	;; [unrolled: 3-line block ×3, first 2 shown]
	v_mov_b32_e32 v2, 0
	;;#ASMSTART
	v_dot2_f32_f16 v1, v92, v108, v1
	;;#ASMEND
	s_wait_dscnt 0x5
	;;#ASMSTART
	v_dot2_f32_f16 v2, v89, v109, v2
	;;#ASMEND
	;;#ASMSTART
	v_dot2_f32_f16 v2, v90, v110, v2
	;;#ASMEND
	;;#ASMSTART
	v_dot2_f32_f16 v2, v91, v111, v2
	;;#ASMEND
	;;#ASMSTART
	v_dot2_f32_f16 v2, v92, v112, v2
	;;#ASMEND
	s_wait_dscnt 0x4
	;;#ASMSTART
	v_dot2_f32_f16 v3, v89, v113, v3
	;;#ASMEND
	;;#ASMSTART
	v_dot2_f32_f16 v3, v90, v114, v3
	;;#ASMEND
	;;#ASMSTART
	v_dot2_f32_f16 v3, v91, v115, v3
	;;#ASMEND
	;; [unrolled: 13-line block ×6, first 2 shown]
	;;#ASMSTART
	v_dot2_f32_f16 v7, v92, v132, v7
	;;#ASMEND
	;;#ASMSTART
	v_dot2_f32_f16 v96, v97, v101, v96
	;;#ASMEND
	;; [unrolled: 3-line block ×9, first 2 shown]
	v_mov_b32_e32 v91, 0
	;;#ASMSTART
	v_dot2_f32_f16 v94, v97, v109, v94
	;;#ASMEND
	;;#ASMSTART
	v_dot2_f32_f16 v94, v98, v110, v94
	;;#ASMEND
	;; [unrolled: 3-line block ×7, first 2 shown]
	v_dual_mov_b32 v92, 0 :: v_dual_mov_b32 v89, 0
	;;#ASMSTART
	v_dot2_f32_f16 v93, v100, v116, v93
	;;#ASMEND
	;;#ASMSTART
	v_dot2_f32_f16 v92, v97, v117, v92
	;;#ASMEND
	;; [unrolled: 3-line block ×8, first 2 shown]
	v_mov_b32_e32 v90, 0
	;;#ASMSTART
	v_dot2_f32_f16 v91, v100, v124, v91
	;;#ASMEND
	;;#ASMSTART
	v_dot2_f32_f16 v90, v97, v125, v90
	;;#ASMEND
	;; [unrolled: 3-line block ×9, first 2 shown]
	ds_load_b128 v[97:100], v57 offset:16
	ds_load_b128 v[101:104], v57 offset:4624
	;; [unrolled: 1-line block ×10, first 2 shown]
	s_wait_dscnt 0x7
	;;#ASMSTART
	v_dot2_f32_f16 v0, v97, v105, v0
	;;#ASMEND
	;;#ASMSTART
	v_dot2_f32_f16 v0, v98, v106, v0
	;;#ASMEND
	;;#ASMSTART
	v_dot2_f32_f16 v0, v99, v107, v0
	;;#ASMEND
	;;#ASMSTART
	v_dot2_f32_f16 v0, v100, v108, v0
	;;#ASMEND
	s_wait_dscnt 0x6
	;;#ASMSTART
	v_dot2_f32_f16 v1, v97, v109, v1
	;;#ASMEND
	;;#ASMSTART
	v_dot2_f32_f16 v1, v98, v110, v1
	;;#ASMEND
	;;#ASMSTART
	v_dot2_f32_f16 v1, v99, v111, v1
	;;#ASMEND
	;;#ASMSTART
	v_dot2_f32_f16 v1, v100, v112, v1
	;;#ASMEND
	;; [unrolled: 13-line block ×8, first 2 shown]
	;;#ASMSTART
	v_dot2_f32_f16 v96, v101, v105, v96
	;;#ASMEND
	;;#ASMSTART
	v_dot2_f32_f16 v96, v102, v106, v96
	;;#ASMEND
	;; [unrolled: 3-line block ×32, first 2 shown]
	ds_load_b128 v[97:100], v57 offset:32
	ds_load_b128 v[101:104], v57 offset:4640
	;; [unrolled: 1-line block ×10, first 2 shown]
	s_wait_dscnt 0x7
	;;#ASMSTART
	v_dot2_f32_f16 v0, v97, v105, v0
	;;#ASMEND
	;;#ASMSTART
	v_dot2_f32_f16 v0, v98, v106, v0
	;;#ASMEND
	;;#ASMSTART
	v_dot2_f32_f16 v0, v99, v107, v0
	;;#ASMEND
	;;#ASMSTART
	v_dot2_f32_f16 v0, v100, v108, v0
	;;#ASMEND
	s_wait_dscnt 0x6
	;;#ASMSTART
	v_dot2_f32_f16 v1, v97, v109, v1
	;;#ASMEND
	;;#ASMSTART
	v_dot2_f32_f16 v1, v98, v110, v1
	;;#ASMEND
	;;#ASMSTART
	v_dot2_f32_f16 v1, v99, v111, v1
	;;#ASMEND
	;;#ASMSTART
	v_dot2_f32_f16 v1, v100, v112, v1
	;;#ASMEND
	;; [unrolled: 13-line block ×8, first 2 shown]
	;;#ASMSTART
	v_dot2_f32_f16 v96, v101, v105, v96
	;;#ASMEND
	;;#ASMSTART
	v_dot2_f32_f16 v96, v102, v106, v96
	;;#ASMEND
	;; [unrolled: 3-line block ×32, first 2 shown]
	ds_load_b128 v[97:100], v57 offset:48
	ds_load_b128 v[101:104], v57 offset:4656
	;; [unrolled: 1-line block ×10, first 2 shown]
	s_wait_dscnt 0x7
	;;#ASMSTART
	v_dot2_f32_f16 v0, v97, v105, v0
	;;#ASMEND
	;;#ASMSTART
	v_dot2_f32_f16 v0, v98, v106, v0
	;;#ASMEND
	;;#ASMSTART
	v_dot2_f32_f16 v0, v99, v107, v0
	;;#ASMEND
	;;#ASMSTART
	v_dot2_f32_f16 v0, v100, v108, v0
	;;#ASMEND
	s_wait_dscnt 0x6
	;;#ASMSTART
	v_dot2_f32_f16 v1, v97, v109, v1
	;;#ASMEND
	;;#ASMSTART
	v_dot2_f32_f16 v1, v98, v110, v1
	;;#ASMEND
	;;#ASMSTART
	v_dot2_f32_f16 v1, v99, v111, v1
	;;#ASMEND
	;;#ASMSTART
	v_dot2_f32_f16 v1, v100, v112, v1
	;;#ASMEND
	;; [unrolled: 13-line block ×8, first 2 shown]
	;;#ASMSTART
	v_dot2_f32_f16 v96, v101, v105, v96
	;;#ASMEND
	;;#ASMSTART
	v_dot2_f32_f16 v96, v102, v106, v96
	;;#ASMEND
	;; [unrolled: 3-line block ×32, first 2 shown]
	ds_load_b128 v[97:100], v57 offset:64
	ds_load_b128 v[101:104], v57 offset:4672
	ds_load_b128 v[105:108], v56 offset:64
	ds_load_b128 v[109:112], v56 offset:192
	ds_load_b128 v[113:116], v56 offset:320
	ds_load_b128 v[117:120], v56 offset:448
	ds_load_b128 v[121:124], v56 offset:576
	ds_load_b128 v[125:128], v56 offset:704
	ds_load_b128 v[129:132], v56 offset:832
	ds_load_b128 v[133:136], v56 offset:960
	s_wait_dscnt 0x7
	;;#ASMSTART
	v_dot2_f32_f16 v0, v97, v105, v0
	;;#ASMEND
	;;#ASMSTART
	v_dot2_f32_f16 v0, v98, v106, v0
	;;#ASMEND
	;;#ASMSTART
	v_dot2_f32_f16 v0, v99, v107, v0
	;;#ASMEND
	;;#ASMSTART
	v_dot2_f32_f16 v0, v100, v108, v0
	;;#ASMEND
	s_wait_dscnt 0x6
	;;#ASMSTART
	v_dot2_f32_f16 v1, v97, v109, v1
	;;#ASMEND
	;;#ASMSTART
	v_dot2_f32_f16 v1, v98, v110, v1
	;;#ASMEND
	;;#ASMSTART
	v_dot2_f32_f16 v1, v99, v111, v1
	;;#ASMEND
	;;#ASMSTART
	v_dot2_f32_f16 v1, v100, v112, v1
	;;#ASMEND
	s_wait_dscnt 0x5
	;;#ASMSTART
	v_dot2_f32_f16 v2, v97, v113, v2
	;;#ASMEND
	;;#ASMSTART
	v_dot2_f32_f16 v2, v98, v114, v2
	;;#ASMEND
	;;#ASMSTART
	v_dot2_f32_f16 v2, v99, v115, v2
	;;#ASMEND
	;;#ASMSTART
	v_dot2_f32_f16 v2, v100, v116, v2
	;;#ASMEND
	s_wait_dscnt 0x4
	;;#ASMSTART
	v_dot2_f32_f16 v3, v97, v117, v3
	;;#ASMEND
	;;#ASMSTART
	v_dot2_f32_f16 v3, v98, v118, v3
	;;#ASMEND
	;;#ASMSTART
	v_dot2_f32_f16 v3, v99, v119, v3
	;;#ASMEND
	;;#ASMSTART
	v_dot2_f32_f16 v3, v100, v120, v3
	;;#ASMEND
	s_wait_dscnt 0x3
	;;#ASMSTART
	v_dot2_f32_f16 v4, v97, v121, v4
	;;#ASMEND
	;;#ASMSTART
	v_dot2_f32_f16 v4, v98, v122, v4
	;;#ASMEND
	;;#ASMSTART
	v_dot2_f32_f16 v4, v99, v123, v4
	;;#ASMEND
	;;#ASMSTART
	v_dot2_f32_f16 v4, v100, v124, v4
	;;#ASMEND
	s_wait_dscnt 0x2
	;;#ASMSTART
	v_dot2_f32_f16 v5, v97, v125, v5
	;;#ASMEND
	;;#ASMSTART
	v_dot2_f32_f16 v5, v98, v126, v5
	;;#ASMEND
	;;#ASMSTART
	v_dot2_f32_f16 v5, v99, v127, v5
	;;#ASMEND
	;;#ASMSTART
	v_dot2_f32_f16 v5, v100, v128, v5
	;;#ASMEND
	s_wait_dscnt 0x1
	;;#ASMSTART
	v_dot2_f32_f16 v6, v97, v129, v6
	;;#ASMEND
	;;#ASMSTART
	v_dot2_f32_f16 v6, v98, v130, v6
	;;#ASMEND
	;;#ASMSTART
	v_dot2_f32_f16 v6, v99, v131, v6
	;;#ASMEND
	;;#ASMSTART
	v_dot2_f32_f16 v6, v100, v132, v6
	;;#ASMEND
	s_wait_dscnt 0x0
	;;#ASMSTART
	v_dot2_f32_f16 v7, v97, v133, v7
	;;#ASMEND
	;;#ASMSTART
	v_dot2_f32_f16 v7, v98, v134, v7
	;;#ASMEND
	;;#ASMSTART
	v_dot2_f32_f16 v7, v99, v135, v7
	;;#ASMEND
	;;#ASMSTART
	v_dot2_f32_f16 v7, v100, v136, v7
	;;#ASMEND
	;;#ASMSTART
	v_dot2_f32_f16 v96, v101, v105, v96
	;;#ASMEND
	;;#ASMSTART
	v_dot2_f32_f16 v96, v102, v106, v96
	;;#ASMEND
	;; [unrolled: 3-line block ×32, first 2 shown]
	ds_load_b128 v[97:100], v57 offset:80
	ds_load_b128 v[101:104], v57 offset:4688
	;; [unrolled: 1-line block ×10, first 2 shown]
	s_wait_dscnt 0x7
	;;#ASMSTART
	v_dot2_f32_f16 v0, v97, v105, v0
	;;#ASMEND
	;;#ASMSTART
	v_dot2_f32_f16 v0, v98, v106, v0
	;;#ASMEND
	;;#ASMSTART
	v_dot2_f32_f16 v0, v99, v107, v0
	;;#ASMEND
	;;#ASMSTART
	v_dot2_f32_f16 v0, v100, v108, v0
	;;#ASMEND
	s_wait_dscnt 0x6
	;;#ASMSTART
	v_dot2_f32_f16 v1, v97, v109, v1
	;;#ASMEND
	;;#ASMSTART
	v_dot2_f32_f16 v1, v98, v110, v1
	;;#ASMEND
	;;#ASMSTART
	v_dot2_f32_f16 v1, v99, v111, v1
	;;#ASMEND
	;;#ASMSTART
	v_dot2_f32_f16 v1, v100, v112, v1
	;;#ASMEND
	;; [unrolled: 13-line block ×8, first 2 shown]
	;;#ASMSTART
	v_dot2_f32_f16 v96, v101, v105, v96
	;;#ASMEND
	;;#ASMSTART
	v_dot2_f32_f16 v96, v102, v106, v96
	;;#ASMEND
	;; [unrolled: 3-line block ×32, first 2 shown]
	ds_load_b128 v[97:100], v57 offset:96
	ds_load_b128 v[101:104], v57 offset:4704
	;; [unrolled: 1-line block ×10, first 2 shown]
	s_wait_dscnt 0x7
	;;#ASMSTART
	v_dot2_f32_f16 v0, v97, v105, v0
	;;#ASMEND
	;;#ASMSTART
	v_dot2_f32_f16 v0, v98, v106, v0
	;;#ASMEND
	;;#ASMSTART
	v_dot2_f32_f16 v0, v99, v107, v0
	;;#ASMEND
	;;#ASMSTART
	v_dot2_f32_f16 v0, v100, v108, v0
	;;#ASMEND
	s_wait_dscnt 0x6
	;;#ASMSTART
	v_dot2_f32_f16 v1, v97, v109, v1
	;;#ASMEND
	;;#ASMSTART
	v_dot2_f32_f16 v1, v98, v110, v1
	;;#ASMEND
	;;#ASMSTART
	v_dot2_f32_f16 v1, v99, v111, v1
	;;#ASMEND
	;;#ASMSTART
	v_dot2_f32_f16 v1, v100, v112, v1
	;;#ASMEND
	;; [unrolled: 13-line block ×8, first 2 shown]
	;;#ASMSTART
	v_dot2_f32_f16 v96, v101, v105, v96
	;;#ASMEND
	;;#ASMSTART
	v_dot2_f32_f16 v96, v102, v106, v96
	;;#ASMEND
	;; [unrolled: 3-line block ×32, first 2 shown]
	ds_load_b128 v[97:100], v57 offset:112
	ds_load_b128 v[101:104], v57 offset:4720
	ds_load_b128 v[105:108], v56 offset:112
	ds_load_b128 v[109:112], v56 offset:240
	ds_load_b128 v[113:116], v56 offset:368
	ds_load_b128 v[117:120], v56 offset:496
	ds_load_b128 v[121:124], v56 offset:624
	ds_load_b128 v[125:128], v56 offset:752
	ds_load_b128 v[129:132], v56 offset:880
	ds_load_b128 v[133:136], v56 offset:1008
	s_wait_dscnt 0x7
	;;#ASMSTART
	v_dot2_f32_f16 v0, v97, v105, v0
	;;#ASMEND
	;;#ASMSTART
	v_dot2_f32_f16 v0, v98, v106, v0
	;;#ASMEND
	;;#ASMSTART
	v_dot2_f32_f16 v0, v99, v107, v0
	;;#ASMEND
	;;#ASMSTART
	v_dot2_f32_f16 v0, v100, v108, v0
	;;#ASMEND
	s_wait_dscnt 0x6
	;;#ASMSTART
	v_dot2_f32_f16 v1, v97, v109, v1
	;;#ASMEND
	;;#ASMSTART
	v_dot2_f32_f16 v1, v98, v110, v1
	;;#ASMEND
	;;#ASMSTART
	v_dot2_f32_f16 v1, v99, v111, v1
	;;#ASMEND
	;;#ASMSTART
	v_dot2_f32_f16 v1, v100, v112, v1
	;;#ASMEND
	;; [unrolled: 13-line block ×8, first 2 shown]
	;;#ASMSTART
	v_dot2_f32_f16 v96, v101, v105, v96
	;;#ASMEND
	;;#ASMSTART
	v_dot2_f32_f16 v96, v102, v106, v96
	;;#ASMEND
	;; [unrolled: 3-line block ×25, first 2 shown]
	s_wait_alu 0xfffd
	v_cndmask_b32_e32 v97, v45, v50, vcc_lo
	v_cmp_gt_i32_e32 vcc_lo, 32, v48
	;;#ASMSTART
	v_dot2_f32_f16 v90, v102, v130, v90
	;;#ASMEND
	;;#ASMSTART
	v_dot2_f32_f16 v90, v103, v131, v90
	;;#ASMEND
	;;#ASMSTART
	v_dot2_f32_f16 v90, v104, v132, v90
	;;#ASMEND
	;;#ASMSTART
	v_dot2_f32_f16 v89, v101, v133, v89
	;;#ASMEND
	;;#ASMSTART
	v_dot2_f32_f16 v89, v102, v134, v89
	;;#ASMEND
	;;#ASMSTART
	v_dot2_f32_f16 v89, v103, v135, v89
	;;#ASMEND
	v_lshlrev_b32_e32 v103, 2, v97
	s_wait_alu 0xfffd
	v_cndmask_b32_e32 v97, v45, v48, vcc_lo
	v_cmp_gt_i32_e32 vcc_lo, 32, v47
	;;#ASMSTART
	v_dot2_f32_f16 v89, v104, v136, v89
	;;#ASMEND
	v_add_nc_u32_e32 v99, s10, v40
	s_wait_alu 0xfffd
	v_dual_cndmask_b32 v97, v45, v47 :: v_dual_lshlrev_b32 v104, 2, v97
	v_cmp_gt_i32_e32 vcc_lo, 32, v46
	s_delay_alu instid0(VALU_DEP_2) | instskip(SKIP_4) | instid1(VALU_DEP_2)
	v_lshlrev_b32_e32 v105, 2, v97
	s_wait_alu 0xfffd
	v_cndmask_b32_e32 v97, v45, v46, vcc_lo
	v_cmp_gt_i32_e32 vcc_lo, 32, v44
	s_wait_alu 0xfffd
	v_dual_cndmask_b32 v97, v45, v44 :: v_dual_lshlrev_b32 v106, 2, v97
	s_delay_alu instid0(VALU_DEP_1) | instskip(SKIP_1) | instid1(VALU_DEP_1)
	v_lshlrev_b32_e32 v107, 2, v97
	v_add_nc_u32_e32 v97, v99, v58
	v_ashrrev_i32_e32 v98, 31, v97
	s_delay_alu instid0(VALU_DEP_1) | instskip(NEXT) | instid1(VALU_DEP_1)
	v_lshlrev_b64_e32 v[97:98], 1, v[97:98]
	v_add_co_u32 v97, vcc_lo, s34, v97
	s_wait_alu 0xfffd
	s_delay_alu instid0(VALU_DEP_2)
	v_add_co_ci_u32_e64 v98, null, s35, v98, vcc_lo
	s_clause 0x1
	global_load_u16 v100, v[97:98], off
	global_load_u16 v97, v[97:98], off offset:64
	s_wait_loadcnt 0x1
	v_cvt_f32_f16_e32 v100, v100
	s_wait_loadcnt 0x0
	v_cvt_f32_f16_e32 v97, v97
	s_delay_alu instid0(VALU_DEP_2) | instskip(NEXT) | instid1(VALU_DEP_2)
	v_add_f32_e32 v108, v0, v100
	v_dual_add_f32 v109, v96, v97 :: v_dual_add_f32 v110, v1, v100
	v_add_f32_e32 v95, v95, v97
	v_dual_add_f32 v113, v3, v100 :: v_dual_add_f32 v114, v93, v97
	s_delay_alu instid0(VALU_DEP_4) | instskip(NEXT) | instid1(VALU_DEP_4)
	v_add_f32_e32 v0, 0x40051340, v108
	v_dual_add_f32 v96, 0x40051340, v109 :: v_dual_add_f32 v1, 0x40051340, v110
	s_delay_alu instid0(VALU_DEP_3) | instskip(NEXT) | instid1(VALU_DEP_4)
	v_add_f32_e32 v3, 0x40051340, v113
	v_add_f32_e32 v93, 0x40051340, v114
	;; [unrolled: 1-line block ×3, first 2 shown]
	s_delay_alu instid0(VALU_DEP_4) | instskip(SKIP_1) | instid1(VALU_DEP_4)
	v_max3_num_f32 v0, v74, v0, v96
	v_add_f32_e32 v112, v94, v97
	v_max3_num_f32 v3, v86, v3, v93
	s_delay_alu instid0(VALU_DEP_4)
	v_add_f32_e32 v2, 0x40051340, v111
	ds_bpermute_b32 v96, v103, v0
	v_add_f32_e32 v94, 0x40051340, v112
	ds_bpermute_b32 v93, v103, v3
	v_max3_num_f32 v2, v87, v2, v94
	ds_bpermute_b32 v94, v103, v2
	s_wait_dscnt 0x1
	v_dual_max_num_f32 v96, v96, v96 :: v_dual_max_num_f32 v93, v93, v93
	s_delay_alu instid0(VALU_DEP_1)
	v_dual_max_num_f32 v0, v0, v96 :: v_dual_max_num_f32 v3, v3, v93
	ds_bpermute_b32 v96, v104, v0
	s_wait_dscnt 0x1
	v_max_num_f32_e32 v94, v94, v94
	ds_bpermute_b32 v93, v104, v3
	v_max_num_f32_e32 v2, v2, v94
	ds_bpermute_b32 v94, v104, v2
	s_wait_dscnt 0x1
	v_dual_max_num_f32 v96, v96, v96 :: v_dual_max_num_f32 v93, v93, v93
	s_delay_alu instid0(VALU_DEP_1)
	v_dual_max_num_f32 v0, v0, v96 :: v_dual_max_num_f32 v3, v3, v93
	ds_bpermute_b32 v96, v105, v0
	s_wait_dscnt 0x1
	v_max_num_f32_e32 v94, v94, v94
	ds_bpermute_b32 v93, v105, v3
	s_wait_dscnt 0x0
	v_dual_max_num_f32 v96, v96, v96 :: v_dual_max_num_f32 v93, v93, v93
	s_delay_alu instid0(VALU_DEP_1) | instskip(SKIP_4) | instid1(VALU_DEP_1)
	v_dual_max_num_f32 v0, v0, v96 :: v_dual_max_num_f32 v3, v3, v93
	ds_bpermute_b32 v96, v106, v0
	ds_bpermute_b32 v93, v106, v3
	s_wait_dscnt 0x0
	v_dual_max_num_f32 v96, v96, v96 :: v_dual_max_num_f32 v93, v93, v93
	v_dual_max_num_f32 v0, v0, v96 :: v_dual_max_num_f32 v3, v3, v93
	ds_bpermute_b32 v96, v107, v0
	ds_bpermute_b32 v93, v107, v3
	v_max_num_f32_e32 v2, v2, v94
	s_wait_dscnt 0x0
	v_dual_max_num_f32 v96, v96, v96 :: v_dual_max_num_f32 v93, v93, v93
	ds_bpermute_b32 v94, v105, v2
	v_max_num_f32_e32 v0, v0, v96
	v_dual_add_f32 v96, 0x40051340, v95 :: v_dual_max_num_f32 v3, v3, v93
	v_add_nc_u32_e32 v93, v99, v59
	s_delay_alu instid0(VALU_DEP_2) | instskip(NEXT) | instid1(VALU_DEP_3)
	v_max3_num_f32 v1, v88, v1, v96
	v_sub_f32_e32 v86, v86, v3
	ds_bpermute_b32 v96, v103, v1
	s_wait_dscnt 0x1
	v_max_num_f32_e32 v94, v94, v94
	s_delay_alu instid0(VALU_DEP_1) | instskip(SKIP_3) | instid1(VALU_DEP_1)
	v_max_num_f32_e32 v2, v2, v94
	ds_bpermute_b32 v94, v106, v2
	s_wait_dscnt 0x1
	v_max_num_f32_e32 v96, v96, v96
	v_max_num_f32_e32 v1, v1, v96
	ds_bpermute_b32 v96, v104, v1
	s_wait_dscnt 0x1
	v_max_num_f32_e32 v94, v94, v94
	s_delay_alu instid0(VALU_DEP_1) | instskip(SKIP_3) | instid1(VALU_DEP_1)
	v_max_num_f32_e32 v2, v2, v94
	ds_bpermute_b32 v94, v107, v2
	s_wait_dscnt 0x1
	v_max_num_f32_e32 v96, v96, v96
	v_max_num_f32_e32 v1, v1, v96
	ds_bpermute_b32 v96, v105, v1
	s_wait_dscnt 0x1
	v_max_num_f32_e32 v94, v94, v94
	s_delay_alu instid0(VALU_DEP_1) | instskip(SKIP_1) | instid1(VALU_DEP_1)
	v_max_num_f32_e32 v2, v2, v94
	v_ashrrev_i32_e32 v94, 31, v93
	v_lshlrev_b64_e32 v[93:94], 1, v[93:94]
	s_wait_dscnt 0x0
	v_max_num_f32_e32 v96, v96, v96
	s_delay_alu instid0(VALU_DEP_1) | instskip(NEXT) | instid1(VALU_DEP_3)
	v_max_num_f32_e32 v1, v1, v96
	v_add_co_u32 v93, vcc_lo, s34, v93
	s_wait_alu 0xfffd
	v_add_co_ci_u32_e64 v94, null, s35, v94, vcc_lo
	ds_bpermute_b32 v96, v106, v1
	s_wait_dscnt 0x0
	v_max_num_f32_e32 v96, v96, v96
	s_delay_alu instid0(VALU_DEP_1) | instskip(SKIP_3) | instid1(VALU_DEP_1)
	v_max_num_f32_e32 v1, v1, v96
	ds_bpermute_b32 v96, v107, v1
	s_wait_dscnt 0x0
	v_max_num_f32_e32 v96, v96, v96
	v_max_num_f32_e32 v1, v1, v96
	s_clause 0x1
	global_load_u16 v96, v[93:94], off
	global_load_u16 v93, v[93:94], off offset:64
	s_wait_loadcnt 0x0
	s_barrier_signal -1
	v_sub_f32_e32 v88, v88, v1
	s_barrier_wait -1
	global_inv scope:SCOPE_SE
	v_cvt_f32_f16_e32 v96, v96
	v_cvt_f32_f16_e32 v93, v93
	s_delay_alu instid0(VALU_DEP_2) | instskip(SKIP_4) | instid1(VALU_DEP_4)
	v_add_f32_e32 v115, v4, v96
	v_add_f32_e32 v101, v5, v96
	;; [unrolled: 1-line block ×5, first 2 shown]
	v_dual_add_f32 v4, 0x40051340, v115 :: v_dual_add_f32 v5, 0x40051340, v101
	s_delay_alu instid0(VALU_DEP_3) | instskip(NEXT) | instid1(VALU_DEP_3)
	v_dual_add_f32 v94, v89, v93 :: v_dual_add_f32 v7, 0x40051340, v96
	v_dual_add_f32 v91, 0x40051340, v100 :: v_dual_add_f32 v98, v90, v93
	v_sub_f32_e32 v87, v87, v2
	s_delay_alu instid0(VALU_DEP_3) | instskip(NEXT) | instid1(VALU_DEP_3)
	v_add_f32_e32 v89, 0x40051340, v94
	v_max3_num_f32 v5, v84, v5, v91
	s_delay_alu instid0(VALU_DEP_2)
	v_max3_num_f32 v7, v25, v7, v89
	ds_bpermute_b32 v91, v103, v5
	v_add_f32_e32 v102, v92, v93
	ds_bpermute_b32 v89, v103, v7
	s_wait_dscnt 0x1
	v_dual_max_num_f32 v91, v91, v91 :: v_dual_add_f32 v92, 0x40051340, v102
	s_wait_dscnt 0x0
	v_dual_max_num_f32 v89, v89, v89 :: v_dual_add_f32 v6, 0x40051340, v99
	s_delay_alu instid0(VALU_DEP_2) | instskip(NEXT) | instid1(VALU_DEP_3)
	v_max_num_f32_e32 v5, v5, v91
	v_max3_num_f32 v4, v85, v4, v92
	s_delay_alu instid0(VALU_DEP_3)
	v_max_num_f32_e32 v7, v7, v89
	ds_bpermute_b32 v91, v104, v5
	ds_bpermute_b32 v92, v103, v4
	;; [unrolled: 1-line block ×3, first 2 shown]
	s_wait_dscnt 0x2
	v_dual_add_f32 v90, 0x40051340, v98 :: v_dual_max_num_f32 v91, v91, v91
	s_wait_dscnt 0x0
	v_dual_max_num_f32 v92, v92, v92 :: v_dual_max_num_f32 v89, v89, v89
	s_delay_alu instid0(VALU_DEP_2) | instskip(NEXT) | instid1(VALU_DEP_2)
	v_max3_num_f32 v6, v83, v6, v90
	v_dual_max_num_f32 v5, v5, v91 :: v_dual_max_num_f32 v4, v4, v92
	s_delay_alu instid0(VALU_DEP_3)
	v_max_num_f32_e32 v7, v7, v89
	ds_bpermute_b32 v90, v103, v6
	ds_bpermute_b32 v91, v105, v5
	ds_bpermute_b32 v92, v104, v4
	ds_bpermute_b32 v89, v105, v7
	s_wait_dscnt 0x2
	v_dual_max_num_f32 v90, v90, v90 :: v_dual_max_num_f32 v91, v91, v91
	s_wait_dscnt 0x0
	v_dual_max_num_f32 v92, v92, v92 :: v_dual_max_num_f32 v89, v89, v89
	s_delay_alu instid0(VALU_DEP_2) | instskip(NEXT) | instid1(VALU_DEP_2)
	v_dual_max_num_f32 v6, v6, v90 :: v_dual_max_num_f32 v5, v5, v91
	v_dual_max_num_f32 v4, v4, v92 :: v_dual_max_num_f32 v7, v7, v89
	ds_bpermute_b32 v90, v104, v6
	ds_bpermute_b32 v91, v106, v5
	ds_bpermute_b32 v92, v105, v4
	ds_bpermute_b32 v89, v106, v7
	s_wait_dscnt 0x2
	v_dual_max_num_f32 v90, v90, v90 :: v_dual_max_num_f32 v91, v91, v91
	s_wait_dscnt 0x0
	v_dual_max_num_f32 v92, v92, v92 :: v_dual_max_num_f32 v89, v89, v89
	s_delay_alu instid0(VALU_DEP_2) | instskip(NEXT) | instid1(VALU_DEP_2)
	v_dual_max_num_f32 v6, v6, v90 :: v_dual_max_num_f32 v5, v5, v91
	v_dual_max_num_f32 v4, v4, v92 :: v_dual_max_num_f32 v7, v7, v89
	;; [unrolled: 11-line block ×3, first 2 shown]
	ds_bpermute_b32 v90, v106, v6
	ds_bpermute_b32 v92, v107, v4
	s_wait_dscnt 0x1
	v_max_num_f32_e32 v90, v90, v90
	s_wait_dscnt 0x0
	v_max_num_f32_e32 v92, v92, v92
	s_delay_alu instid0(VALU_DEP_2) | instskip(NEXT) | instid1(VALU_DEP_2)
	v_max_num_f32_e32 v6, v6, v90
	v_max_num_f32_e32 v4, v4, v92
	ds_bpermute_b32 v90, v107, v6
	s_wait_dscnt 0x0
	v_dual_sub_f32 v85, v85, v4 :: v_dual_max_num_f32 v90, v90, v90
	s_delay_alu instid0(VALU_DEP_1) | instskip(SKIP_2) | instid1(VALU_DEP_1)
	v_max_num_f32_e32 v6, v6, v90
	v_sub_f32_e32 v90, v74, v0
	v_sub_f32_e32 v74, v108, v0
	v_mul_f32_e32 v89, 0x3fb8aa3b, v74
	v_cmp_ngt_f32_e32 vcc_lo, 0xc2ce8ed0, v74
	s_delay_alu instid0(VALU_DEP_2) | instskip(SKIP_1) | instid1(VALU_DEP_2)
	v_fma_f32 v91, 0x3fb8aa3b, v74, -v89
	v_rndne_f32_e32 v92, v89
	v_fmac_f32_e32 v91, 0x32a5705f, v74
	s_delay_alu instid0(VALU_DEP_2) | instskip(NEXT) | instid1(VALU_DEP_1)
	v_sub_f32_e32 v89, v89, v92
	v_add_f32_e32 v89, v89, v91
	v_cvt_i32_f32_e32 v91, v92
	s_delay_alu instid0(VALU_DEP_2) | instskip(NEXT) | instid1(TRANS32_DEP_1)
	v_exp_f32_e32 v89, v89
	v_ldexp_f32 v89, v89, v91
	s_wait_alu 0xfffd
	s_delay_alu instid0(VALU_DEP_1) | instskip(SKIP_2) | instid1(VALU_DEP_2)
	v_cndmask_b32_e32 v89, 0, v89, vcc_lo
	v_cmp_nlt_f32_e32 vcc_lo, 0x42b17218, v74
	s_wait_alu 0xfffd
	v_dual_cndmask_b32 v74, 0x7f800000, v89 :: v_dual_sub_f32 v89, v109, v0
	s_delay_alu instid0(VALU_DEP_1) | instskip(NEXT) | instid1(VALU_DEP_2)
	v_cvt_f16_f32_e32 v91, v74
	v_mul_f32_e32 v92, 0x3fb8aa3b, v89
	v_cmp_ngt_f32_e32 vcc_lo, 0xc2ce8ed0, v89
	s_delay_alu instid0(VALU_DEP_2) | instskip(SKIP_1) | instid1(VALU_DEP_2)
	v_fma_f32 v93, 0x3fb8aa3b, v89, -v92
	v_rndne_f32_e32 v97, v92
	v_fmac_f32_e32 v93, 0x32a5705f, v89
	s_delay_alu instid0(VALU_DEP_2) | instskip(NEXT) | instid1(VALU_DEP_1)
	v_sub_f32_e32 v92, v92, v97
	v_add_f32_e32 v92, v92, v93
	v_cvt_i32_f32_e32 v93, v97
	s_delay_alu instid0(VALU_DEP_2) | instskip(NEXT) | instid1(TRANS32_DEP_1)
	v_exp_f32_e32 v92, v92
	v_ldexp_f32 v92, v92, v93
	s_wait_alu 0xfffd
	s_delay_alu instid0(VALU_DEP_1) | instskip(SKIP_2) | instid1(VALU_DEP_2)
	v_cndmask_b32_e32 v92, 0, v92, vcc_lo
	v_cmp_nlt_f32_e32 vcc_lo, 0x42b17218, v89
	s_wait_alu 0xfffd
	v_cndmask_b32_e32 v89, 0x7f800000, v92, vcc_lo
	v_mul_f32_e32 v92, 0x3fb8aa3b, v90
	v_cmp_ngt_f32_e32 vcc_lo, 0xc2ce8ed0, v90
	s_delay_alu instid0(VALU_DEP_3) | instskip(NEXT) | instid1(VALU_DEP_3)
	v_add_f32_e32 v74, v74, v89
	v_fma_f32 v93, 0x3fb8aa3b, v90, -v92
	v_rndne_f32_e32 v97, v92
	v_cvt_f16_f32_e32 v89, v89
	s_delay_alu instid0(VALU_DEP_2) | instskip(NEXT) | instid1(VALU_DEP_1)
	v_dual_fmac_f32 v93, 0x32a5705f, v90 :: v_dual_sub_f32 v92, v92, v97
	v_add_f32_e32 v92, v92, v93
	v_cvt_i32_f32_e32 v93, v97
	s_delay_alu instid0(VALU_DEP_2) | instskip(NEXT) | instid1(TRANS32_DEP_1)
	v_exp_f32_e32 v92, v92
	v_ldexp_f32 v92, v92, v93
	s_wait_alu 0xfffd
	s_delay_alu instid0(VALU_DEP_1) | instskip(SKIP_2) | instid1(VALU_DEP_2)
	v_cndmask_b32_e32 v92, 0, v92, vcc_lo
	v_cmp_nlt_f32_e32 vcc_lo, 0x42b17218, v90
	s_wait_alu 0xfffd
	v_cndmask_b32_e32 v90, 0x7f800000, v92, vcc_lo
	s_delay_alu instid0(VALU_DEP_1) | instskip(SKIP_1) | instid1(VALU_DEP_1)
	v_fmac_f32_e32 v74, v75, v90
	v_cvt_f16_f32_e32 v75, v90
	v_and_b32_e32 v75, 0xffff, v75
	s_delay_alu instid0(VALU_DEP_1) | instskip(NEXT) | instid1(VALU_DEP_1)
	v_mul_u32_u24_e32 v75, 0x10001, v75
	v_pk_mul_f16 v82, v82, v75
	v_sub_f32_e32 v75, v110, v1
	s_delay_alu instid0(VALU_DEP_1) | instskip(SKIP_1) | instid1(VALU_DEP_2)
	v_mul_f32_e32 v90, 0x3fb8aa3b, v75
	v_cmp_ngt_f32_e32 vcc_lo, 0xc2ce8ed0, v75
	v_fma_f32 v92, 0x3fb8aa3b, v75, -v90
	v_rndne_f32_e32 v93, v90
	s_delay_alu instid0(VALU_DEP_2) | instskip(NEXT) | instid1(VALU_DEP_2)
	v_fmac_f32_e32 v92, 0x32a5705f, v75
	v_sub_f32_e32 v90, v90, v93
	s_delay_alu instid0(VALU_DEP_1) | instskip(SKIP_1) | instid1(VALU_DEP_2)
	v_add_f32_e32 v90, v90, v92
	v_cvt_i32_f32_e32 v92, v93
	v_exp_f32_e32 v90, v90
	s_delay_alu instid0(TRANS32_DEP_1) | instskip(SKIP_1) | instid1(VALU_DEP_1)
	v_ldexp_f32 v90, v90, v92
	s_wait_alu 0xfffd
	v_cndmask_b32_e32 v90, 0, v90, vcc_lo
	v_cmp_nlt_f32_e32 vcc_lo, 0x42b17218, v75
	s_wait_alu 0xfffd
	s_delay_alu instid0(VALU_DEP_2) | instskip(NEXT) | instid1(VALU_DEP_1)
	v_dual_cndmask_b32 v75, 0x7f800000, v90 :: v_dual_sub_f32 v90, v95, v1
	v_cvt_f16_f32_e32 v93, v75
	s_delay_alu instid0(VALU_DEP_2) | instskip(SKIP_1) | instid1(VALU_DEP_2)
	v_mul_f32_e32 v92, 0x3fb8aa3b, v90
	v_cmp_ngt_f32_e32 vcc_lo, 0xc2ce8ed0, v90
	v_fma_f32 v95, 0x3fb8aa3b, v90, -v92
	v_rndne_f32_e32 v97, v92
	s_delay_alu instid0(VALU_DEP_1) | instskip(NEXT) | instid1(VALU_DEP_1)
	v_dual_fmac_f32 v95, 0x32a5705f, v90 :: v_dual_sub_f32 v92, v92, v97
	v_add_f32_e32 v92, v92, v95
	v_cvt_i32_f32_e32 v95, v97
	s_delay_alu instid0(VALU_DEP_2) | instskip(NEXT) | instid1(TRANS32_DEP_1)
	v_exp_f32_e32 v92, v92
	v_ldexp_f32 v92, v92, v95
	s_wait_alu 0xfffd
	s_delay_alu instid0(VALU_DEP_1) | instskip(SKIP_2) | instid1(VALU_DEP_2)
	v_cndmask_b32_e32 v92, 0, v92, vcc_lo
	v_cmp_nlt_f32_e32 vcc_lo, 0x42b17218, v90
	s_wait_alu 0xfffd
	v_cndmask_b32_e32 v90, 0x7f800000, v92, vcc_lo
	v_mul_f32_e32 v92, 0x3fb8aa3b, v88
	v_cmp_ngt_f32_e32 vcc_lo, 0xc2ce8ed0, v88
	s_delay_alu instid0(VALU_DEP_3) | instskip(NEXT) | instid1(VALU_DEP_3)
	v_add_f32_e32 v75, v75, v90
	v_fma_f32 v95, 0x3fb8aa3b, v88, -v92
	v_rndne_f32_e32 v97, v92
	s_delay_alu instid0(VALU_DEP_1) | instskip(NEXT) | instid1(VALU_DEP_1)
	v_dual_fmac_f32 v95, 0x32a5705f, v88 :: v_dual_sub_f32 v92, v92, v97
	v_add_f32_e32 v92, v92, v95
	v_cvt_i32_f32_e32 v95, v97
	s_delay_alu instid0(VALU_DEP_2) | instskip(NEXT) | instid1(TRANS32_DEP_1)
	v_exp_f32_e32 v92, v92
	v_ldexp_f32 v92, v92, v95
	s_wait_alu 0xfffd
	s_delay_alu instid0(VALU_DEP_1) | instskip(SKIP_2) | instid1(VALU_DEP_2)
	v_cndmask_b32_e32 v92, 0, v92, vcc_lo
	v_cmp_nlt_f32_e32 vcc_lo, 0x42b17218, v88
	s_wait_alu 0xfffd
	v_cndmask_b32_e32 v88, 0x7f800000, v92, vcc_lo
	s_delay_alu instid0(VALU_DEP_1) | instskip(SKIP_1) | instid1(VALU_DEP_1)
	v_fmac_f32_e32 v75, v76, v88
	v_cvt_f16_f32_e32 v76, v88
	v_and_b32_e32 v76, 0xffff, v76
	s_delay_alu instid0(VALU_DEP_1) | instskip(NEXT) | instid1(VALU_DEP_1)
	v_mul_u32_u24_e32 v76, 0x10001, v76
	v_pk_mul_f16 v81, v81, v76
	v_sub_f32_e32 v76, v111, v2
	s_delay_alu instid0(VALU_DEP_1) | instskip(SKIP_1) | instid1(VALU_DEP_2)
	v_mul_f32_e32 v88, 0x3fb8aa3b, v76
	v_cmp_ngt_f32_e32 vcc_lo, 0xc2ce8ed0, v76
	v_fma_f32 v92, 0x3fb8aa3b, v76, -v88
	v_rndne_f32_e32 v95, v88
	s_delay_alu instid0(VALU_DEP_2) | instskip(NEXT) | instid1(VALU_DEP_2)
	v_fmac_f32_e32 v92, 0x32a5705f, v76
	v_sub_f32_e32 v88, v88, v95
	s_delay_alu instid0(VALU_DEP_1) | instskip(SKIP_1) | instid1(VALU_DEP_2)
	v_add_f32_e32 v88, v88, v92
	v_cvt_i32_f32_e32 v92, v95
	v_exp_f32_e32 v88, v88
	s_delay_alu instid0(TRANS32_DEP_1) | instskip(SKIP_1) | instid1(VALU_DEP_1)
	v_ldexp_f32 v88, v88, v92
	s_wait_alu 0xfffd
	v_cndmask_b32_e32 v88, 0, v88, vcc_lo
	v_cmp_nlt_f32_e32 vcc_lo, 0x42b17218, v76
	s_wait_alu 0xfffd
	s_delay_alu instid0(VALU_DEP_2) | instskip(SKIP_1) | instid1(VALU_DEP_2)
	v_cndmask_b32_e32 v76, 0x7f800000, v88, vcc_lo
	v_sub_f32_e32 v88, v112, v2
	v_cvt_f16_f32_e32 v95, v76
	s_delay_alu instid0(VALU_DEP_2) | instskip(SKIP_1) | instid1(VALU_DEP_2)
	v_mul_f32_e32 v92, 0x3fb8aa3b, v88
	v_cmp_ngt_f32_e32 vcc_lo, 0xc2ce8ed0, v88
	v_fma_f32 v97, 0x3fb8aa3b, v88, -v92
	v_rndne_f32_e32 v103, v92
	s_delay_alu instid0(VALU_DEP_1) | instskip(NEXT) | instid1(VALU_DEP_1)
	v_dual_fmac_f32 v97, 0x32a5705f, v88 :: v_dual_sub_f32 v92, v92, v103
	v_add_f32_e32 v92, v92, v97
	v_cvt_i32_f32_e32 v97, v103
	s_delay_alu instid0(VALU_DEP_2) | instskip(NEXT) | instid1(TRANS32_DEP_1)
	v_exp_f32_e32 v92, v92
	v_ldexp_f32 v92, v92, v97
	s_wait_alu 0xfffd
	s_delay_alu instid0(VALU_DEP_1) | instskip(SKIP_2) | instid1(VALU_DEP_2)
	v_cndmask_b32_e32 v92, 0, v92, vcc_lo
	v_cmp_nlt_f32_e32 vcc_lo, 0x42b17218, v88
	s_wait_alu 0xfffd
	v_cndmask_b32_e32 v88, 0x7f800000, v92, vcc_lo
	v_cmp_ngt_f32_e32 vcc_lo, 0xc2ce8ed0, v87
	s_delay_alu instid0(VALU_DEP_2) | instskip(SKIP_2) | instid1(VALU_DEP_1)
	v_add_f32_e32 v76, v76, v88
	v_cvt_f16_f32_e32 v92, v88
	v_mul_f32_e32 v88, 0x3fb8aa3b, v87
	v_fma_f32 v97, 0x3fb8aa3b, v87, -v88
	v_rndne_f32_e32 v103, v88
	s_delay_alu instid0(VALU_DEP_2) | instskip(NEXT) | instid1(VALU_DEP_2)
	v_fmac_f32_e32 v97, 0x32a5705f, v87
	v_sub_f32_e32 v88, v88, v103
	s_delay_alu instid0(VALU_DEP_1) | instskip(SKIP_1) | instid1(VALU_DEP_2)
	v_add_f32_e32 v88, v88, v97
	v_cvt_i32_f32_e32 v97, v103
	v_exp_f32_e32 v88, v88
	s_delay_alu instid0(TRANS32_DEP_1) | instskip(SKIP_1) | instid1(VALU_DEP_1)
	v_ldexp_f32 v88, v88, v97
	s_wait_alu 0xfffd
	v_cndmask_b32_e32 v88, 0, v88, vcc_lo
	v_cmp_nlt_f32_e32 vcc_lo, 0x42b17218, v87
	s_wait_alu 0xfffd
	s_delay_alu instid0(VALU_DEP_2) | instskip(NEXT) | instid1(VALU_DEP_1)
	v_cndmask_b32_e32 v87, 0x7f800000, v88, vcc_lo
	v_fmac_f32_e32 v76, v77, v87
	v_cvt_f16_f32_e32 v77, v87
	s_delay_alu instid0(VALU_DEP_1) | instskip(NEXT) | instid1(VALU_DEP_1)
	v_and_b32_e32 v77, 0xffff, v77
	v_mul_u32_u24_e32 v77, 0x10001, v77
	s_delay_alu instid0(VALU_DEP_1) | instskip(SKIP_1) | instid1(VALU_DEP_1)
	v_pk_mul_f16 v87, v31, v77
	v_sub_f32_e32 v31, v113, v3
	v_mul_f32_e32 v77, 0x3fb8aa3b, v31
	v_cmp_ngt_f32_e32 vcc_lo, 0xc2ce8ed0, v31
	s_delay_alu instid0(VALU_DEP_2) | instskip(SKIP_1) | instid1(VALU_DEP_1)
	v_fma_f32 v88, 0x3fb8aa3b, v31, -v77
	v_rndne_f32_e32 v97, v77
	v_dual_fmac_f32 v88, 0x32a5705f, v31 :: v_dual_sub_f32 v77, v77, v97
	s_delay_alu instid0(VALU_DEP_1) | instskip(SKIP_1) | instid1(VALU_DEP_2)
	v_add_f32_e32 v77, v77, v88
	v_cvt_i32_f32_e32 v88, v97
	v_exp_f32_e32 v77, v77
	s_delay_alu instid0(TRANS32_DEP_1) | instskip(SKIP_1) | instid1(VALU_DEP_1)
	v_ldexp_f32 v77, v77, v88
	s_wait_alu 0xfffd
	v_cndmask_b32_e32 v77, 0, v77, vcc_lo
	v_cmp_nlt_f32_e32 vcc_lo, 0x42b17218, v31
	s_wait_alu 0xfffd
	s_delay_alu instid0(VALU_DEP_2) | instskip(SKIP_1) | instid1(VALU_DEP_2)
	v_cndmask_b32_e32 v31, 0x7f800000, v77, vcc_lo
	v_sub_f32_e32 v77, v114, v3
	v_cvt_f16_f32_e32 v97, v31
	s_delay_alu instid0(VALU_DEP_2) | instskip(SKIP_1) | instid1(VALU_DEP_2)
	v_mul_f32_e32 v88, 0x3fb8aa3b, v77
	v_cmp_ngt_f32_e32 vcc_lo, 0xc2ce8ed0, v77
	v_fma_f32 v103, 0x3fb8aa3b, v77, -v88
	v_rndne_f32_e32 v104, v88
	s_delay_alu instid0(VALU_DEP_1) | instskip(NEXT) | instid1(VALU_DEP_1)
	v_dual_fmac_f32 v103, 0x32a5705f, v77 :: v_dual_sub_f32 v88, v88, v104
	v_add_f32_e32 v88, v88, v103
	v_cvt_i32_f32_e32 v103, v104
	s_delay_alu instid0(VALU_DEP_2) | instskip(NEXT) | instid1(TRANS32_DEP_1)
	v_exp_f32_e32 v88, v88
	v_ldexp_f32 v88, v88, v103
	s_wait_alu 0xfffd
	s_delay_alu instid0(VALU_DEP_1) | instskip(SKIP_2) | instid1(VALU_DEP_2)
	v_cndmask_b32_e32 v88, 0, v88, vcc_lo
	v_cmp_nlt_f32_e32 vcc_lo, 0x42b17218, v77
	s_wait_alu 0xfffd
	v_cndmask_b32_e32 v88, 0x7f800000, v88, vcc_lo
	v_cmp_ngt_f32_e32 vcc_lo, 0xc2ce8ed0, v86
	s_delay_alu instid0(VALU_DEP_2) | instskip(SKIP_2) | instid1(VALU_DEP_1)
	v_add_f32_e32 v77, v31, v88
	v_cvt_f16_f32_e32 v31, v88
	v_mul_f32_e32 v88, 0x3fb8aa3b, v86
	v_fma_f32 v103, 0x3fb8aa3b, v86, -v88
	v_rndne_f32_e32 v104, v88
	s_delay_alu instid0(VALU_DEP_1) | instskip(NEXT) | instid1(VALU_DEP_1)
	v_dual_fmac_f32 v103, 0x32a5705f, v86 :: v_dual_sub_f32 v88, v88, v104
	v_add_f32_e32 v88, v88, v103
	v_cvt_i32_f32_e32 v103, v104
	s_delay_alu instid0(VALU_DEP_2) | instskip(NEXT) | instid1(TRANS32_DEP_1)
	v_exp_f32_e32 v88, v88
	v_ldexp_f32 v88, v88, v103
	s_wait_alu 0xfffd
	s_delay_alu instid0(VALU_DEP_1) | instskip(SKIP_2) | instid1(VALU_DEP_2)
	v_cndmask_b32_e32 v88, 0, v88, vcc_lo
	v_cmp_nlt_f32_e32 vcc_lo, 0x42b17218, v86
	s_wait_alu 0xfffd
	v_cndmask_b32_e32 v86, 0x7f800000, v88, vcc_lo
	s_delay_alu instid0(VALU_DEP_1) | instskip(SKIP_2) | instid1(VALU_DEP_2)
	v_fmac_f32_e32 v77, v78, v86
	v_cvt_f16_f32_e32 v78, v86
	v_cvt_f16_f32_e32 v90, v90
	v_and_b32_e32 v78, 0xffff, v78
	s_delay_alu instid0(VALU_DEP_1) | instskip(NEXT) | instid1(VALU_DEP_1)
	v_mul_u32_u24_e32 v78, 0x10001, v78
	v_pk_mul_f16 v86, v30, v78
	v_sub_f32_e32 v30, v115, v4
	s_delay_alu instid0(VALU_DEP_1) | instskip(SKIP_1) | instid1(VALU_DEP_2)
	v_mul_f32_e32 v78, 0x3fb8aa3b, v30
	v_cmp_ngt_f32_e32 vcc_lo, 0xc2ce8ed0, v30
	v_fma_f32 v88, 0x3fb8aa3b, v30, -v78
	v_rndne_f32_e32 v103, v78
	s_delay_alu instid0(VALU_DEP_2) | instskip(NEXT) | instid1(VALU_DEP_2)
	v_fmac_f32_e32 v88, 0x32a5705f, v30
	v_sub_f32_e32 v78, v78, v103
	s_delay_alu instid0(VALU_DEP_1) | instskip(SKIP_1) | instid1(VALU_DEP_2)
	v_add_f32_e32 v78, v78, v88
	v_cvt_i32_f32_e32 v88, v103
	v_exp_f32_e32 v78, v78
	s_delay_alu instid0(TRANS32_DEP_1) | instskip(SKIP_1) | instid1(VALU_DEP_1)
	v_ldexp_f32 v78, v78, v88
	s_wait_alu 0xfffd
	v_cndmask_b32_e32 v78, 0, v78, vcc_lo
	v_cmp_nlt_f32_e32 vcc_lo, 0x42b17218, v30
	s_wait_alu 0xfffd
	s_delay_alu instid0(VALU_DEP_2) | instskip(SKIP_1) | instid1(VALU_DEP_2)
	v_cndmask_b32_e32 v30, 0x7f800000, v78, vcc_lo
	v_sub_f32_e32 v78, v102, v4
	v_cvt_f16_f32_e32 v103, v30
	s_delay_alu instid0(VALU_DEP_2) | instskip(SKIP_1) | instid1(VALU_DEP_2)
	v_mul_f32_e32 v88, 0x3fb8aa3b, v78
	v_cmp_ngt_f32_e32 vcc_lo, 0xc2ce8ed0, v78
	v_fma_f32 v102, 0x3fb8aa3b, v78, -v88
	v_rndne_f32_e32 v104, v88
	s_delay_alu instid0(VALU_DEP_2) | instskip(NEXT) | instid1(VALU_DEP_2)
	v_fmac_f32_e32 v102, 0x32a5705f, v78
	v_sub_f32_e32 v88, v88, v104
	s_delay_alu instid0(VALU_DEP_1) | instskip(SKIP_1) | instid1(VALU_DEP_2)
	v_add_f32_e32 v88, v88, v102
	v_cvt_i32_f32_e32 v102, v104
	v_exp_f32_e32 v88, v88
	s_delay_alu instid0(TRANS32_DEP_1) | instskip(SKIP_1) | instid1(VALU_DEP_1)
	v_ldexp_f32 v88, v88, v102
	s_wait_alu 0xfffd
	v_cndmask_b32_e32 v88, 0, v88, vcc_lo
	v_cmp_nlt_f32_e32 vcc_lo, 0x42b17218, v78
	s_wait_alu 0xfffd
	s_delay_alu instid0(VALU_DEP_2) | instskip(SKIP_1) | instid1(VALU_DEP_2)
	v_cndmask_b32_e32 v88, 0x7f800000, v88, vcc_lo
	v_cmp_ngt_f32_e32 vcc_lo, 0xc2ce8ed0, v85
	v_add_f32_e32 v78, v30, v88
	v_cvt_f16_f32_e32 v30, v88
	v_mul_f32_e32 v88, 0x3fb8aa3b, v85
	s_delay_alu instid0(VALU_DEP_1) | instskip(SKIP_1) | instid1(VALU_DEP_2)
	v_fma_f32 v102, 0x3fb8aa3b, v85, -v88
	v_rndne_f32_e32 v104, v88
	v_fmac_f32_e32 v102, 0x32a5705f, v85
	s_delay_alu instid0(VALU_DEP_2) | instskip(NEXT) | instid1(VALU_DEP_1)
	v_sub_f32_e32 v88, v88, v104
	v_add_f32_e32 v88, v88, v102
	v_cvt_i32_f32_e32 v102, v104
	s_delay_alu instid0(VALU_DEP_2) | instskip(NEXT) | instid1(TRANS32_DEP_1)
	v_exp_f32_e32 v88, v88
	v_ldexp_f32 v88, v88, v102
	s_wait_alu 0xfffd
	s_delay_alu instid0(VALU_DEP_1) | instskip(SKIP_2) | instid1(VALU_DEP_2)
	v_cndmask_b32_e32 v88, 0, v88, vcc_lo
	v_cmp_nlt_f32_e32 vcc_lo, 0x42b17218, v85
	s_wait_alu 0xfffd
	v_cndmask_b32_e32 v85, 0x7f800000, v88, vcc_lo
	s_delay_alu instid0(VALU_DEP_1) | instskip(SKIP_1) | instid1(VALU_DEP_1)
	v_fmac_f32_e32 v78, v79, v85
	v_cvt_f16_f32_e32 v79, v85
	v_and_b32_e32 v79, 0xffff, v79
	s_delay_alu instid0(VALU_DEP_1) | instskip(NEXT) | instid1(VALU_DEP_1)
	v_mul_u32_u24_e32 v79, 0x10001, v79
	v_pk_mul_f16 v85, v29, v79
	v_sub_f32_e32 v79, v101, v5
	s_delay_alu instid0(VALU_DEP_1) | instskip(SKIP_1) | instid1(VALU_DEP_2)
	v_dual_sub_f32 v29, v84, v5 :: v_dual_mul_f32 v84, 0x3fb8aa3b, v79
	v_cmp_ngt_f32_e32 vcc_lo, 0xc2ce8ed0, v79
	v_fma_f32 v88, 0x3fb8aa3b, v79, -v84
	v_rndne_f32_e32 v101, v84
	s_delay_alu instid0(VALU_DEP_2) | instskip(NEXT) | instid1(VALU_DEP_2)
	v_fmac_f32_e32 v88, 0x32a5705f, v79
	v_sub_f32_e32 v84, v84, v101
	s_delay_alu instid0(VALU_DEP_1) | instskip(SKIP_1) | instid1(VALU_DEP_2)
	v_add_f32_e32 v84, v84, v88
	v_cvt_i32_f32_e32 v88, v101
	v_exp_f32_e32 v84, v84
	s_delay_alu instid0(TRANS32_DEP_1) | instskip(SKIP_1) | instid1(VALU_DEP_1)
	v_ldexp_f32 v84, v84, v88
	s_wait_alu 0xfffd
	v_cndmask_b32_e32 v84, 0, v84, vcc_lo
	v_cmp_nlt_f32_e32 vcc_lo, 0x42b17218, v79
	s_wait_alu 0xfffd
	s_delay_alu instid0(VALU_DEP_2) | instskip(NEXT) | instid1(VALU_DEP_1)
	v_dual_cndmask_b32 v79, 0x7f800000, v84 :: v_dual_sub_f32 v84, v100, v5
	v_cvt_f16_f32_e32 v101, v79
	s_delay_alu instid0(VALU_DEP_2) | instskip(SKIP_1) | instid1(VALU_DEP_2)
	v_mul_f32_e32 v88, 0x3fb8aa3b, v84
	v_cmp_ngt_f32_e32 vcc_lo, 0xc2ce8ed0, v84
	v_fma_f32 v100, 0x3fb8aa3b, v84, -v88
	v_rndne_f32_e32 v102, v88
	s_delay_alu instid0(VALU_DEP_2) | instskip(NEXT) | instid1(VALU_DEP_2)
	v_fmac_f32_e32 v100, 0x32a5705f, v84
	v_sub_f32_e32 v88, v88, v102
	s_delay_alu instid0(VALU_DEP_1) | instskip(SKIP_1) | instid1(VALU_DEP_2)
	v_add_f32_e32 v88, v88, v100
	v_cvt_i32_f32_e32 v100, v102
	v_exp_f32_e32 v88, v88
	s_delay_alu instid0(TRANS32_DEP_1) | instskip(SKIP_1) | instid1(VALU_DEP_1)
	v_ldexp_f32 v88, v88, v100
	s_wait_alu 0xfffd
	v_cndmask_b32_e32 v88, 0, v88, vcc_lo
	v_cmp_nlt_f32_e32 vcc_lo, 0x42b17218, v84
	s_wait_alu 0xfffd
	s_delay_alu instid0(VALU_DEP_2) | instskip(SKIP_1) | instid1(VALU_DEP_2)
	v_cndmask_b32_e32 v84, 0x7f800000, v88, vcc_lo
	v_cmp_ngt_f32_e32 vcc_lo, 0xc2ce8ed0, v29
	v_add_f32_e32 v79, v79, v84
	v_cvt_f16_f32_e32 v100, v84
	v_mul_f32_e32 v84, 0x3fb8aa3b, v29
	s_delay_alu instid0(VALU_DEP_1) | instskip(SKIP_1) | instid1(VALU_DEP_2)
	v_fma_f32 v88, 0x3fb8aa3b, v29, -v84
	v_rndne_f32_e32 v102, v84
	v_fmac_f32_e32 v88, 0x32a5705f, v29
	s_delay_alu instid0(VALU_DEP_2) | instskip(NEXT) | instid1(VALU_DEP_1)
	v_sub_f32_e32 v84, v84, v102
	v_add_f32_e32 v84, v84, v88
	v_cvt_i32_f32_e32 v88, v102
	s_delay_alu instid0(VALU_DEP_2) | instskip(NEXT) | instid1(TRANS32_DEP_1)
	v_exp_f32_e32 v84, v84
	v_ldexp_f32 v84, v84, v88
	s_wait_alu 0xfffd
	s_delay_alu instid0(VALU_DEP_1) | instskip(SKIP_2) | instid1(VALU_DEP_2)
	v_cndmask_b32_e32 v84, 0, v84, vcc_lo
	v_cmp_nlt_f32_e32 vcc_lo, 0x42b17218, v29
	s_wait_alu 0xfffd
	v_cndmask_b32_e32 v29, 0x7f800000, v84, vcc_lo
	s_delay_alu instid0(VALU_DEP_1) | instskip(SKIP_1) | instid1(VALU_DEP_1)
	v_fmac_f32_e32 v79, v80, v29
	v_cvt_f16_f32_e32 v29, v29
	v_and_b32_e32 v29, 0xffff, v29
	s_delay_alu instid0(VALU_DEP_1) | instskip(NEXT) | instid1(VALU_DEP_1)
	v_mul_u32_u24_e32 v29, 0x10001, v29
	v_pk_mul_f16 v84, v28, v29
	v_sub_f32_e32 v29, v99, v6
	v_sub_f32_e32 v28, v83, v6
	s_delay_alu instid0(VALU_DEP_2) | instskip(SKIP_1) | instid1(VALU_DEP_2)
	v_mul_f32_e32 v80, 0x3fb8aa3b, v29
	v_cmp_ngt_f32_e32 vcc_lo, 0xc2ce8ed0, v29
	v_fma_f32 v83, 0x3fb8aa3b, v29, -v80
	v_rndne_f32_e32 v88, v80
	s_delay_alu instid0(VALU_DEP_1) | instskip(NEXT) | instid1(VALU_DEP_1)
	v_dual_fmac_f32 v83, 0x32a5705f, v29 :: v_dual_sub_f32 v80, v80, v88
	v_add_f32_e32 v80, v80, v83
	v_cvt_i32_f32_e32 v83, v88
	s_delay_alu instid0(VALU_DEP_2) | instskip(NEXT) | instid1(TRANS32_DEP_1)
	v_exp_f32_e32 v80, v80
	v_ldexp_f32 v80, v80, v83
	s_wait_alu 0xfffd
	s_delay_alu instid0(VALU_DEP_1) | instskip(SKIP_2) | instid1(VALU_DEP_2)
	v_cndmask_b32_e32 v80, 0, v80, vcc_lo
	v_cmp_nlt_f32_e32 vcc_lo, 0x42b17218, v29
	s_wait_alu 0xfffd
	v_dual_cndmask_b32 v29, 0x7f800000, v80 :: v_dual_sub_f32 v80, v98, v6
	s_delay_alu instid0(VALU_DEP_1) | instskip(NEXT) | instid1(VALU_DEP_2)
	v_cvt_f16_f32_e32 v99, v29
	v_mul_f32_e32 v83, 0x3fb8aa3b, v80
	v_cmp_ngt_f32_e32 vcc_lo, 0xc2ce8ed0, v80
	s_delay_alu instid0(VALU_DEP_2) | instskip(SKIP_1) | instid1(VALU_DEP_1)
	v_fma_f32 v88, 0x3fb8aa3b, v80, -v83
	v_rndne_f32_e32 v98, v83
	v_dual_fmac_f32 v88, 0x32a5705f, v80 :: v_dual_sub_f32 v83, v83, v98
	s_delay_alu instid0(VALU_DEP_1) | instskip(SKIP_1) | instid1(VALU_DEP_2)
	v_add_f32_e32 v83, v83, v88
	v_cvt_i32_f32_e32 v88, v98
	v_exp_f32_e32 v83, v83
	s_delay_alu instid0(TRANS32_DEP_1) | instskip(SKIP_1) | instid1(VALU_DEP_1)
	v_ldexp_f32 v83, v83, v88
	s_wait_alu 0xfffd
	v_cndmask_b32_e32 v83, 0, v83, vcc_lo
	v_cmp_nlt_f32_e32 vcc_lo, 0x42b17218, v80
	s_wait_alu 0xfffd
	s_delay_alu instid0(VALU_DEP_2) | instskip(SKIP_1) | instid1(VALU_DEP_2)
	v_cndmask_b32_e32 v83, 0x7f800000, v83, vcc_lo
	v_cmp_ngt_f32_e32 vcc_lo, 0xc2ce8ed0, v28
	v_add_f32_e32 v80, v29, v83
	v_cvt_f16_f32_e32 v29, v83
	v_mul_f32_e32 v83, 0x3fb8aa3b, v28
	s_delay_alu instid0(VALU_DEP_1) | instskip(SKIP_1) | instid1(VALU_DEP_1)
	v_fma_f32 v88, 0x3fb8aa3b, v28, -v83
	v_rndne_f32_e32 v98, v83
	v_dual_fmac_f32 v88, 0x32a5705f, v28 :: v_dual_sub_f32 v83, v83, v98
	s_delay_alu instid0(VALU_DEP_1) | instskip(SKIP_1) | instid1(VALU_DEP_2)
	v_add_f32_e32 v83, v83, v88
	v_cvt_i32_f32_e32 v88, v98
	v_exp_f32_e32 v83, v83
	s_delay_alu instid0(TRANS32_DEP_1) | instskip(SKIP_1) | instid1(VALU_DEP_1)
	v_ldexp_f32 v83, v83, v88
	s_wait_alu 0xfffd
	v_cndmask_b32_e32 v83, 0, v83, vcc_lo
	v_cmp_nlt_f32_e32 vcc_lo, 0x42b17218, v28
	s_wait_alu 0xfffd
	s_delay_alu instid0(VALU_DEP_2) | instskip(NEXT) | instid1(VALU_DEP_1)
	v_cndmask_b32_e32 v28, 0x7f800000, v83, vcc_lo
	v_fmac_f32_e32 v80, v24, v28
	v_cvt_f16_f32_e32 v24, v28
	s_delay_alu instid0(VALU_DEP_1) | instskip(NEXT) | instid1(VALU_DEP_1)
	v_and_b32_e32 v24, 0xffff, v24
	v_mul_u32_u24_e32 v24, 0x10001, v24
	s_delay_alu instid0(VALU_DEP_1) | instskip(SKIP_2) | instid1(VALU_DEP_1)
	v_pk_mul_f16 v83, v27, v24
	v_sub_f32_e32 v24, v25, v7
	v_sub_f32_e32 v25, v96, v7
	v_mul_f32_e32 v27, 0x3fb8aa3b, v25
	v_cmp_ngt_f32_e32 vcc_lo, 0xc2ce8ed0, v25
	s_delay_alu instid0(VALU_DEP_2) | instskip(SKIP_1) | instid1(VALU_DEP_1)
	v_fma_f32 v28, 0x3fb8aa3b, v25, -v27
	v_rndne_f32_e32 v88, v27
	v_dual_fmac_f32 v28, 0x32a5705f, v25 :: v_dual_sub_f32 v27, v27, v88
	s_delay_alu instid0(VALU_DEP_1) | instskip(SKIP_1) | instid1(VALU_DEP_2)
	v_add_f32_e32 v27, v27, v28
	v_cvt_i32_f32_e32 v28, v88
	v_exp_f32_e32 v27, v27
	s_delay_alu instid0(TRANS32_DEP_1) | instskip(SKIP_2) | instid1(VALU_DEP_1)
	v_ldexp_f32 v27, v27, v28
	v_sub_f32_e32 v28, v94, v7
	s_wait_alu 0xfffd
	v_dual_cndmask_b32 v27, 0, v27 :: v_dual_mul_f32 v88, 0x3fb8aa3b, v28
	v_cmp_nlt_f32_e32 vcc_lo, 0x42b17218, v25
	s_delay_alu instid0(VALU_DEP_2)
	v_fma_f32 v94, 0x3fb8aa3b, v28, -v88
	v_rndne_f32_e32 v96, v88
	s_wait_alu 0xfffd
	v_cndmask_b32_e32 v25, 0x7f800000, v27, vcc_lo
	v_cmp_ngt_f32_e32 vcc_lo, 0xc2ce8ed0, v28
	v_fmac_f32_e32 v94, 0x32a5705f, v28
	v_sub_f32_e32 v88, v88, v96
	s_delay_alu instid0(VALU_DEP_4) | instskip(NEXT) | instid1(VALU_DEP_2)
	v_cvt_f16_f32_e32 v27, v25
	v_add_f32_e32 v88, v88, v94
	v_cvt_i32_f32_e32 v94, v96
	s_delay_alu instid0(VALU_DEP_3) | instskip(NEXT) | instid1(VALU_DEP_3)
	v_pack_b32_f16 v27, v99, v27
	v_exp_f32_e32 v88, v88
	s_delay_alu instid0(TRANS32_DEP_1) | instskip(SKIP_1) | instid1(VALU_DEP_1)
	v_ldexp_f32 v88, v88, v94
	s_wait_alu 0xfffd
	v_cndmask_b32_e32 v88, 0, v88, vcc_lo
	v_cmp_nlt_f32_e32 vcc_lo, 0x42b17218, v28
	s_wait_alu 0xfffd
	s_delay_alu instid0(VALU_DEP_2) | instskip(SKIP_2) | instid1(VALU_DEP_3)
	v_cndmask_b32_e32 v28, 0x7f800000, v88, vcc_lo
	v_mul_f32_e32 v88, 0x3fb8aa3b, v24
	v_cmp_ngt_f32_e32 vcc_lo, 0xc2ce8ed0, v24
	v_add_f32_e32 v25, v25, v28
	s_delay_alu instid0(VALU_DEP_3) | instskip(SKIP_2) | instid1(VALU_DEP_3)
	v_fma_f32 v94, 0x3fb8aa3b, v24, -v88
	v_rndne_f32_e32 v96, v88
	v_cvt_f16_f32_e32 v28, v28
	v_fmac_f32_e32 v94, 0x32a5705f, v24
	s_delay_alu instid0(VALU_DEP_3) | instskip(NEXT) | instid1(VALU_DEP_1)
	v_sub_f32_e32 v88, v88, v96
	v_add_f32_e32 v88, v88, v94
	v_cvt_i32_f32_e32 v94, v96
	s_delay_alu instid0(VALU_DEP_2) | instskip(NEXT) | instid1(TRANS32_DEP_1)
	v_exp_f32_e32 v88, v88
	v_ldexp_f32 v88, v88, v94
	s_wait_alu 0xfffd
	s_delay_alu instid0(VALU_DEP_1) | instskip(SKIP_2) | instid1(VALU_DEP_2)
	v_cndmask_b32_e32 v88, 0, v88, vcc_lo
	v_cmp_nlt_f32_e32 vcc_lo, 0x42b17218, v24
	s_wait_alu 0xfffd
	v_cndmask_b32_e32 v24, 0x7f800000, v88, vcc_lo
	v_dual_mov_b32 v88, v49 :: v_dual_mov_b32 v49, v25
	v_pack_b32_f16 v25, v95, v97
	s_delay_alu instid0(VALU_DEP_2) | instskip(SKIP_1) | instid1(VALU_DEP_1)
	v_fmac_f32_e32 v49, v88, v24
	v_cvt_f16_f32_e32 v24, v24
	v_and_b32_e32 v24, 0xffff, v24
	s_delay_alu instid0(VALU_DEP_1) | instskip(NEXT) | instid1(VALU_DEP_1)
	v_mul_u32_u24_e32 v24, 0x10001, v24
	v_pk_mul_f16 v88, v26, v24
	v_pack_b32_f16 v26, v103, v101
	v_pack_b32_f16 v24, v91, v93
	ds_store_b128 v66, v[24:27]
	v_pack_b32_f16 v27, v29, v28
	v_pack_b32_f16 v26, v30, v100
	v_pack_b32_f16 v25, v92, v31
	v_pack_b32_f16 v24, v89, v90
	ds_store_b128 v66, v[24:27] offset:512
	s_wait_alu 0xfffe
	v_add_co_u32 v24, vcc_lo, s24, v16
	s_wait_alu 0xfffd
	v_add_co_ci_u32_e64 v25, null, s25, v17, vcc_lo
	s_delay_alu instid0(VALU_DEP_2) | instskip(SKIP_1) | instid1(VALU_DEP_2)
	v_add_co_u32 v30, vcc_lo, v24, v65
	s_wait_alu 0xfffd
	v_add_co_ci_u32_e64 v31, null, 0, v25, vcc_lo
	v_add_co_u32 v24, vcc_lo, s24, v18
	s_wait_alu 0xfffd
	v_add_co_ci_u32_e64 v25, null, s25, v19, vcc_lo
	global_load_b128 v[89:92], v[30:31], off
	v_add_co_u32 v28, vcc_lo, v24, v65
	s_wait_alu 0xfffd
	v_add_co_ci_u32_e64 v29, null, 0, v25, vcc_lo
	v_add_co_u32 v24, vcc_lo, s24, v20
	s_wait_alu 0xfffd
	v_add_co_ci_u32_e64 v25, null, s25, v21, vcc_lo
	global_load_b128 v[28:31], v[28:29], off
	v_add_co_u32 v26, vcc_lo, v24, v65
	s_wait_alu 0xfffd
	v_add_co_ci_u32_e64 v27, null, 0, v25, vcc_lo
	v_add_co_u32 v24, vcc_lo, s24, v22
	s_wait_alu 0xfffd
	v_add_co_ci_u32_e64 v25, null, s25, v23, vcc_lo
	s_delay_alu instid0(VALU_DEP_2) | instskip(SKIP_1) | instid1(VALU_DEP_2)
	v_add_co_u32 v24, vcc_lo, v24, v65
	s_wait_alu 0xfffd
	v_add_co_ci_u32_e64 v25, null, 0, v25, vcc_lo
	s_wait_loadcnt 0x1
	ds_store_b128 v60, v[89:92]
	s_wait_loadcnt 0x0
	ds_store_b128 v62, v[28:31]
	global_load_b128 v[26:29], v[26:27], off
	s_wait_loadcnt 0x0
	ds_store_b128 v63, v[26:29]
	global_load_b128 v[24:27], v[24:25], off
	s_wait_loadcnt 0x0
	ds_store_b128 v64, v[24:27]
	s_wait_dscnt 0x0
	s_barrier_signal -1
	s_barrier_wait -1
	global_inv scope:SCOPE_SE
	ds_load_2addr_b32 v[97:98], v51 offset1:32
	ds_load_b128 v[24:27], v61
	ds_load_b128 v[28:31], v61 offset:16
	ds_load_b128 v[89:92], v61 offset:32
	ds_load_b128 v[93:96], v61 offset:48
	s_wait_dscnt 0x3
	v_lshrrev_b32_e32 v99, 16, v24
	v_lshrrev_b32_e32 v100, 16, v25
	;; [unrolled: 1-line block ×3, first 2 shown]
	v_and_b32_e32 v24, 0xffff, v24
	v_and_b32_e32 v26, 0xffff, v26
	;; [unrolled: 1-line block ×3, first 2 shown]
	v_lshrrev_b32_e32 v102, 16, v27
	v_and_b32_e32 v27, 0xffff, v27
	v_mul_u32_u24_e32 v24, 0x10001, v24
	v_mul_u32_u24_e32 v100, 0x10001, v100
	;; [unrolled: 1-line block ×8, first 2 shown]
	v_pk_fma_f16 v24, v97, v24, v82
	v_pk_fma_f16 v82, v97, v100, v86
	;; [unrolled: 1-line block ×3, first 2 shown]
	s_wait_dscnt 0x2
	v_lshrrev_b32_e32 v85, 16, v28
	v_lshrrev_b32_e32 v86, 16, v29
	v_and_b32_e32 v28, 0xffff, v28
	v_and_b32_e32 v29, 0xffff, v29
	v_pk_fma_f16 v25, v97, v25, v87
	v_pk_fma_f16 v27, v97, v27, v83
	;; [unrolled: 1-line block ×3, first 2 shown]
	v_lshrrev_b32_e32 v87, 16, v30
	v_lshrrev_b32_e32 v88, 16, v31
	v_and_b32_e32 v30, 0xffff, v30
	v_and_b32_e32 v31, 0xffff, v31
	v_pk_fma_f16 v81, v97, v99, v81
	v_pk_fma_f16 v84, v97, v101, v84
	v_mul_u32_u24_e32 v28, 0x10001, v28
	v_mul_u32_u24_e32 v29, 0x10001, v29
	;; [unrolled: 1-line block ×8, first 2 shown]
	v_pk_fma_f16 v28, v98, v28, v24
	v_pk_fma_f16 v29, v98, v29, v25
	ds_load_2addr_b32 v[24:25], v51 offset0:64 offset1:96
	v_pk_fma_f16 v81, v98, v85, v81
	v_pk_fma_f16 v82, v98, v86, v82
	;; [unrolled: 1-line block ×6, first 2 shown]
	s_wait_dscnt 0x2
	v_lshrrev_b32_e32 v83, 16, v89
	v_lshrrev_b32_e32 v84, 16, v90
	;; [unrolled: 1-line block ×4, first 2 shown]
	v_and_b32_e32 v87, 0xffff, v89
	v_and_b32_e32 v88, 0xffff, v90
	;; [unrolled: 1-line block ×4, first 2 shown]
	v_mul_u32_u24_e32 v83, 0x10001, v83
	v_mul_u32_u24_e32 v87, 0x10001, v87
	;; [unrolled: 1-line block ×8, first 2 shown]
	s_wait_dscnt 0x0
	v_pk_fma_f16 v28, v24, v87, v28
	v_pk_fma_f16 v81, v24, v83, v81
	v_pk_fma_f16 v29, v24, v88, v29
	v_pk_fma_f16 v82, v24, v84, v82
	v_pk_fma_f16 v26, v24, v89, v26
	v_pk_fma_f16 v30, v24, v85, v30
	v_pk_fma_f16 v27, v24, v90, v27
	v_pk_fma_f16 v24, v24, v86, v31
	v_lshrrev_b32_e32 v31, 16, v93
	v_lshrrev_b32_e32 v83, 16, v94
	v_lshrrev_b32_e32 v84, 16, v95
	v_lshrrev_b32_e32 v85, 16, v96
	v_and_b32_e32 v86, 0xffff, v93
	v_and_b32_e32 v87, 0xffff, v94
	;; [unrolled: 1-line block ×4, first 2 shown]
	v_mul_u32_u24_e32 v31, 0x10001, v31
	v_mul_u32_u24_e32 v86, 0x10001, v86
	;; [unrolled: 1-line block ×8, first 2 shown]
	v_pk_fma_f16 v86, v25, v86, v28
	v_pk_fma_f16 v31, v25, v31, v81
	;; [unrolled: 1-line block ×8, first 2 shown]
	ds_load_2addr_b32 v[28:29], v51 offset0:128 offset1:160
	ds_load_b128 v[24:27], v61 offset:64
	s_wait_dscnt 0x0
	v_lshrrev_b32_e32 v87, 16, v24
	v_lshrrev_b32_e32 v88, 16, v25
	;; [unrolled: 1-line block ×4, first 2 shown]
	v_and_b32_e32 v24, 0xffff, v24
	v_and_b32_e32 v25, 0xffff, v25
	;; [unrolled: 1-line block ×4, first 2 shown]
	v_mul_u32_u24_e32 v87, 0x10001, v87
	v_mul_u32_u24_e32 v24, 0x10001, v24
	;; [unrolled: 1-line block ×8, first 2 shown]
	v_pk_fma_f16 v86, v28, v24, v86
	v_pk_fma_f16 v81, v28, v25, v81
	;; [unrolled: 1-line block ×4, first 2 shown]
	ds_load_b128 v[24:27], v61 offset:80
	v_pk_fma_f16 v31, v28, v87, v31
	v_pk_fma_f16 v82, v28, v88, v82
	;; [unrolled: 1-line block ×4, first 2 shown]
	s_wait_dscnt 0x0
	v_lshrrev_b32_e32 v85, 16, v24
	v_lshrrev_b32_e32 v87, 16, v25
	;; [unrolled: 1-line block ×4, first 2 shown]
	v_and_b32_e32 v24, 0xffff, v24
	v_and_b32_e32 v25, 0xffff, v25
	v_and_b32_e32 v26, 0xffff, v26
	v_and_b32_e32 v27, 0xffff, v27
	v_mul_u32_u24_e32 v85, 0x10001, v85
	v_mul_u32_u24_e32 v24, 0x10001, v24
	;; [unrolled: 1-line block ×8, first 2 shown]
	v_pk_fma_f16 v86, v29, v24, v86
	v_pk_fma_f16 v31, v29, v85, v31
	v_pk_fma_f16 v81, v29, v25, v81
	v_pk_fma_f16 v82, v29, v87, v82
	v_pk_fma_f16 v83, v29, v26, v83
	v_pk_fma_f16 v30, v29, v88, v30
	v_pk_fma_f16 v84, v29, v27, v84
	v_pk_fma_f16 v85, v29, v89, v28
	ds_load_2addr_b32 v[28:29], v51 offset0:192 offset1:224
	ds_load_b128 v[24:27], v61 offset:96
	s_wait_dscnt 0x0
	v_lshrrev_b32_e32 v87, 16, v24
	v_lshrrev_b32_e32 v88, 16, v25
	;; [unrolled: 1-line block ×4, first 2 shown]
	v_and_b32_e32 v24, 0xffff, v24
	v_and_b32_e32 v25, 0xffff, v25
	;; [unrolled: 1-line block ×4, first 2 shown]
	v_mul_u32_u24_e32 v87, 0x10001, v87
	v_mul_u32_u24_e32 v24, 0x10001, v24
	;; [unrolled: 1-line block ×8, first 2 shown]
	v_pk_fma_f16 v86, v28, v24, v86
	v_pk_fma_f16 v81, v28, v25, v81
	;; [unrolled: 1-line block ×4, first 2 shown]
	ds_load_b128 v[24:27], v61 offset:112
	v_pk_fma_f16 v31, v28, v87, v31
	v_pk_fma_f16 v82, v28, v88, v82
	;; [unrolled: 1-line block ×4, first 2 shown]
	s_wait_dscnt 0x0
	v_lshrrev_b32_e32 v85, 16, v24
	v_lshrrev_b32_e32 v87, 16, v25
	v_lshrrev_b32_e32 v88, 16, v26
	v_lshrrev_b32_e32 v89, 16, v27
	v_and_b32_e32 v24, 0xffff, v24
	v_and_b32_e32 v25, 0xffff, v25
	;; [unrolled: 1-line block ×4, first 2 shown]
	v_mul_u32_u24_e32 v85, 0x10001, v85
	v_mul_u32_u24_e32 v24, 0x10001, v24
	;; [unrolled: 1-line block ×8, first 2 shown]
	v_pk_fma_f16 v86, v29, v24, v86
	v_pk_fma_f16 v31, v29, v85, v31
	;; [unrolled: 1-line block ×8, first 2 shown]
	ds_load_2addr_b32 v[28:29], v67 offset1:32
	ds_load_b128 v[24:27], v61 offset:128
	s_wait_dscnt 0x0
	v_lshrrev_b32_e32 v87, 16, v24
	v_lshrrev_b32_e32 v88, 16, v25
	v_lshrrev_b32_e32 v89, 16, v26
	v_lshrrev_b32_e32 v90, 16, v27
	v_and_b32_e32 v24, 0xffff, v24
	v_and_b32_e32 v25, 0xffff, v25
	v_and_b32_e32 v26, 0xffff, v26
	v_and_b32_e32 v27, 0xffff, v27
	v_mul_u32_u24_e32 v87, 0x10001, v87
	v_mul_u32_u24_e32 v24, 0x10001, v24
	v_mul_u32_u24_e32 v25, 0x10001, v25
	v_mul_u32_u24_e32 v26, 0x10001, v26
	v_mul_u32_u24_e32 v27, 0x10001, v27
	v_mul_u32_u24_e32 v88, 0x10001, v88
	v_pk_fma_f16 v86, v28, v24, v86
	v_pk_fma_f16 v81, v28, v25, v81
	v_pk_fma_f16 v83, v28, v26, v83
	v_pk_fma_f16 v84, v28, v27, v84
	ds_load_b128 v[24:27], v61 offset:144
	v_mul_u32_u24_e32 v89, 0x10001, v89
	v_mul_u32_u24_e32 v90, 0x10001, v90
	v_pk_fma_f16 v31, v28, v87, v31
	v_pk_fma_f16 v82, v28, v88, v82
	s_delay_alu instid0(VALU_DEP_4) | instskip(NEXT) | instid1(VALU_DEP_4)
	v_pk_fma_f16 v30, v28, v89, v30
	v_pk_fma_f16 v28, v28, v90, v85
	s_wait_dscnt 0x0
	v_lshrrev_b32_e32 v85, 16, v24
	v_lshrrev_b32_e32 v87, 16, v25
	v_lshrrev_b32_e32 v88, 16, v26
	v_lshrrev_b32_e32 v89, 16, v27
	v_and_b32_e32 v24, 0xffff, v24
	v_and_b32_e32 v25, 0xffff, v25
	v_and_b32_e32 v26, 0xffff, v26
	v_and_b32_e32 v27, 0xffff, v27
	v_mul_u32_u24_e32 v85, 0x10001, v85
	v_mul_u32_u24_e32 v24, 0x10001, v24
	v_mul_u32_u24_e32 v25, 0x10001, v25
	v_mul_u32_u24_e32 v87, 0x10001, v87
	v_mul_u32_u24_e32 v26, 0x10001, v26
	v_mul_u32_u24_e32 v88, 0x10001, v88
	v_mul_u32_u24_e32 v27, 0x10001, v27
	v_mul_u32_u24_e32 v89, 0x10001, v89
	v_pk_fma_f16 v86, v29, v24, v86
	v_pk_fma_f16 v31, v29, v85, v31
	v_pk_fma_f16 v81, v29, v25, v81
	v_pk_fma_f16 v82, v29, v87, v82
	v_pk_fma_f16 v83, v29, v26, v83
	v_pk_fma_f16 v30, v29, v88, v30
	v_pk_fma_f16 v84, v29, v27, v84
	v_pk_fma_f16 v85, v29, v89, v28
	ds_load_2addr_b32 v[28:29], v67 offset0:64 offset1:96
	ds_load_b128 v[24:27], v61 offset:160
	s_wait_dscnt 0x0
	v_lshrrev_b32_e32 v87, 16, v24
	v_lshrrev_b32_e32 v88, 16, v25
	v_lshrrev_b32_e32 v89, 16, v26
	v_lshrrev_b32_e32 v90, 16, v27
	v_and_b32_e32 v24, 0xffff, v24
	v_and_b32_e32 v25, 0xffff, v25
	v_and_b32_e32 v26, 0xffff, v26
	v_and_b32_e32 v27, 0xffff, v27
	v_mul_u32_u24_e32 v87, 0x10001, v87
	v_mul_u32_u24_e32 v24, 0x10001, v24
	v_mul_u32_u24_e32 v25, 0x10001, v25
	v_mul_u32_u24_e32 v26, 0x10001, v26
	v_mul_u32_u24_e32 v27, 0x10001, v27
	v_mul_u32_u24_e32 v88, 0x10001, v88
	v_pk_fma_f16 v86, v28, v24, v86
	v_pk_fma_f16 v81, v28, v25, v81
	v_pk_fma_f16 v83, v28, v26, v83
	v_pk_fma_f16 v84, v28, v27, v84
	ds_load_b128 v[24:27], v61 offset:176
	v_mul_u32_u24_e32 v89, 0x10001, v89
	v_mul_u32_u24_e32 v90, 0x10001, v90
	v_pk_fma_f16 v31, v28, v87, v31
	v_pk_fma_f16 v82, v28, v88, v82
	s_delay_alu instid0(VALU_DEP_4) | instskip(NEXT) | instid1(VALU_DEP_4)
	v_pk_fma_f16 v30, v28, v89, v30
	v_pk_fma_f16 v28, v28, v90, v85
	s_wait_dscnt 0x0
	v_lshrrev_b32_e32 v85, 16, v24
	v_lshrrev_b32_e32 v87, 16, v25
	v_lshrrev_b32_e32 v88, 16, v26
	v_lshrrev_b32_e32 v89, 16, v27
	v_and_b32_e32 v24, 0xffff, v24
	v_and_b32_e32 v25, 0xffff, v25
	v_and_b32_e32 v26, 0xffff, v26
	v_and_b32_e32 v27, 0xffff, v27
	v_mul_u32_u24_e32 v85, 0x10001, v85
	v_mul_u32_u24_e32 v24, 0x10001, v24
	v_mul_u32_u24_e32 v25, 0x10001, v25
	v_mul_u32_u24_e32 v87, 0x10001, v87
	v_mul_u32_u24_e32 v26, 0x10001, v26
	v_mul_u32_u24_e32 v88, 0x10001, v88
	v_mul_u32_u24_e32 v27, 0x10001, v27
	v_mul_u32_u24_e32 v89, 0x10001, v89
	v_pk_fma_f16 v86, v29, v24, v86
	v_pk_fma_f16 v31, v29, v85, v31
	v_pk_fma_f16 v81, v29, v25, v81
	v_pk_fma_f16 v82, v29, v87, v82
	v_pk_fma_f16 v83, v29, v26, v83
	v_pk_fma_f16 v30, v29, v88, v30
	v_pk_fma_f16 v84, v29, v27, v84
	v_pk_fma_f16 v85, v29, v89, v28
	ds_load_2addr_b32 v[28:29], v67 offset0:128 offset1:160
	;; [unrolled: 54-line block ×3, first 2 shown]
	ds_load_b128 v[24:27], v61 offset:224
	s_wait_dscnt 0x0
	v_lshrrev_b32_e32 v87, 16, v24
	v_lshrrev_b32_e32 v88, 16, v25
	;; [unrolled: 1-line block ×4, first 2 shown]
	v_and_b32_e32 v24, 0xffff, v24
	v_and_b32_e32 v25, 0xffff, v25
	;; [unrolled: 1-line block ×4, first 2 shown]
	v_mul_u32_u24_e32 v87, 0x10001, v87
	v_mul_u32_u24_e32 v24, 0x10001, v24
	;; [unrolled: 1-line block ×6, first 2 shown]
	v_pk_fma_f16 v86, v28, v24, v86
	v_pk_fma_f16 v81, v28, v25, v81
	;; [unrolled: 1-line block ×4, first 2 shown]
	ds_load_b128 v[24:27], v61 offset:240
	v_mul_u32_u24_e32 v89, 0x10001, v89
	v_mul_u32_u24_e32 v90, 0x10001, v90
	v_pk_fma_f16 v31, v28, v87, v31
	v_pk_fma_f16 v82, v28, v88, v82
	s_delay_alu instid0(VALU_DEP_4) | instskip(NEXT) | instid1(VALU_DEP_4)
	v_pk_fma_f16 v30, v28, v89, v30
	v_pk_fma_f16 v28, v28, v90, v85
	s_wait_dscnt 0x0
	v_lshrrev_b32_e32 v85, 16, v24
	v_lshrrev_b32_e32 v87, 16, v25
	;; [unrolled: 1-line block ×4, first 2 shown]
	v_and_b32_e32 v24, 0xffff, v24
	v_and_b32_e32 v25, 0xffff, v25
	;; [unrolled: 1-line block ×4, first 2 shown]
	v_mul_u32_u24_e32 v85, 0x10001, v85
	v_mul_u32_u24_e32 v24, 0x10001, v24
	;; [unrolled: 1-line block ×8, first 2 shown]
	v_pk_fma_f16 v86, v29, v24, v86
	v_pk_fma_f16 v31, v29, v85, v31
	;; [unrolled: 1-line block ×8, first 2 shown]
	ds_load_2addr_b32 v[28:29], v68 offset1:32
	ds_load_b128 v[24:27], v61 offset:256
	s_wait_dscnt 0x0
	v_lshrrev_b32_e32 v87, 16, v24
	v_lshrrev_b32_e32 v88, 16, v25
	v_lshrrev_b32_e32 v89, 16, v26
	v_lshrrev_b32_e32 v90, 16, v27
	v_and_b32_e32 v24, 0xffff, v24
	v_and_b32_e32 v25, 0xffff, v25
	v_and_b32_e32 v26, 0xffff, v26
	v_and_b32_e32 v27, 0xffff, v27
	v_mul_u32_u24_e32 v87, 0x10001, v87
	v_mul_u32_u24_e32 v24, 0x10001, v24
	v_mul_u32_u24_e32 v25, 0x10001, v25
	v_mul_u32_u24_e32 v26, 0x10001, v26
	v_mul_u32_u24_e32 v27, 0x10001, v27
	v_mul_u32_u24_e32 v88, 0x10001, v88
	v_pk_fma_f16 v86, v28, v24, v86
	v_pk_fma_f16 v81, v28, v25, v81
	v_pk_fma_f16 v83, v28, v26, v83
	v_pk_fma_f16 v84, v28, v27, v84
	ds_load_b128 v[24:27], v61 offset:272
	v_mul_u32_u24_e32 v89, 0x10001, v89
	v_mul_u32_u24_e32 v90, 0x10001, v90
	v_pk_fma_f16 v31, v28, v87, v31
	v_pk_fma_f16 v82, v28, v88, v82
	s_delay_alu instid0(VALU_DEP_4) | instskip(NEXT) | instid1(VALU_DEP_4)
	v_pk_fma_f16 v30, v28, v89, v30
	v_pk_fma_f16 v28, v28, v90, v85
	s_wait_dscnt 0x0
	v_lshrrev_b32_e32 v85, 16, v24
	v_lshrrev_b32_e32 v87, 16, v25
	v_lshrrev_b32_e32 v88, 16, v26
	v_lshrrev_b32_e32 v89, 16, v27
	v_and_b32_e32 v24, 0xffff, v24
	v_and_b32_e32 v25, 0xffff, v25
	v_and_b32_e32 v26, 0xffff, v26
	v_and_b32_e32 v27, 0xffff, v27
	v_mul_u32_u24_e32 v85, 0x10001, v85
	v_mul_u32_u24_e32 v24, 0x10001, v24
	v_mul_u32_u24_e32 v25, 0x10001, v25
	v_mul_u32_u24_e32 v87, 0x10001, v87
	v_mul_u32_u24_e32 v26, 0x10001, v26
	v_mul_u32_u24_e32 v88, 0x10001, v88
	v_mul_u32_u24_e32 v27, 0x10001, v27
	v_mul_u32_u24_e32 v89, 0x10001, v89
	v_pk_fma_f16 v86, v29, v24, v86
	v_pk_fma_f16 v31, v29, v85, v31
	v_pk_fma_f16 v81, v29, v25, v81
	v_pk_fma_f16 v82, v29, v87, v82
	v_pk_fma_f16 v83, v29, v26, v83
	v_pk_fma_f16 v30, v29, v88, v30
	v_pk_fma_f16 v84, v29, v27, v84
	v_pk_fma_f16 v85, v29, v89, v28
	ds_load_2addr_b32 v[28:29], v68 offset0:64 offset1:96
	ds_load_b128 v[24:27], v61 offset:288
	s_wait_dscnt 0x0
	v_lshrrev_b32_e32 v87, 16, v24
	v_lshrrev_b32_e32 v88, 16, v25
	v_lshrrev_b32_e32 v89, 16, v26
	v_lshrrev_b32_e32 v90, 16, v27
	v_and_b32_e32 v24, 0xffff, v24
	v_and_b32_e32 v25, 0xffff, v25
	v_and_b32_e32 v26, 0xffff, v26
	v_and_b32_e32 v27, 0xffff, v27
	v_mul_u32_u24_e32 v87, 0x10001, v87
	v_mul_u32_u24_e32 v24, 0x10001, v24
	v_mul_u32_u24_e32 v25, 0x10001, v25
	v_mul_u32_u24_e32 v26, 0x10001, v26
	v_mul_u32_u24_e32 v27, 0x10001, v27
	v_mul_u32_u24_e32 v88, 0x10001, v88
	v_pk_fma_f16 v86, v28, v24, v86
	v_pk_fma_f16 v81, v28, v25, v81
	v_pk_fma_f16 v83, v28, v26, v83
	v_pk_fma_f16 v84, v28, v27, v84
	ds_load_b128 v[24:27], v61 offset:304
	v_mul_u32_u24_e32 v89, 0x10001, v89
	v_mul_u32_u24_e32 v90, 0x10001, v90
	v_pk_fma_f16 v31, v28, v87, v31
	v_pk_fma_f16 v82, v28, v88, v82
	s_delay_alu instid0(VALU_DEP_4) | instskip(NEXT) | instid1(VALU_DEP_4)
	v_pk_fma_f16 v30, v28, v89, v30
	v_pk_fma_f16 v28, v28, v90, v85
	s_wait_dscnt 0x0
	v_lshrrev_b32_e32 v85, 16, v24
	v_lshrrev_b32_e32 v87, 16, v25
	v_lshrrev_b32_e32 v88, 16, v26
	v_lshrrev_b32_e32 v89, 16, v27
	v_and_b32_e32 v24, 0xffff, v24
	v_and_b32_e32 v25, 0xffff, v25
	v_and_b32_e32 v26, 0xffff, v26
	v_and_b32_e32 v27, 0xffff, v27
	v_mul_u32_u24_e32 v85, 0x10001, v85
	v_mul_u32_u24_e32 v24, 0x10001, v24
	v_mul_u32_u24_e32 v25, 0x10001, v25
	v_mul_u32_u24_e32 v87, 0x10001, v87
	v_mul_u32_u24_e32 v26, 0x10001, v26
	v_mul_u32_u24_e32 v88, 0x10001, v88
	v_mul_u32_u24_e32 v27, 0x10001, v27
	v_mul_u32_u24_e32 v89, 0x10001, v89
	v_pk_fma_f16 v86, v29, v24, v86
	v_pk_fma_f16 v31, v29, v85, v31
	v_pk_fma_f16 v81, v29, v25, v81
	v_pk_fma_f16 v82, v29, v87, v82
	v_pk_fma_f16 v83, v29, v26, v83
	v_pk_fma_f16 v30, v29, v88, v30
	v_pk_fma_f16 v84, v29, v27, v84
	v_pk_fma_f16 v85, v29, v89, v28
	ds_load_2addr_b32 v[28:29], v68 offset0:128 offset1:160
	;; [unrolled: 54-line block ×3, first 2 shown]
	ds_load_b128 v[24:27], v61 offset:352
	s_wait_dscnt 0x0
	v_lshrrev_b32_e32 v87, 16, v24
	v_lshrrev_b32_e32 v88, 16, v25
	;; [unrolled: 1-line block ×4, first 2 shown]
	v_and_b32_e32 v24, 0xffff, v24
	v_and_b32_e32 v25, 0xffff, v25
	;; [unrolled: 1-line block ×4, first 2 shown]
	v_mul_u32_u24_e32 v87, 0x10001, v87
	v_mul_u32_u24_e32 v24, 0x10001, v24
	;; [unrolled: 1-line block ×6, first 2 shown]
	v_pk_fma_f16 v86, v28, v24, v86
	v_pk_fma_f16 v81, v28, v25, v81
	v_pk_fma_f16 v83, v28, v26, v83
	v_pk_fma_f16 v84, v28, v27, v84
	ds_load_b128 v[24:27], v61 offset:368
	v_mul_u32_u24_e32 v89, 0x10001, v89
	v_mul_u32_u24_e32 v90, 0x10001, v90
	v_pk_fma_f16 v31, v28, v87, v31
	v_pk_fma_f16 v82, v28, v88, v82
	s_delay_alu instid0(VALU_DEP_4) | instskip(NEXT) | instid1(VALU_DEP_4)
	v_pk_fma_f16 v30, v28, v89, v30
	v_pk_fma_f16 v28, v28, v90, v85
	s_wait_dscnt 0x0
	v_lshrrev_b32_e32 v85, 16, v24
	v_lshrrev_b32_e32 v87, 16, v25
	;; [unrolled: 1-line block ×4, first 2 shown]
	v_and_b32_e32 v24, 0xffff, v24
	v_and_b32_e32 v25, 0xffff, v25
	;; [unrolled: 1-line block ×4, first 2 shown]
	v_mul_u32_u24_e32 v85, 0x10001, v85
	v_mul_u32_u24_e32 v24, 0x10001, v24
	;; [unrolled: 1-line block ×8, first 2 shown]
	v_pk_fma_f16 v86, v29, v24, v86
	v_pk_fma_f16 v31, v29, v85, v31
	;; [unrolled: 1-line block ×8, first 2 shown]
	ds_load_2addr_b32 v[28:29], v69 offset1:32
	ds_load_b128 v[24:27], v61 offset:384
	s_wait_dscnt 0x0
	v_lshrrev_b32_e32 v87, 16, v24
	v_lshrrev_b32_e32 v88, 16, v25
	v_lshrrev_b32_e32 v89, 16, v26
	v_lshrrev_b32_e32 v90, 16, v27
	v_and_b32_e32 v24, 0xffff, v24
	v_and_b32_e32 v25, 0xffff, v25
	v_and_b32_e32 v26, 0xffff, v26
	v_and_b32_e32 v27, 0xffff, v27
	v_mul_u32_u24_e32 v87, 0x10001, v87
	v_mul_u32_u24_e32 v24, 0x10001, v24
	v_mul_u32_u24_e32 v25, 0x10001, v25
	v_mul_u32_u24_e32 v26, 0x10001, v26
	v_mul_u32_u24_e32 v27, 0x10001, v27
	v_mul_u32_u24_e32 v88, 0x10001, v88
	v_pk_fma_f16 v86, v28, v24, v86
	v_pk_fma_f16 v81, v28, v25, v81
	v_pk_fma_f16 v83, v28, v26, v83
	v_pk_fma_f16 v84, v28, v27, v84
	ds_load_b128 v[24:27], v61 offset:400
	v_mul_u32_u24_e32 v89, 0x10001, v89
	v_mul_u32_u24_e32 v90, 0x10001, v90
	v_pk_fma_f16 v31, v28, v87, v31
	v_pk_fma_f16 v82, v28, v88, v82
	s_delay_alu instid0(VALU_DEP_4) | instskip(NEXT) | instid1(VALU_DEP_4)
	v_pk_fma_f16 v30, v28, v89, v30
	v_pk_fma_f16 v28, v28, v90, v85
	s_wait_dscnt 0x0
	v_lshrrev_b32_e32 v85, 16, v24
	v_lshrrev_b32_e32 v87, 16, v25
	v_lshrrev_b32_e32 v88, 16, v26
	v_lshrrev_b32_e32 v89, 16, v27
	v_and_b32_e32 v24, 0xffff, v24
	v_and_b32_e32 v25, 0xffff, v25
	v_and_b32_e32 v26, 0xffff, v26
	v_and_b32_e32 v27, 0xffff, v27
	v_mul_u32_u24_e32 v85, 0x10001, v85
	v_mul_u32_u24_e32 v24, 0x10001, v24
	v_mul_u32_u24_e32 v25, 0x10001, v25
	v_mul_u32_u24_e32 v87, 0x10001, v87
	v_mul_u32_u24_e32 v26, 0x10001, v26
	v_mul_u32_u24_e32 v88, 0x10001, v88
	v_mul_u32_u24_e32 v27, 0x10001, v27
	v_mul_u32_u24_e32 v89, 0x10001, v89
	v_pk_fma_f16 v86, v29, v24, v86
	v_pk_fma_f16 v31, v29, v85, v31
	v_pk_fma_f16 v81, v29, v25, v81
	v_pk_fma_f16 v82, v29, v87, v82
	v_pk_fma_f16 v83, v29, v26, v83
	v_pk_fma_f16 v30, v29, v88, v30
	v_pk_fma_f16 v84, v29, v27, v84
	v_pk_fma_f16 v85, v29, v89, v28
	ds_load_2addr_b32 v[28:29], v69 offset0:64 offset1:96
	ds_load_b128 v[24:27], v61 offset:416
	s_wait_dscnt 0x0
	v_lshrrev_b32_e32 v87, 16, v24
	v_lshrrev_b32_e32 v88, 16, v25
	v_lshrrev_b32_e32 v89, 16, v26
	v_lshrrev_b32_e32 v90, 16, v27
	v_and_b32_e32 v24, 0xffff, v24
	v_and_b32_e32 v25, 0xffff, v25
	v_and_b32_e32 v26, 0xffff, v26
	v_and_b32_e32 v27, 0xffff, v27
	v_mul_u32_u24_e32 v87, 0x10001, v87
	v_mul_u32_u24_e32 v24, 0x10001, v24
	v_mul_u32_u24_e32 v25, 0x10001, v25
	v_mul_u32_u24_e32 v26, 0x10001, v26
	v_mul_u32_u24_e32 v27, 0x10001, v27
	v_mul_u32_u24_e32 v88, 0x10001, v88
	v_pk_fma_f16 v86, v28, v24, v86
	v_pk_fma_f16 v81, v28, v25, v81
	v_pk_fma_f16 v83, v28, v26, v83
	v_pk_fma_f16 v84, v28, v27, v84
	ds_load_b128 v[24:27], v61 offset:432
	v_mul_u32_u24_e32 v89, 0x10001, v89
	v_mul_u32_u24_e32 v90, 0x10001, v90
	v_pk_fma_f16 v31, v28, v87, v31
	v_pk_fma_f16 v82, v28, v88, v82
	s_delay_alu instid0(VALU_DEP_4) | instskip(NEXT) | instid1(VALU_DEP_4)
	v_pk_fma_f16 v30, v28, v89, v30
	v_pk_fma_f16 v28, v28, v90, v85
	s_wait_dscnt 0x0
	v_lshrrev_b32_e32 v85, 16, v24
	v_lshrrev_b32_e32 v87, 16, v25
	v_lshrrev_b32_e32 v88, 16, v26
	v_lshrrev_b32_e32 v89, 16, v27
	v_and_b32_e32 v24, 0xffff, v24
	v_and_b32_e32 v25, 0xffff, v25
	v_and_b32_e32 v26, 0xffff, v26
	v_and_b32_e32 v27, 0xffff, v27
	v_mul_u32_u24_e32 v85, 0x10001, v85
	v_mul_u32_u24_e32 v24, 0x10001, v24
	v_mul_u32_u24_e32 v25, 0x10001, v25
	v_mul_u32_u24_e32 v87, 0x10001, v87
	v_mul_u32_u24_e32 v26, 0x10001, v26
	v_mul_u32_u24_e32 v88, 0x10001, v88
	v_mul_u32_u24_e32 v27, 0x10001, v27
	v_mul_u32_u24_e32 v89, 0x10001, v89
	v_pk_fma_f16 v86, v29, v24, v86
	v_pk_fma_f16 v31, v29, v85, v31
	v_pk_fma_f16 v81, v29, v25, v81
	v_pk_fma_f16 v82, v29, v87, v82
	v_pk_fma_f16 v83, v29, v26, v83
	v_pk_fma_f16 v30, v29, v88, v30
	v_pk_fma_f16 v84, v29, v27, v84
	v_pk_fma_f16 v85, v29, v89, v28
	ds_load_2addr_b32 v[28:29], v69 offset0:128 offset1:160
	;; [unrolled: 54-line block ×3, first 2 shown]
	ds_load_b128 v[24:27], v61 offset:480
	s_wait_dscnt 0x0
	v_lshrrev_b32_e32 v87, 16, v24
	v_lshrrev_b32_e32 v88, 16, v25
	;; [unrolled: 1-line block ×4, first 2 shown]
	v_and_b32_e32 v24, 0xffff, v24
	v_and_b32_e32 v25, 0xffff, v25
	v_and_b32_e32 v26, 0xffff, v26
	v_and_b32_e32 v27, 0xffff, v27
	v_mul_u32_u24_e32 v87, 0x10001, v87
	v_mul_u32_u24_e32 v24, 0x10001, v24
	;; [unrolled: 1-line block ×6, first 2 shown]
	v_pk_fma_f16 v86, v28, v24, v86
	v_pk_fma_f16 v81, v28, v25, v81
	v_pk_fma_f16 v83, v28, v26, v83
	v_pk_fma_f16 v84, v28, v27, v84
	ds_load_b128 v[24:27], v61 offset:496
	v_mul_u32_u24_e32 v89, 0x10001, v89
	v_mul_u32_u24_e32 v90, 0x10001, v90
	v_pk_fma_f16 v31, v28, v87, v31
	v_pk_fma_f16 v82, v28, v88, v82
	s_delay_alu instid0(VALU_DEP_4) | instskip(NEXT) | instid1(VALU_DEP_4)
	v_pk_fma_f16 v30, v28, v89, v30
	v_pk_fma_f16 v28, v28, v90, v85
	s_wait_dscnt 0x0
	v_lshrrev_b32_e32 v85, 16, v24
	v_lshrrev_b32_e32 v87, 16, v25
	;; [unrolled: 1-line block ×4, first 2 shown]
	v_and_b32_e32 v24, 0xffff, v24
	v_and_b32_e32 v25, 0xffff, v25
	;; [unrolled: 1-line block ×4, first 2 shown]
	v_mul_u32_u24_e32 v85, 0x10001, v85
	v_mul_u32_u24_e32 v24, 0x10001, v24
	;; [unrolled: 1-line block ×8, first 2 shown]
	v_pk_fma_f16 v86, v29, v24, v86
	v_pk_fma_f16 v31, v29, v85, v31
	;; [unrolled: 1-line block ×8, first 2 shown]
	ds_load_2addr_b32 v[28:29], v70 offset1:32
	ds_load_b128 v[24:27], v61 offset:512
	s_wait_dscnt 0x0
	v_lshrrev_b32_e32 v87, 16, v24
	v_lshrrev_b32_e32 v88, 16, v25
	v_lshrrev_b32_e32 v89, 16, v26
	v_lshrrev_b32_e32 v90, 16, v27
	v_and_b32_e32 v24, 0xffff, v24
	v_and_b32_e32 v25, 0xffff, v25
	v_and_b32_e32 v26, 0xffff, v26
	v_and_b32_e32 v27, 0xffff, v27
	v_mul_u32_u24_e32 v87, 0x10001, v87
	v_mul_u32_u24_e32 v24, 0x10001, v24
	v_mul_u32_u24_e32 v25, 0x10001, v25
	v_mul_u32_u24_e32 v26, 0x10001, v26
	v_mul_u32_u24_e32 v27, 0x10001, v27
	v_mul_u32_u24_e32 v88, 0x10001, v88
	v_pk_fma_f16 v86, v28, v24, v86
	v_pk_fma_f16 v81, v28, v25, v81
	v_pk_fma_f16 v83, v28, v26, v83
	v_pk_fma_f16 v84, v28, v27, v84
	ds_load_b128 v[24:27], v61 offset:528
	v_mul_u32_u24_e32 v89, 0x10001, v89
	v_mul_u32_u24_e32 v90, 0x10001, v90
	v_pk_fma_f16 v31, v28, v87, v31
	v_pk_fma_f16 v82, v28, v88, v82
	s_delay_alu instid0(VALU_DEP_4) | instskip(NEXT) | instid1(VALU_DEP_4)
	v_pk_fma_f16 v30, v28, v89, v30
	v_pk_fma_f16 v28, v28, v90, v85
	s_wait_dscnt 0x0
	v_lshrrev_b32_e32 v85, 16, v24
	v_lshrrev_b32_e32 v87, 16, v25
	v_lshrrev_b32_e32 v88, 16, v26
	v_lshrrev_b32_e32 v89, 16, v27
	v_and_b32_e32 v24, 0xffff, v24
	v_and_b32_e32 v25, 0xffff, v25
	v_and_b32_e32 v26, 0xffff, v26
	v_and_b32_e32 v27, 0xffff, v27
	v_mul_u32_u24_e32 v85, 0x10001, v85
	v_mul_u32_u24_e32 v24, 0x10001, v24
	v_mul_u32_u24_e32 v25, 0x10001, v25
	v_mul_u32_u24_e32 v87, 0x10001, v87
	v_mul_u32_u24_e32 v26, 0x10001, v26
	v_mul_u32_u24_e32 v88, 0x10001, v88
	v_mul_u32_u24_e32 v27, 0x10001, v27
	v_mul_u32_u24_e32 v89, 0x10001, v89
	v_pk_fma_f16 v86, v29, v24, v86
	v_pk_fma_f16 v31, v29, v85, v31
	v_pk_fma_f16 v81, v29, v25, v81
	v_pk_fma_f16 v82, v29, v87, v82
	v_pk_fma_f16 v83, v29, v26, v83
	v_pk_fma_f16 v30, v29, v88, v30
	v_pk_fma_f16 v84, v29, v27, v84
	v_pk_fma_f16 v85, v29, v89, v28
	ds_load_2addr_b32 v[28:29], v70 offset0:64 offset1:96
	ds_load_b128 v[24:27], v61 offset:544
	s_wait_dscnt 0x0
	v_lshrrev_b32_e32 v87, 16, v24
	v_lshrrev_b32_e32 v88, 16, v25
	v_lshrrev_b32_e32 v89, 16, v26
	v_lshrrev_b32_e32 v90, 16, v27
	v_and_b32_e32 v24, 0xffff, v24
	v_and_b32_e32 v25, 0xffff, v25
	v_and_b32_e32 v26, 0xffff, v26
	v_and_b32_e32 v27, 0xffff, v27
	v_mul_u32_u24_e32 v87, 0x10001, v87
	v_mul_u32_u24_e32 v24, 0x10001, v24
	v_mul_u32_u24_e32 v25, 0x10001, v25
	v_mul_u32_u24_e32 v26, 0x10001, v26
	v_mul_u32_u24_e32 v27, 0x10001, v27
	v_mul_u32_u24_e32 v88, 0x10001, v88
	v_pk_fma_f16 v86, v28, v24, v86
	v_pk_fma_f16 v81, v28, v25, v81
	v_pk_fma_f16 v83, v28, v26, v83
	v_pk_fma_f16 v84, v28, v27, v84
	ds_load_b128 v[24:27], v61 offset:560
	v_mul_u32_u24_e32 v89, 0x10001, v89
	v_mul_u32_u24_e32 v90, 0x10001, v90
	v_pk_fma_f16 v31, v28, v87, v31
	v_pk_fma_f16 v82, v28, v88, v82
	s_delay_alu instid0(VALU_DEP_4) | instskip(NEXT) | instid1(VALU_DEP_4)
	v_pk_fma_f16 v30, v28, v89, v30
	v_pk_fma_f16 v28, v28, v90, v85
	s_wait_dscnt 0x0
	v_lshrrev_b32_e32 v85, 16, v24
	v_lshrrev_b32_e32 v87, 16, v25
	v_lshrrev_b32_e32 v88, 16, v26
	v_lshrrev_b32_e32 v89, 16, v27
	v_and_b32_e32 v24, 0xffff, v24
	v_and_b32_e32 v25, 0xffff, v25
	v_and_b32_e32 v26, 0xffff, v26
	v_and_b32_e32 v27, 0xffff, v27
	v_mul_u32_u24_e32 v85, 0x10001, v85
	v_mul_u32_u24_e32 v24, 0x10001, v24
	v_mul_u32_u24_e32 v25, 0x10001, v25
	v_mul_u32_u24_e32 v87, 0x10001, v87
	v_mul_u32_u24_e32 v26, 0x10001, v26
	v_mul_u32_u24_e32 v88, 0x10001, v88
	v_mul_u32_u24_e32 v27, 0x10001, v27
	v_mul_u32_u24_e32 v89, 0x10001, v89
	v_pk_fma_f16 v86, v29, v24, v86
	v_pk_fma_f16 v31, v29, v85, v31
	v_pk_fma_f16 v81, v29, v25, v81
	v_pk_fma_f16 v82, v29, v87, v82
	v_pk_fma_f16 v83, v29, v26, v83
	v_pk_fma_f16 v30, v29, v88, v30
	v_pk_fma_f16 v84, v29, v27, v84
	v_pk_fma_f16 v85, v29, v89, v28
	ds_load_2addr_b32 v[28:29], v70 offset0:128 offset1:160
	;; [unrolled: 54-line block ×3, first 2 shown]
	ds_load_b128 v[24:27], v61 offset:608
	s_wait_dscnt 0x0
	v_lshrrev_b32_e32 v87, 16, v24
	v_lshrrev_b32_e32 v88, 16, v25
	;; [unrolled: 1-line block ×4, first 2 shown]
	v_and_b32_e32 v24, 0xffff, v24
	v_and_b32_e32 v25, 0xffff, v25
	;; [unrolled: 1-line block ×4, first 2 shown]
	v_mul_u32_u24_e32 v87, 0x10001, v87
	v_mul_u32_u24_e32 v24, 0x10001, v24
	;; [unrolled: 1-line block ×6, first 2 shown]
	v_pk_fma_f16 v86, v28, v24, v86
	v_pk_fma_f16 v81, v28, v25, v81
	;; [unrolled: 1-line block ×4, first 2 shown]
	ds_load_b128 v[24:27], v61 offset:624
	v_mul_u32_u24_e32 v89, 0x10001, v89
	v_mul_u32_u24_e32 v90, 0x10001, v90
	v_pk_fma_f16 v31, v28, v87, v31
	v_pk_fma_f16 v82, v28, v88, v82
	s_delay_alu instid0(VALU_DEP_4) | instskip(NEXT) | instid1(VALU_DEP_4)
	v_pk_fma_f16 v30, v28, v89, v30
	v_pk_fma_f16 v28, v28, v90, v85
	s_wait_dscnt 0x0
	v_lshrrev_b32_e32 v85, 16, v24
	v_lshrrev_b32_e32 v87, 16, v25
	;; [unrolled: 1-line block ×4, first 2 shown]
	v_and_b32_e32 v24, 0xffff, v24
	v_and_b32_e32 v25, 0xffff, v25
	;; [unrolled: 1-line block ×4, first 2 shown]
	v_mul_u32_u24_e32 v85, 0x10001, v85
	v_mul_u32_u24_e32 v24, 0x10001, v24
	;; [unrolled: 1-line block ×8, first 2 shown]
	v_pk_fma_f16 v86, v29, v24, v86
	v_pk_fma_f16 v31, v29, v85, v31
	;; [unrolled: 1-line block ×8, first 2 shown]
	ds_load_2addr_b32 v[28:29], v71 offset1:32
	ds_load_b128 v[24:27], v61 offset:640
	s_wait_dscnt 0x0
	v_lshrrev_b32_e32 v87, 16, v24
	v_lshrrev_b32_e32 v88, 16, v25
	v_lshrrev_b32_e32 v89, 16, v26
	v_lshrrev_b32_e32 v90, 16, v27
	v_and_b32_e32 v24, 0xffff, v24
	v_and_b32_e32 v25, 0xffff, v25
	v_and_b32_e32 v26, 0xffff, v26
	v_and_b32_e32 v27, 0xffff, v27
	v_mul_u32_u24_e32 v87, 0x10001, v87
	v_mul_u32_u24_e32 v24, 0x10001, v24
	v_mul_u32_u24_e32 v25, 0x10001, v25
	v_mul_u32_u24_e32 v26, 0x10001, v26
	v_mul_u32_u24_e32 v27, 0x10001, v27
	v_mul_u32_u24_e32 v88, 0x10001, v88
	v_pk_fma_f16 v86, v28, v24, v86
	v_pk_fma_f16 v81, v28, v25, v81
	v_pk_fma_f16 v83, v28, v26, v83
	v_pk_fma_f16 v84, v28, v27, v84
	ds_load_b128 v[24:27], v61 offset:656
	v_mul_u32_u24_e32 v89, 0x10001, v89
	v_mul_u32_u24_e32 v90, 0x10001, v90
	v_pk_fma_f16 v31, v28, v87, v31
	v_pk_fma_f16 v82, v28, v88, v82
	s_delay_alu instid0(VALU_DEP_4) | instskip(NEXT) | instid1(VALU_DEP_4)
	v_pk_fma_f16 v30, v28, v89, v30
	v_pk_fma_f16 v28, v28, v90, v85
	s_wait_dscnt 0x0
	v_lshrrev_b32_e32 v85, 16, v24
	v_lshrrev_b32_e32 v87, 16, v25
	v_lshrrev_b32_e32 v88, 16, v26
	v_lshrrev_b32_e32 v89, 16, v27
	v_and_b32_e32 v24, 0xffff, v24
	v_and_b32_e32 v25, 0xffff, v25
	v_and_b32_e32 v26, 0xffff, v26
	v_and_b32_e32 v27, 0xffff, v27
	v_mul_u32_u24_e32 v85, 0x10001, v85
	v_mul_u32_u24_e32 v24, 0x10001, v24
	v_mul_u32_u24_e32 v25, 0x10001, v25
	v_mul_u32_u24_e32 v87, 0x10001, v87
	v_mul_u32_u24_e32 v26, 0x10001, v26
	v_mul_u32_u24_e32 v88, 0x10001, v88
	v_mul_u32_u24_e32 v27, 0x10001, v27
	v_mul_u32_u24_e32 v89, 0x10001, v89
	v_pk_fma_f16 v86, v29, v24, v86
	v_pk_fma_f16 v31, v29, v85, v31
	v_pk_fma_f16 v81, v29, v25, v81
	v_pk_fma_f16 v82, v29, v87, v82
	v_pk_fma_f16 v83, v29, v26, v83
	v_pk_fma_f16 v30, v29, v88, v30
	v_pk_fma_f16 v84, v29, v27, v84
	v_pk_fma_f16 v85, v29, v89, v28
	ds_load_2addr_b32 v[28:29], v71 offset0:64 offset1:96
	ds_load_b128 v[24:27], v61 offset:672
	s_wait_dscnt 0x0
	v_lshrrev_b32_e32 v87, 16, v24
	v_lshrrev_b32_e32 v88, 16, v25
	v_lshrrev_b32_e32 v89, 16, v26
	v_lshrrev_b32_e32 v90, 16, v27
	v_and_b32_e32 v24, 0xffff, v24
	v_and_b32_e32 v25, 0xffff, v25
	v_and_b32_e32 v26, 0xffff, v26
	v_and_b32_e32 v27, 0xffff, v27
	v_mul_u32_u24_e32 v87, 0x10001, v87
	v_mul_u32_u24_e32 v24, 0x10001, v24
	v_mul_u32_u24_e32 v25, 0x10001, v25
	v_mul_u32_u24_e32 v26, 0x10001, v26
	v_mul_u32_u24_e32 v27, 0x10001, v27
	v_mul_u32_u24_e32 v88, 0x10001, v88
	v_pk_fma_f16 v86, v28, v24, v86
	v_pk_fma_f16 v81, v28, v25, v81
	v_pk_fma_f16 v83, v28, v26, v83
	v_pk_fma_f16 v84, v28, v27, v84
	ds_load_b128 v[24:27], v61 offset:688
	v_mul_u32_u24_e32 v89, 0x10001, v89
	v_mul_u32_u24_e32 v90, 0x10001, v90
	v_pk_fma_f16 v31, v28, v87, v31
	v_pk_fma_f16 v82, v28, v88, v82
	s_delay_alu instid0(VALU_DEP_4) | instskip(NEXT) | instid1(VALU_DEP_4)
	v_pk_fma_f16 v30, v28, v89, v30
	v_pk_fma_f16 v28, v28, v90, v85
	s_wait_dscnt 0x0
	v_lshrrev_b32_e32 v85, 16, v24
	v_lshrrev_b32_e32 v87, 16, v25
	v_lshrrev_b32_e32 v88, 16, v26
	v_lshrrev_b32_e32 v89, 16, v27
	v_and_b32_e32 v24, 0xffff, v24
	v_and_b32_e32 v25, 0xffff, v25
	v_and_b32_e32 v26, 0xffff, v26
	v_and_b32_e32 v27, 0xffff, v27
	v_mul_u32_u24_e32 v85, 0x10001, v85
	v_mul_u32_u24_e32 v24, 0x10001, v24
	v_mul_u32_u24_e32 v25, 0x10001, v25
	v_mul_u32_u24_e32 v87, 0x10001, v87
	v_mul_u32_u24_e32 v26, 0x10001, v26
	v_mul_u32_u24_e32 v88, 0x10001, v88
	v_mul_u32_u24_e32 v27, 0x10001, v27
	v_mul_u32_u24_e32 v89, 0x10001, v89
	v_pk_fma_f16 v86, v29, v24, v86
	v_pk_fma_f16 v31, v29, v85, v31
	v_pk_fma_f16 v81, v29, v25, v81
	v_pk_fma_f16 v82, v29, v87, v82
	v_pk_fma_f16 v83, v29, v26, v83
	v_pk_fma_f16 v30, v29, v88, v30
	v_pk_fma_f16 v84, v29, v27, v84
	v_pk_fma_f16 v85, v29, v89, v28
	ds_load_2addr_b32 v[28:29], v71 offset0:128 offset1:160
	;; [unrolled: 54-line block ×3, first 2 shown]
	ds_load_b128 v[24:27], v61 offset:736
	s_wait_dscnt 0x0
	v_lshrrev_b32_e32 v87, 16, v24
	v_lshrrev_b32_e32 v88, 16, v25
	;; [unrolled: 1-line block ×4, first 2 shown]
	v_and_b32_e32 v24, 0xffff, v24
	v_and_b32_e32 v25, 0xffff, v25
	;; [unrolled: 1-line block ×4, first 2 shown]
	v_mul_u32_u24_e32 v87, 0x10001, v87
	v_mul_u32_u24_e32 v24, 0x10001, v24
	v_mul_u32_u24_e32 v25, 0x10001, v25
	v_mul_u32_u24_e32 v26, 0x10001, v26
	v_mul_u32_u24_e32 v27, 0x10001, v27
	v_mul_u32_u24_e32 v88, 0x10001, v88
	v_pk_fma_f16 v86, v28, v24, v86
	v_pk_fma_f16 v81, v28, v25, v81
	;; [unrolled: 1-line block ×4, first 2 shown]
	ds_load_b128 v[24:27], v61 offset:752
	v_mul_u32_u24_e32 v89, 0x10001, v89
	v_mul_u32_u24_e32 v90, 0x10001, v90
	v_pk_fma_f16 v31, v28, v87, v31
	v_pk_fma_f16 v82, v28, v88, v82
	s_delay_alu instid0(VALU_DEP_4) | instskip(NEXT) | instid1(VALU_DEP_4)
	v_pk_fma_f16 v30, v28, v89, v30
	v_pk_fma_f16 v28, v28, v90, v85
	s_wait_dscnt 0x0
	v_lshrrev_b32_e32 v85, 16, v24
	v_lshrrev_b32_e32 v87, 16, v25
	;; [unrolled: 1-line block ×4, first 2 shown]
	v_and_b32_e32 v24, 0xffff, v24
	v_and_b32_e32 v25, 0xffff, v25
	;; [unrolled: 1-line block ×4, first 2 shown]
	v_mul_u32_u24_e32 v85, 0x10001, v85
	v_mul_u32_u24_e32 v24, 0x10001, v24
	;; [unrolled: 1-line block ×8, first 2 shown]
	v_pk_fma_f16 v86, v29, v24, v86
	v_pk_fma_f16 v31, v29, v85, v31
	;; [unrolled: 1-line block ×8, first 2 shown]
	ds_load_2addr_b32 v[28:29], v72 offset1:32
	ds_load_b128 v[24:27], v61 offset:768
	s_wait_dscnt 0x0
	v_lshrrev_b32_e32 v87, 16, v24
	v_lshrrev_b32_e32 v88, 16, v25
	v_lshrrev_b32_e32 v89, 16, v26
	v_lshrrev_b32_e32 v90, 16, v27
	v_and_b32_e32 v24, 0xffff, v24
	v_and_b32_e32 v25, 0xffff, v25
	v_and_b32_e32 v26, 0xffff, v26
	v_and_b32_e32 v27, 0xffff, v27
	v_mul_u32_u24_e32 v87, 0x10001, v87
	v_mul_u32_u24_e32 v24, 0x10001, v24
	v_mul_u32_u24_e32 v25, 0x10001, v25
	v_mul_u32_u24_e32 v26, 0x10001, v26
	v_mul_u32_u24_e32 v27, 0x10001, v27
	v_mul_u32_u24_e32 v88, 0x10001, v88
	v_pk_fma_f16 v86, v28, v24, v86
	v_pk_fma_f16 v81, v28, v25, v81
	v_pk_fma_f16 v83, v28, v26, v83
	v_pk_fma_f16 v84, v28, v27, v84
	ds_load_b128 v[24:27], v61 offset:784
	v_mul_u32_u24_e32 v89, 0x10001, v89
	v_mul_u32_u24_e32 v90, 0x10001, v90
	v_pk_fma_f16 v31, v28, v87, v31
	v_pk_fma_f16 v82, v28, v88, v82
	s_delay_alu instid0(VALU_DEP_4) | instskip(NEXT) | instid1(VALU_DEP_4)
	v_pk_fma_f16 v30, v28, v89, v30
	v_pk_fma_f16 v28, v28, v90, v85
	s_wait_dscnt 0x0
	v_lshrrev_b32_e32 v85, 16, v24
	v_lshrrev_b32_e32 v87, 16, v25
	v_lshrrev_b32_e32 v88, 16, v26
	v_lshrrev_b32_e32 v89, 16, v27
	v_and_b32_e32 v24, 0xffff, v24
	v_and_b32_e32 v25, 0xffff, v25
	v_and_b32_e32 v26, 0xffff, v26
	v_and_b32_e32 v27, 0xffff, v27
	v_mul_u32_u24_e32 v85, 0x10001, v85
	v_mul_u32_u24_e32 v24, 0x10001, v24
	v_mul_u32_u24_e32 v25, 0x10001, v25
	v_mul_u32_u24_e32 v87, 0x10001, v87
	v_mul_u32_u24_e32 v26, 0x10001, v26
	v_mul_u32_u24_e32 v88, 0x10001, v88
	v_mul_u32_u24_e32 v27, 0x10001, v27
	v_mul_u32_u24_e32 v89, 0x10001, v89
	v_pk_fma_f16 v86, v29, v24, v86
	v_pk_fma_f16 v31, v29, v85, v31
	v_pk_fma_f16 v81, v29, v25, v81
	v_pk_fma_f16 v82, v29, v87, v82
	v_pk_fma_f16 v83, v29, v26, v83
	v_pk_fma_f16 v30, v29, v88, v30
	v_pk_fma_f16 v84, v29, v27, v84
	v_pk_fma_f16 v85, v29, v89, v28
	ds_load_2addr_b32 v[28:29], v72 offset0:64 offset1:96
	ds_load_b128 v[24:27], v61 offset:800
	s_wait_dscnt 0x0
	v_lshrrev_b32_e32 v87, 16, v24
	v_lshrrev_b32_e32 v88, 16, v25
	v_lshrrev_b32_e32 v89, 16, v26
	v_lshrrev_b32_e32 v90, 16, v27
	v_and_b32_e32 v24, 0xffff, v24
	v_and_b32_e32 v25, 0xffff, v25
	v_and_b32_e32 v26, 0xffff, v26
	v_and_b32_e32 v27, 0xffff, v27
	v_mul_u32_u24_e32 v87, 0x10001, v87
	v_mul_u32_u24_e32 v24, 0x10001, v24
	v_mul_u32_u24_e32 v25, 0x10001, v25
	v_mul_u32_u24_e32 v26, 0x10001, v26
	v_mul_u32_u24_e32 v27, 0x10001, v27
	v_mul_u32_u24_e32 v88, 0x10001, v88
	v_pk_fma_f16 v86, v28, v24, v86
	v_pk_fma_f16 v81, v28, v25, v81
	v_pk_fma_f16 v83, v28, v26, v83
	v_pk_fma_f16 v84, v28, v27, v84
	ds_load_b128 v[24:27], v61 offset:816
	v_mul_u32_u24_e32 v89, 0x10001, v89
	v_mul_u32_u24_e32 v90, 0x10001, v90
	v_pk_fma_f16 v31, v28, v87, v31
	v_pk_fma_f16 v82, v28, v88, v82
	s_delay_alu instid0(VALU_DEP_4) | instskip(NEXT) | instid1(VALU_DEP_4)
	v_pk_fma_f16 v30, v28, v89, v30
	v_pk_fma_f16 v28, v28, v90, v85
	s_wait_dscnt 0x0
	v_lshrrev_b32_e32 v85, 16, v24
	v_lshrrev_b32_e32 v87, 16, v25
	v_lshrrev_b32_e32 v88, 16, v26
	v_lshrrev_b32_e32 v89, 16, v27
	v_and_b32_e32 v24, 0xffff, v24
	v_and_b32_e32 v25, 0xffff, v25
	v_and_b32_e32 v26, 0xffff, v26
	v_and_b32_e32 v27, 0xffff, v27
	v_mul_u32_u24_e32 v85, 0x10001, v85
	v_mul_u32_u24_e32 v24, 0x10001, v24
	v_mul_u32_u24_e32 v25, 0x10001, v25
	v_mul_u32_u24_e32 v87, 0x10001, v87
	v_mul_u32_u24_e32 v26, 0x10001, v26
	v_mul_u32_u24_e32 v88, 0x10001, v88
	v_mul_u32_u24_e32 v27, 0x10001, v27
	v_mul_u32_u24_e32 v89, 0x10001, v89
	v_pk_fma_f16 v86, v29, v24, v86
	v_pk_fma_f16 v31, v29, v85, v31
	v_pk_fma_f16 v81, v29, v25, v81
	v_pk_fma_f16 v82, v29, v87, v82
	v_pk_fma_f16 v83, v29, v26, v83
	v_pk_fma_f16 v30, v29, v88, v30
	v_pk_fma_f16 v84, v29, v27, v84
	v_pk_fma_f16 v85, v29, v89, v28
	ds_load_2addr_b32 v[28:29], v72 offset0:128 offset1:160
	;; [unrolled: 54-line block ×3, first 2 shown]
	ds_load_b128 v[24:27], v61 offset:864
	s_wait_dscnt 0x0
	v_lshrrev_b32_e32 v87, 16, v24
	v_lshrrev_b32_e32 v88, 16, v25
	;; [unrolled: 1-line block ×4, first 2 shown]
	v_and_b32_e32 v24, 0xffff, v24
	v_and_b32_e32 v25, 0xffff, v25
	v_and_b32_e32 v26, 0xffff, v26
	v_and_b32_e32 v27, 0xffff, v27
	v_mul_u32_u24_e32 v87, 0x10001, v87
	v_mul_u32_u24_e32 v24, 0x10001, v24
	;; [unrolled: 1-line block ×6, first 2 shown]
	v_pk_fma_f16 v86, v28, v24, v86
	v_pk_fma_f16 v81, v28, v25, v81
	;; [unrolled: 1-line block ×4, first 2 shown]
	ds_load_b128 v[24:27], v61 offset:880
	v_mul_u32_u24_e32 v89, 0x10001, v89
	v_mul_u32_u24_e32 v90, 0x10001, v90
	v_pk_fma_f16 v31, v28, v87, v31
	v_pk_fma_f16 v82, v28, v88, v82
	s_delay_alu instid0(VALU_DEP_4) | instskip(NEXT) | instid1(VALU_DEP_4)
	v_pk_fma_f16 v30, v28, v89, v30
	v_pk_fma_f16 v28, v28, v90, v85
	s_wait_dscnt 0x0
	v_lshrrev_b32_e32 v85, 16, v24
	v_lshrrev_b32_e32 v87, 16, v25
	;; [unrolled: 1-line block ×4, first 2 shown]
	v_and_b32_e32 v24, 0xffff, v24
	v_and_b32_e32 v25, 0xffff, v25
	;; [unrolled: 1-line block ×4, first 2 shown]
	v_mul_u32_u24_e32 v85, 0x10001, v85
	v_mul_u32_u24_e32 v24, 0x10001, v24
	;; [unrolled: 1-line block ×8, first 2 shown]
	v_pk_fma_f16 v86, v29, v24, v86
	v_pk_fma_f16 v31, v29, v85, v31
	;; [unrolled: 1-line block ×8, first 2 shown]
	ds_load_2addr_b32 v[28:29], v73 offset1:32
	ds_load_b128 v[24:27], v61 offset:896
	s_wait_dscnt 0x0
	v_lshrrev_b32_e32 v87, 16, v24
	v_lshrrev_b32_e32 v88, 16, v25
	v_lshrrev_b32_e32 v89, 16, v26
	v_lshrrev_b32_e32 v90, 16, v27
	v_and_b32_e32 v24, 0xffff, v24
	v_and_b32_e32 v25, 0xffff, v25
	v_and_b32_e32 v26, 0xffff, v26
	v_and_b32_e32 v27, 0xffff, v27
	v_mul_u32_u24_e32 v87, 0x10001, v87
	v_mul_u32_u24_e32 v24, 0x10001, v24
	v_mul_u32_u24_e32 v25, 0x10001, v25
	v_mul_u32_u24_e32 v26, 0x10001, v26
	v_mul_u32_u24_e32 v27, 0x10001, v27
	v_mul_u32_u24_e32 v88, 0x10001, v88
	v_pk_fma_f16 v86, v28, v24, v86
	v_pk_fma_f16 v81, v28, v25, v81
	v_pk_fma_f16 v83, v28, v26, v83
	v_pk_fma_f16 v84, v28, v27, v84
	ds_load_b128 v[24:27], v61 offset:912
	v_mul_u32_u24_e32 v89, 0x10001, v89
	v_mul_u32_u24_e32 v90, 0x10001, v90
	v_pk_fma_f16 v31, v28, v87, v31
	v_pk_fma_f16 v82, v28, v88, v82
	s_delay_alu instid0(VALU_DEP_4) | instskip(NEXT) | instid1(VALU_DEP_4)
	v_pk_fma_f16 v30, v28, v89, v30
	v_pk_fma_f16 v28, v28, v90, v85
	s_wait_dscnt 0x0
	v_lshrrev_b32_e32 v85, 16, v24
	v_lshrrev_b32_e32 v87, 16, v25
	v_lshrrev_b32_e32 v88, 16, v26
	v_lshrrev_b32_e32 v89, 16, v27
	v_and_b32_e32 v24, 0xffff, v24
	v_and_b32_e32 v25, 0xffff, v25
	v_and_b32_e32 v26, 0xffff, v26
	v_and_b32_e32 v27, 0xffff, v27
	v_mul_u32_u24_e32 v85, 0x10001, v85
	v_mul_u32_u24_e32 v24, 0x10001, v24
	v_mul_u32_u24_e32 v25, 0x10001, v25
	v_mul_u32_u24_e32 v87, 0x10001, v87
	v_mul_u32_u24_e32 v26, 0x10001, v26
	v_mul_u32_u24_e32 v88, 0x10001, v88
	v_mul_u32_u24_e32 v27, 0x10001, v27
	v_mul_u32_u24_e32 v89, 0x10001, v89
	v_pk_fma_f16 v86, v29, v24, v86
	v_pk_fma_f16 v31, v29, v85, v31
	v_pk_fma_f16 v81, v29, v25, v81
	v_pk_fma_f16 v82, v29, v87, v82
	v_pk_fma_f16 v83, v29, v26, v83
	v_pk_fma_f16 v30, v29, v88, v30
	v_pk_fma_f16 v84, v29, v27, v84
	v_pk_fma_f16 v85, v29, v89, v28
	ds_load_2addr_b32 v[28:29], v73 offset0:64 offset1:96
	ds_load_b128 v[24:27], v61 offset:928
	s_wait_dscnt 0x0
	v_lshrrev_b32_e32 v87, 16, v24
	v_lshrrev_b32_e32 v88, 16, v25
	v_lshrrev_b32_e32 v89, 16, v26
	v_lshrrev_b32_e32 v90, 16, v27
	v_and_b32_e32 v24, 0xffff, v24
	v_and_b32_e32 v25, 0xffff, v25
	v_and_b32_e32 v26, 0xffff, v26
	v_and_b32_e32 v27, 0xffff, v27
	v_mul_u32_u24_e32 v87, 0x10001, v87
	v_mul_u32_u24_e32 v24, 0x10001, v24
	v_mul_u32_u24_e32 v25, 0x10001, v25
	v_mul_u32_u24_e32 v26, 0x10001, v26
	v_mul_u32_u24_e32 v27, 0x10001, v27
	v_mul_u32_u24_e32 v88, 0x10001, v88
	v_pk_fma_f16 v86, v28, v24, v86
	v_pk_fma_f16 v81, v28, v25, v81
	v_pk_fma_f16 v83, v28, v26, v83
	v_pk_fma_f16 v84, v28, v27, v84
	ds_load_b128 v[24:27], v61 offset:944
	v_mul_u32_u24_e32 v89, 0x10001, v89
	v_mul_u32_u24_e32 v90, 0x10001, v90
	v_pk_fma_f16 v31, v28, v87, v31
	v_pk_fma_f16 v82, v28, v88, v82
	s_delay_alu instid0(VALU_DEP_4) | instskip(NEXT) | instid1(VALU_DEP_4)
	v_pk_fma_f16 v30, v28, v89, v30
	v_pk_fma_f16 v28, v28, v90, v85
	s_wait_dscnt 0x0
	v_lshrrev_b32_e32 v85, 16, v24
	v_lshrrev_b32_e32 v87, 16, v25
	v_lshrrev_b32_e32 v88, 16, v26
	v_lshrrev_b32_e32 v89, 16, v27
	v_and_b32_e32 v24, 0xffff, v24
	v_and_b32_e32 v25, 0xffff, v25
	v_and_b32_e32 v26, 0xffff, v26
	v_and_b32_e32 v27, 0xffff, v27
	v_mul_u32_u24_e32 v85, 0x10001, v85
	v_mul_u32_u24_e32 v24, 0x10001, v24
	v_mul_u32_u24_e32 v25, 0x10001, v25
	v_mul_u32_u24_e32 v87, 0x10001, v87
	v_mul_u32_u24_e32 v26, 0x10001, v26
	v_mul_u32_u24_e32 v88, 0x10001, v88
	v_mul_u32_u24_e32 v27, 0x10001, v27
	v_mul_u32_u24_e32 v89, 0x10001, v89
	v_pk_fma_f16 v86, v29, v24, v86
	v_pk_fma_f16 v31, v29, v85, v31
	v_pk_fma_f16 v81, v29, v25, v81
	v_pk_fma_f16 v82, v29, v87, v82
	v_pk_fma_f16 v83, v29, v26, v83
	v_pk_fma_f16 v30, v29, v88, v30
	v_pk_fma_f16 v84, v29, v27, v84
	v_pk_fma_f16 v85, v29, v89, v28
	ds_load_2addr_b32 v[28:29], v73 offset0:128 offset1:160
	;; [unrolled: 54-line block ×3, first 2 shown]
	ds_load_b128 v[26:29], v61 offset:992
	s_wait_dscnt 0x0
	v_lshrrev_b32_e32 v30, 16, v26
	v_lshrrev_b32_e32 v81, 16, v27
	;; [unrolled: 1-line block ×4, first 2 shown]
	v_and_b32_e32 v26, 0xffff, v26
	v_and_b32_e32 v27, 0xffff, v27
	;; [unrolled: 1-line block ×4, first 2 shown]
	v_mul_u32_u24_e32 v30, 0x10001, v30
	v_mul_u32_u24_e32 v26, 0x10001, v26
	;; [unrolled: 1-line block ×8, first 2 shown]
	v_pk_fma_f16 v81, v24, v26, v86
	v_pk_fma_f16 v31, v24, v30, v31
	;; [unrolled: 1-line block ×8, first 2 shown]
	ds_load_b128 v[85:88], v61 offset:1008
	s_wait_loadcnt_dscnt 0x0
	s_barrier_signal -1
	s_barrier_wait -1
	global_inv scope:SCOPE_SE
	s_load_b32 s3, s[20:21], 0x4
	v_lshrrev_b32_e32 v83, 16, v85
	v_lshrrev_b32_e32 v84, 16, v86
	;; [unrolled: 1-line block ×4, first 2 shown]
	v_and_b32_e32 v82, 0xffff, v85
	v_and_b32_e32 v85, 0xffff, v86
	;; [unrolled: 1-line block ×4, first 2 shown]
	v_mul_u32_u24_e32 v83, 0x10001, v83
	v_mul_u32_u24_e32 v82, 0x10001, v82
	v_mul_u32_u24_e32 v85, 0x10001, v85
	v_mul_u32_u24_e32 v84, 0x10001, v84
	v_mul_u32_u24_e32 v87, 0x10001, v86
	v_mul_u32_u24_e32 v86, 0x10001, v89
	v_mul_u32_u24_e32 v89, 0x10001, v88
	v_mul_u32_u24_e32 v88, 0x10001, v90
	s_wait_kmcnt 0x0
	s_lshl_b32 s3, s3, 6
	v_pk_fma_f16 v82, v25, v82, v81
	v_pk_fma_f16 v81, v25, v83, v31
	v_pk_fma_f16 v31, v25, v85, v30
	v_pk_fma_f16 v30, v25, v84, v29
	v_pk_fma_f16 v29, v25, v87, v28
	v_pk_fma_f16 v28, v25, v86, v27
	v_pk_fma_f16 v27, v25, v89, v26
	v_pk_fma_f16 v26, v25, v88, v24
	s_wait_alu 0xfffe
	s_add_co_i32 s10, s3, s10
	s_wait_alu 0xfffe
	s_cmp_ge_i32 s10, s30
	s_cbranch_scc0 .LBB21_9
; %bb.10:
	v_mov_b32_e32 v8, v45
.LBB21_11:
	v_lshlrev_b32_e32 v45, 1, v40
	v_cmp_lt_i32_e32 vcc_lo, v50, v43
	s_cmp_lg_u64 s[12:13], 0
	s_cselect_b32 s3, -1, 0
	s_cmp_eq_u32 s4, 0
	s_wait_alu 0xfffd
	v_cndmask_b32_e32 v9, v8, v50, vcc_lo
	v_cmp_lt_i32_e32 vcc_lo, v48, v43
	s_cselect_b32 s5, -1, 0
	s_wait_alu 0xfffe
	s_and_b32 s3, s5, s3
	v_lshlrev_b32_e32 v9, 2, v9
	ds_bpermute_b32 v10, v9, v74
	s_wait_dscnt 0x0
	v_add_f32_e32 v10, v74, v10
	ds_bpermute_b32 v12, v9, v76
	ds_bpermute_b32 v14, v9, v78
	;; [unrolled: 1-line block ×4, first 2 shown]
	s_wait_alu 0xfffd
	v_cndmask_b32_e32 v17, v8, v48, vcc_lo
	ds_bpermute_b32 v13, v9, v77
	ds_bpermute_b32 v15, v9, v79
	;; [unrolled: 1-line block ×3, first 2 shown]
	v_cmp_lt_i32_e32 vcc_lo, v47, v43
	s_wait_dscnt 0x6
	v_add_f32_e32 v12, v76, v12
	s_wait_dscnt 0x5
	v_dual_add_f32 v14, v78, v14 :: v_dual_lshlrev_b32 v17, 2, v17
	s_wait_dscnt 0x3
	v_dual_add_f32 v11, v75, v11 :: v_dual_add_f32 v16, v80, v16
	ds_bpermute_b32 v18, v17, v10
	ds_bpermute_b32 v20, v17, v12
	;; [unrolled: 1-line block ×3, first 2 shown]
	s_wait_dscnt 0x5
	v_add_f32_e32 v13, v77, v13
	s_wait_dscnt 0x4
	v_add_f32_e32 v15, v79, v15
	;; [unrolled: 2-line block ×3, first 2 shown]
	ds_bpermute_b32 v24, v17, v16
	ds_bpermute_b32 v19, v17, v11
	s_wait_dscnt 0x4
	v_add_f32_e32 v10, v10, v18
	ds_bpermute_b32 v21, v17, v13
	s_wait_dscnt 0x4
	v_add_f32_e32 v12, v12, v20
	ds_bpermute_b32 v23, v17, v15
	s_wait_dscnt 0x4
	v_add_f32_e32 v14, v14, v22
	ds_bpermute_b32 v17, v17, v9
	s_wait_alu 0xfffd
	v_cndmask_b32_e32 v25, v8, v47, vcc_lo
	s_wait_dscnt 0x3
	v_dual_add_f32 v16, v16, v24 :: v_dual_add_f32 v11, v11, v19
	v_cmp_lt_i32_e32 vcc_lo, v46, v43
	s_delay_alu instid0(VALU_DEP_3)
	v_lshlrev_b32_e32 v25, 2, v25
	ds_bpermute_b32 v19, v25, v12
	ds_bpermute_b32 v18, v25, v11
	s_wait_dscnt 0x4
	v_add_f32_e32 v13, v13, v21
	ds_bpermute_b32 v21, v25, v14
	s_wait_dscnt 0x4
	v_add_f32_e32 v15, v15, v23
	;; [unrolled: 3-line block ×3, first 2 shown]
	ds_bpermute_b32 v17, v25, v10
	ds_bpermute_b32 v22, v25, v15
	s_wait_dscnt 0x5
	v_add_f32_e32 v12, v12, v19
	ds_bpermute_b32 v20, v25, v13
	s_wait_dscnt 0x4
	v_add_f32_e32 v14, v14, v21
	s_wait_dscnt 0x3
	v_add_f32_e32 v16, v16, v23
	ds_bpermute_b32 v24, v25, v9
	s_wait_dscnt 0x3
	s_wait_alu 0xfffd
	v_dual_add_f32 v10, v10, v17 :: v_dual_cndmask_b32 v25, v8, v46
	v_cmp_lt_i32_e32 vcc_lo, v44, v43
	s_wait_alu 0xfffd
	s_delay_alu instid0(VALU_DEP_2)
	v_dual_cndmask_b32 v8, v8, v44 :: v_dual_lshlrev_b32 v25, 2, v25
	s_wait_alu 0xfffe
	s_and_b32 vcc_lo, exec_lo, s3
	ds_bpermute_b32 v19, v25, v12
	v_lshlrev_b32_e32 v8, 2, v8
	s_wait_dscnt 0x0
	v_add_f32_e32 v12, v12, v19
	ds_bpermute_b32 v17, v25, v10
	ds_bpermute_b32 v21, v25, v14
	;; [unrolled: 1-line block ×3, first 2 shown]
	v_add_f32_e32 v11, v11, v18
	ds_bpermute_b32 v19, v8, v12
	v_add_f32_e32 v9, v9, v24
	v_add_f32_e32 v13, v13, v20
	ds_bpermute_b32 v24, v25, v9
	s_wait_dscnt 0x4
	v_add_f32_e32 v10, v10, v17
	s_wait_dscnt 0x3
	v_add_f32_e32 v14, v14, v21
	ds_bpermute_b32 v18, v25, v11
	s_wait_dscnt 0x3
	v_add_f32_e32 v16, v16, v23
	ds_bpermute_b32 v20, v25, v13
	ds_bpermute_b32 v21, v8, v14
	;; [unrolled: 1-line block ×3, first 2 shown]
	s_wait_dscnt 0x4
	v_add_f32_e32 v17, v9, v24
	ds_bpermute_b32 v9, v8, v10
	v_add_f32_e32 v15, v15, v22
	ds_bpermute_b32 v24, v8, v17
	ds_bpermute_b32 v22, v25, v15
	s_wait_dscnt 0x6
	v_add_f32_e32 v11, v11, v18
	s_wait_dscnt 0x5
	v_add_f32_e32 v13, v13, v20
	ds_bpermute_b32 v18, v8, v11
	ds_bpermute_b32 v20, v8, v13
	s_wait_dscnt 0x2
	v_add_f32_e32 v15, v15, v22
	ds_bpermute_b32 v22, v8, v15
	v_add_f32_e32 v8, v10, v9
	v_add_f32_e32 v10, v12, v19
	;; [unrolled: 1-line block ×3, first 2 shown]
	s_wait_dscnt 0x2
	v_dual_add_f32 v14, v16, v23 :: v_dual_add_f32 v9, v11, v18
	s_wait_dscnt 0x1
	v_add_f32_e32 v11, v13, v20
	s_wait_dscnt 0x0
	v_add_f32_e32 v13, v15, v22
	v_add_f32_e32 v15, v17, v24
	s_wait_alu 0xfffe
	s_cbranch_vccz .LBB21_13
; %bb.12:
	s_ashr_i32 s3, s2, 31
	v_dual_mov_b32 v16, 0 :: v_dual_max_num_f32 v17, v1, v1
	s_wait_alu 0xfffe
	s_lshl_b64 s[6:7], s[2:3], 2
	v_dual_max_num_f32 v18, v2, v2 :: v_dual_max_num_f32 v21, v5, v5
	s_add_nc_u64 s[6:7], s[12:13], s[6:7]
	v_max_num_f32_e32 v19, v3, v3
	global_load_b128 v[46:49], v16, s[6:7]
	v_max_num_f32_e32 v16, v0, v0
	v_max_num_f32_e32 v20, v4, v4
	s_wait_loadcnt 0x0
	v_dual_max_num_f32 v22, v6, v6 :: v_dual_max_num_f32 v25, v48, v48
	v_dual_max_num_f32 v23, v46, v46 :: v_dual_max_num_f32 v24, v47, v47
	;; [unrolled: 1-line block ×3, first 2 shown]
	s_delay_alu instid0(VALU_DEP_3) | instskip(NEXT) | instid1(VALU_DEP_3)
	v_max_num_f32_e32 v18, v18, v25
	v_dual_max_num_f32 v16, v16, v23 :: v_dual_max_num_f32 v21, v21, v24
	v_max_num_f32_e32 v17, v17, v24
	s_delay_alu instid0(VALU_DEP_4) | instskip(SKIP_2) | instid1(VALU_DEP_3)
	v_max_num_f32_e32 v19, v19, v43
	v_max_num_f32_e32 v20, v20, v23
	v_dual_max_num_f32 v22, v22, v25 :: v_dual_max_num_f32 v23, v44, v43
	v_dual_sub_f32 v50, v2, v18 :: v_dual_sub_f32 v53, v49, v19
	v_dual_sub_f32 v52, v3, v19 :: v_dual_sub_f32 v55, v5, v21
	s_delay_alu instid0(VALU_DEP_3)
	v_dual_sub_f32 v56, v6, v22 :: v_dual_sub_f32 v49, v49, v23
	v_dual_sub_f32 v24, v0, v16 :: v_dual_sub_f32 v43, v1, v17
	v_sub_f32_e32 v25, v46, v16
	v_sub_f32_e32 v54, v4, v20
	v_dual_sub_f32 v46, v46, v20 :: v_dual_sub_f32 v57, v7, v23
	v_dual_mov_b32 v0, v16 :: v_dual_mov_b32 v3, v19
	v_dual_sub_f32 v44, v47, v17 :: v_dual_sub_f32 v51, v48, v18
	v_dual_sub_f32 v48, v48, v22 :: v_dual_mov_b32 v1, v17
	v_dual_mov_b32 v2, v18 :: v_dual_mov_b32 v5, v21
	v_dual_mov_b32 v4, v20 :: v_dual_mov_b32 v7, v23
	v_dual_mov_b32 v6, v22 :: v_dual_mul_f32 v17, 0x3fb8aa3b, v25
	v_dual_mul_f32 v22, 0x3fb8aa3b, v52 :: v_dual_mul_f32 v59, 0x3fb8aa3b, v46
	v_dual_mul_f32 v62, 0x3fb8aa3b, v56 :: v_dual_mul_f32 v65, 0x3fb8aa3b, v49
	v_dual_mul_f32 v60, 0x3fb8aa3b, v55 :: v_dual_mul_f32 v63, 0x3fb8aa3b, v48
	s_delay_alu instid0(VALU_DEP_3) | instskip(SKIP_1) | instid1(VALU_DEP_4)
	v_fma_f32 v78, 0x3fb8aa3b, v52, -v22
	v_mul_f32_e32 v16, 0x3fb8aa3b, v24
	v_fma_f32 v98, 0x3fb8aa3b, v49, -v65
	v_rndne_f32_e32 v99, v65
	v_rndne_f32_e32 v89, v60
	v_fmac_f32_e32 v78, 0x32a5705f, v52
	v_fma_f32 v88, 0x3fb8aa3b, v55, -v60
	s_delay_alu instid0(VALU_DEP_4) | instskip(NEXT) | instid1(VALU_DEP_4)
	v_dual_fmac_f32 v98, 0x32a5705f, v49 :: v_dual_sub_f32 v65, v65, v99
	v_sub_f32_e32 v60, v60, v89
	v_dual_sub_f32 v47, v47, v21 :: v_dual_mul_f32 v18, 0x3fb8aa3b, v43
	v_mul_f32_e32 v19, 0x3fb8aa3b, v44
	s_delay_alu instid0(VALU_DEP_4)
	v_add_f32_e32 v65, v65, v98
	v_mul_f32_e32 v21, 0x3fb8aa3b, v51
	v_fma_f32 v66, 0x3fb8aa3b, v24, -v16
	v_rndne_f32_e32 v67, v16
	v_fma_f32 v68, 0x3fb8aa3b, v25, -v17
	v_exp_f32_e32 v65, v65
	v_rndne_f32_e32 v69, v17
	v_rndne_f32_e32 v73, v19
	v_fmac_f32_e32 v66, 0x32a5705f, v24
	v_sub_f32_e32 v16, v16, v67
	v_cvt_i32_f32_e32 v99, v99
	v_fma_f32 v70, 0x3fb8aa3b, v43, -v18
	v_rndne_f32_e32 v71, v18
	v_fma_f32 v72, 0x3fb8aa3b, v44, -v19
	v_rndne_f32_e32 v87, v59
	v_fmac_f32_e32 v68, 0x32a5705f, v25
	v_sub_f32_e32 v17, v17, v69
	v_sub_f32_e32 v19, v19, v73
	v_ldexp_f32 v65, v65, v99
	v_add_f32_e32 v16, v16, v66
	v_dual_mul_f32 v20, 0x3fb8aa3b, v50 :: v_dual_mul_f32 v23, 0x3fb8aa3b, v53
	v_dual_mul_f32 v58, 0x3fb8aa3b, v54 :: v_dual_mul_f32 v61, 0x3fb8aa3b, v47
	v_rndne_f32_e32 v77, v21
	v_fma_f32 v86, 0x3fb8aa3b, v46, -v59
	v_fmac_f32_e32 v70, 0x32a5705f, v43
	v_sub_f32_e32 v59, v59, v87
	v_dual_sub_f32 v18, v18, v71 :: v_dual_add_f32 v17, v17, v68
	v_exp_f32_e32 v16, v16
	v_rndne_f32_e32 v75, v20
	v_fma_f32 v76, 0x3fb8aa3b, v51, -v21
	v_rndne_f32_e32 v91, v61
	v_cvt_i32_f32_e32 v67, v67
	v_dual_fmac_f32 v72, 0x32a5705f, v44 :: v_dual_sub_f32 v21, v21, v77
	v_add_f32_e32 v18, v18, v70
	v_exp_f32_e32 v17, v17
	v_fma_f32 v74, 0x3fb8aa3b, v50, -v20
	v_fma_f32 v90, 0x3fb8aa3b, v47, -v61
	v_cvt_i32_f32_e32 v69, v69
	v_sub_f32_e32 v61, v61, v91
	v_dual_sub_f32 v20, v20, v75 :: v_dual_add_f32 v19, v19, v72
	v_exp_f32_e32 v18, v18
	v_ldexp_f32 v16, v16, v67
	v_cmp_ngt_f32_e32 vcc_lo, 0xc2ce8ed0, v24
	v_fma_f32 v84, 0x3fb8aa3b, v54, -v58
	v_cvt_i32_f32_e32 v71, v71
	v_exp_f32_e32 v19, v19
	v_ldexp_f32 v17, v17, v69
	s_wait_alu 0xfffd
	v_cndmask_b32_e32 v16, 0, v16, vcc_lo
	v_cmp_ngt_f32_e32 vcc_lo, 0xc2ce8ed0, v25
	v_cvt_i32_f32_e32 v73, v73
	v_fmac_f32_e32 v84, 0x32a5705f, v54
	v_ldexp_f32 v18, v18, v71
	v_fma_f32 v80, 0x3fb8aa3b, v53, -v23
	s_wait_alu 0xfffd
	v_cndmask_b32_e32 v17, 0, v17, vcc_lo
	v_cmp_ngt_f32_e32 vcc_lo, 0xc2ce8ed0, v43
	v_rndne_f32_e32 v83, v23
	v_rndne_f32_e32 v95, v63
	v_fmac_f32_e32 v74, 0x32a5705f, v50
	v_ldexp_f32 v19, v19, v73
	s_wait_alu 0xfffd
	v_cndmask_b32_e32 v18, 0, v18, vcc_lo
	v_cmp_ngt_f32_e32 vcc_lo, 0xc2ce8ed0, v44
	v_fmac_f32_e32 v86, 0x32a5705f, v46
	v_dual_mul_f32 v64, 0x3fb8aa3b, v57 :: v_dual_sub_f32 v23, v23, v83
	v_rndne_f32_e32 v79, v22
	v_fma_f32 v94, 0x3fb8aa3b, v48, -v63
	v_dual_sub_f32 v63, v63, v95 :: v_dual_add_f32 v20, v20, v74
	s_wait_alu 0xfffd
	v_dual_cndmask_b32 v19, 0, v19 :: v_dual_fmac_f32 v80, 0x32a5705f, v53
	v_dual_add_f32 v59, v59, v86 :: v_dual_fmac_f32 v76, 0x32a5705f, v51
	s_delay_alu instid0(VALU_DEP_3) | instskip(SKIP_1) | instid1(VALU_DEP_3)
	v_exp_f32_e32 v20, v20
	v_cvt_i32_f32_e32 v75, v75
	v_dual_add_f32 v23, v23, v80 :: v_dual_sub_f32 v22, v22, v79
	s_delay_alu instid0(VALU_DEP_3)
	v_add_f32_e32 v21, v21, v76
	v_cvt_i32_f32_e32 v77, v77
	v_cmp_ngt_f32_e32 vcc_lo, 0xc2ce8ed0, v50
	v_rndne_f32_e32 v85, v58
	v_cvt_i32_f32_e32 v79, v79
	v_exp_f32_e32 v21, v21
	s_delay_alu instid0(TRANS32_DEP_2)
	v_ldexp_f32 v20, v20, v75
	v_exp_f32_e32 v23, v23
	v_cvt_i32_f32_e32 v83, v83
	v_cvt_i32_f32_e32 v91, v91
	v_fma_f32 v92, 0x3fb8aa3b, v56, -v62
	s_wait_alu 0xfffd
	v_cndmask_b32_e32 v20, 0, v20, vcc_lo
	v_add_f32_e32 v22, v22, v78
	v_cmp_ngt_f32_e32 vcc_lo, 0xc2ce8ed0, v51
	v_exp_f32_e32 v59, v59
	v_ldexp_f32 v21, v21, v77
	v_fmac_f32_e32 v90, 0x32a5705f, v47
	v_exp_f32_e32 v22, v22
	v_ldexp_f32 v23, v23, v83
	v_rndne_f32_e32 v93, v62
	s_wait_alu 0xfffd
	v_cndmask_b32_e32 v21, 0, v21, vcc_lo
	v_dual_sub_f32 v58, v58, v85 :: v_dual_add_f32 v61, v61, v90
	v_cmp_ngt_f32_e32 vcc_lo, 0xc2ce8ed0, v52
	v_cvt_i32_f32_e32 v85, v85
	v_cvt_i32_f32_e32 v87, v87
	s_delay_alu instid0(VALU_DEP_4)
	v_add_f32_e32 v58, v58, v84
	v_exp_f32_e32 v61, v61
	v_ldexp_f32 v22, v22, v79
	v_cvt_i32_f32_e32 v89, v89
	v_ldexp_f32 v59, v59, v87
	v_exp_f32_e32 v58, v58
	v_fma_f32 v96, 0x3fb8aa3b, v57, -v64
	s_wait_alu 0xfffd
	v_cndmask_b32_e32 v22, 0, v22, vcc_lo
	v_cmp_ngt_f32_e32 vcc_lo, 0xc2ce8ed0, v53
	v_fmac_f32_e32 v92, 0x32a5705f, v56
	v_rndne_f32_e32 v97, v64
	v_ldexp_f32 v61, v61, v91
	v_fmac_f32_e32 v94, 0x32a5705f, v48
	v_fmac_f32_e32 v88, 0x32a5705f, v55
	s_wait_alu 0xfffd
	v_cndmask_b32_e32 v23, 0, v23, vcc_lo
	v_ldexp_f32 v58, v58, v85
	v_cmp_ngt_f32_e32 vcc_lo, 0xc2ce8ed0, v54
	v_dual_add_f32 v63, v63, v94 :: v_dual_add_f32 v60, v60, v88
	v_cvt_i32_f32_e32 v95, v95
	v_sub_f32_e32 v64, v64, v97
	s_wait_alu 0xfffd
	v_cndmask_b32_e32 v58, 0, v58, vcc_lo
	v_cmp_ngt_f32_e32 vcc_lo, 0xc2ce8ed0, v46
	v_sub_f32_e32 v62, v62, v93
	v_exp_f32_e32 v60, v60
	v_cvt_i32_f32_e32 v93, v93
	v_exp_f32_e32 v63, v63
	s_wait_alu 0xfffd
	v_dual_cndmask_b32 v59, 0, v59 :: v_dual_add_f32 v62, v62, v92
	v_cmp_ngt_f32_e32 vcc_lo, 0xc2ce8ed0, v55
	v_cvt_i32_f32_e32 v97, v97
	s_delay_alu instid0(VALU_DEP_3) | instskip(NEXT) | instid1(TRANS32_DEP_3)
	v_exp_f32_e32 v62, v62
	v_ldexp_f32 v60, v60, v89
	s_delay_alu instid0(TRANS32_DEP_2) | instskip(SKIP_1) | instid1(VALU_DEP_2)
	v_ldexp_f32 v63, v63, v95
	s_wait_alu 0xfffd
	v_cndmask_b32_e32 v60, 0, v60, vcc_lo
	v_cmp_ngt_f32_e32 vcc_lo, 0xc2ce8ed0, v47
	s_delay_alu instid0(TRANS32_DEP_1)
	v_ldexp_f32 v62, v62, v93
	s_wait_alu 0xfffd
	v_cndmask_b32_e32 v61, 0, v61, vcc_lo
	v_cmp_ngt_f32_e32 vcc_lo, 0xc2ce8ed0, v56
	s_wait_alu 0xfffd
	v_cndmask_b32_e32 v62, 0, v62, vcc_lo
	v_cmp_ngt_f32_e32 vcc_lo, 0xc2ce8ed0, v48
	s_wait_alu 0xfffd
	v_dual_fmac_f32 v96, 0x32a5705f, v57 :: v_dual_cndmask_b32 v63, 0, v63
	s_delay_alu instid0(VALU_DEP_1) | instskip(SKIP_1) | instid1(VALU_DEP_2)
	v_add_f32_e32 v64, v64, v96
	v_cmp_ngt_f32_e32 vcc_lo, 0xc2ce8ed0, v57
	v_exp_f32_e32 v64, v64
	s_delay_alu instid0(TRANS32_DEP_1) | instskip(SKIP_1) | instid1(VALU_DEP_1)
	v_ldexp_f32 v64, v64, v97
	s_wait_alu 0xfffd
	v_cndmask_b32_e32 v64, 0, v64, vcc_lo
	v_cmp_ngt_f32_e32 vcc_lo, 0xc2ce8ed0, v49
	s_wait_alu 0xfffd
	v_cndmask_b32_e32 v65, 0, v65, vcc_lo
	v_cmp_nlt_f32_e32 vcc_lo, 0x42b17218, v24
	s_wait_alu 0xfffd
	v_cndmask_b32_e32 v24, 0x7f800000, v16, vcc_lo
	v_cmp_nlt_f32_e32 vcc_lo, 0x42b17218, v25
	;; [unrolled: 3-line block ×5, first 2 shown]
	s_delay_alu instid0(VALU_DEP_2) | instskip(SKIP_1) | instid1(VALU_DEP_1)
	v_fmac_f32_e32 v17, v9, v25
	v_cvt_f16_f32_e32 v9, v25
	v_and_b32_e32 v25, 0xffff, v9
	s_wait_alu 0xfffd
	v_cndmask_b32_e32 v43, 0x7f800000, v20, vcc_lo
	v_cmp_nlt_f32_e32 vcc_lo, 0x42b17218, v51
	v_mov_b32_e32 v9, v17
	v_mul_u32_u24_e32 v25, 0x10001, v25
	s_wait_alu 0xfffd
	v_cndmask_b32_e32 v18, 0x7f800000, v21, vcc_lo
	v_cmp_nlt_f32_e32 vcc_lo, 0x42b17218, v52
	s_delay_alu instid0(VALU_DEP_3) | instskip(NEXT) | instid1(VALU_DEP_3)
	v_pk_mul_f16 v81, v81, v25
	v_fmac_f32_e32 v18, v10, v43
	s_wait_alu 0xfffd
	v_cndmask_b32_e32 v44, 0x7f800000, v22, vcc_lo
	v_cmp_nlt_f32_e32 vcc_lo, 0x42b17218, v53
	v_cvt_f16_f32_e32 v10, v43
	s_wait_alu 0xfffd
	v_cndmask_b32_e32 v19, 0x7f800000, v23, vcc_lo
	v_cmp_nlt_f32_e32 vcc_lo, 0x42b17218, v54
	s_delay_alu instid0(VALU_DEP_3) | instskip(SKIP_1) | instid1(VALU_DEP_3)
	v_dual_mov_b32 v10, v18 :: v_dual_and_b32 v43, 0xffff, v10
	s_wait_alu 0xfffd
	v_dual_fmac_f32 v19, v11, v44 :: v_dual_cndmask_b32 v50, 0x7f800000, v58
	v_cmp_nlt_f32_e32 vcc_lo, 0x42b17218, v46
	v_cvt_f16_f32_e32 v11, v44
	v_mul_u32_u24_e32 v43, 0x10001, v43
	s_wait_alu 0xfffd
	v_cndmask_b32_e32 v20, 0x7f800000, v59, vcc_lo
	v_cmp_nlt_f32_e32 vcc_lo, 0x42b17218, v55
	v_dual_mov_b32 v11, v19 :: v_dual_and_b32 v44, 0xffff, v11
	v_pk_mul_f16 v31, v31, v43
	s_delay_alu instid0(VALU_DEP_4)
	v_fmac_f32_e32 v20, v12, v50
	s_wait_alu 0xfffd
	v_cndmask_b32_e32 v46, 0x7f800000, v60, vcc_lo
	v_cmp_nlt_f32_e32 vcc_lo, 0x42b17218, v47
	v_cvt_f16_f32_e32 v12, v50
	v_mul_u32_u24_e32 v44, 0x10001, v44
	s_wait_alu 0xfffd
	v_cndmask_b32_e32 v21, 0x7f800000, v61, vcc_lo
	v_cmp_nlt_f32_e32 vcc_lo, 0x42b17218, v56
	s_delay_alu instid0(VALU_DEP_3) | instskip(NEXT) | instid1(VALU_DEP_3)
	v_pk_mul_f16 v30, v30, v44
	v_fmac_f32_e32 v21, v13, v46
	s_wait_alu 0xfffd
	v_cndmask_b32_e32 v47, 0x7f800000, v62, vcc_lo
	v_cmp_nlt_f32_e32 vcc_lo, 0x42b17218, v48
	v_cvt_f16_f32_e32 v13, v46
	v_and_b32_e32 v46, 0xffff, v12
	v_mov_b32_e32 v12, v20
	s_wait_alu 0xfffd
	v_cndmask_b32_e32 v22, 0x7f800000, v63, vcc_lo
	v_cmp_nlt_f32_e32 vcc_lo, 0x42b17218, v57
	v_mul_u32_u24_e32 v46, 0x10001, v46
	s_delay_alu instid0(VALU_DEP_3)
	v_fmac_f32_e32 v22, v14, v47
	s_wait_alu 0xfffd
	v_cndmask_b32_e32 v48, 0x7f800000, v64, vcc_lo
	v_cmp_nlt_f32_e32 vcc_lo, 0x42b17218, v49
	v_cvt_f16_f32_e32 v14, v47
	v_and_b32_e32 v47, 0xffff, v13
	v_mov_b32_e32 v13, v21
	v_pk_mul_f16 v29, v29, v46
	s_wait_alu 0xfffd
	v_cndmask_b32_e32 v23, 0x7f800000, v65, vcc_lo
	v_mul_u32_u24_e32 v47, 0x10001, v47
	s_delay_alu instid0(VALU_DEP_2) | instskip(SKIP_4) | instid1(VALU_DEP_4)
	v_fmac_f32_e32 v23, v15, v48
	v_cvt_f16_f32_e32 v15, v48
	v_and_b32_e32 v48, 0xffff, v14
	v_mov_b32_e32 v14, v22
	v_pk_mul_f16 v28, v28, v47
	v_and_b32_e32 v15, 0xffff, v15
	s_delay_alu instid0(VALU_DEP_4) | instskip(NEXT) | instid1(VALU_DEP_2)
	v_mul_u32_u24_e32 v48, 0x10001, v48
	v_mul_u32_u24_e32 v15, 0x10001, v15
	s_delay_alu instid0(VALU_DEP_2) | instskip(NEXT) | instid1(VALU_DEP_2)
	v_pk_mul_f16 v27, v27, v48
	v_pk_mul_f16 v26, v26, v15
	v_dual_mov_b32 v15, v23 :: v_dual_fmac_f32 v16, v8, v24
	v_cvt_f16_f32_e32 v8, v24
	s_delay_alu instid0(VALU_DEP_1) | instskip(NEXT) | instid1(VALU_DEP_3)
	v_and_b32_e32 v24, 0xffff, v8
	v_mov_b32_e32 v8, v16
	s_delay_alu instid0(VALU_DEP_2) | instskip(NEXT) | instid1(VALU_DEP_1)
	v_mul_u32_u24_e32 v24, 0x10001, v24
	v_pk_mul_f16 v82, v82, v24
	s_mov_b32 s3, exec_lo
	v_cmpx_gt_i32_e64 s22, v42
	s_cbranch_execnz .LBB21_14
	s_branch .LBB21_50
.LBB21_13:
	s_delay_alu instid0(VALU_DEP_1)
	v_dual_mov_b32 v23, v15 :: v_dual_mov_b32 v22, v14
	v_dual_mov_b32 v21, v13 :: v_dual_mov_b32 v20, v12
	;; [unrolled: 1-line block ×4, first 2 shown]
	s_mov_b32 s3, exec_lo
	v_cmpx_gt_i32_e64 s22, v42
	s_cbranch_execz .LBB21_50
.LBB21_14:
	s_load_b32 s1, s[0:1], 0xd4
	v_mov_b32_e32 v42, 1.0
	s_wait_kmcnt 0x0
	s_cmp_lg_u32 s1, 1
	s_cselect_b32 s5, -1, 0
	s_cmp_eq_u32 s1, 1
	s_cselect_b32 s6, -1, 0
	s_wait_alu 0xfffe
	s_and_b32 vcc_lo, exec_lo, s5
	s_wait_alu 0xfffe
	s_cbranch_vccnz .LBB21_16
; %bb.15:
	v_div_scale_f32 v24, null, v8, v8, 1.0
	s_delay_alu instid0(VALU_DEP_1) | instskip(NEXT) | instid1(TRANS32_DEP_1)
	v_rcp_f32_e32 v25, v24
	v_fma_f32 v42, -v24, v25, 1.0
	s_delay_alu instid0(VALU_DEP_1) | instskip(SKIP_1) | instid1(VALU_DEP_1)
	v_fmac_f32_e32 v25, v42, v25
	v_div_scale_f32 v42, vcc_lo, 1.0, v8, 1.0
	v_mul_f32_e32 v43, v42, v25
	s_delay_alu instid0(VALU_DEP_1) | instskip(NEXT) | instid1(VALU_DEP_1)
	v_fma_f32 v44, -v24, v43, v42
	v_fmac_f32_e32 v43, v44, v25
	s_delay_alu instid0(VALU_DEP_1) | instskip(SKIP_1) | instid1(VALU_DEP_1)
	v_fma_f32 v24, -v24, v43, v42
	s_wait_alu 0xfffd
	v_div_fmas_f32 v24, v24, v25, v43
	s_delay_alu instid0(VALU_DEP_1)
	v_div_fixup_f32 v42, v24, v8, 1.0
.LBB21_16:
	s_mul_i32 s3, s28, s22
	v_cmp_eq_u32_e32 vcc_lo, 0, v40
	s_wait_alu 0xfffe
	s_add_co_i32 s3, s3, s31
	s_wait_alu 0xfffe
	v_add_nc_u32_e32 v8, s3, v41
	s_delay_alu instid0(VALU_DEP_1) | instskip(NEXT) | instid1(VALU_DEP_1)
	v_mul_lo_u32 v41, v8, s23
	v_add_nc_u32_e32 v8, s2, v41
	s_delay_alu instid0(VALU_DEP_1) | instskip(SKIP_3) | instid1(VALU_DEP_2)
	v_mad_co_u64_u32 v[24:25], null, s1, v8, s[4:5]
	v_lshrrev_b32_e32 v8, 16, v82
	v_cvt_f32_f16_e32 v25, v82
	s_and_b32 s5, vcc_lo, s5
	v_cvt_f32_f16_e32 v8, v8
	v_mov_b32_e32 v44, 0
	v_lshl_add_u32 v43, v24, 6, v45
	v_mul_f32_e32 v46, v42, v25
	s_delay_alu instid0(VALU_DEP_4) | instskip(NEXT) | instid1(VALU_DEP_3)
	v_mul_f32_e32 v47, v42, v8
	v_lshlrev_b64_e32 v[43:44], 2, v[43:44]
	s_delay_alu instid0(VALU_DEP_1) | instskip(SKIP_1) | instid1(VALU_DEP_2)
	v_add_co_u32 v42, s0, s16, v43
	s_wait_alu 0xf1ff
	v_add_co_ci_u32_e64 v43, null, s17, v44, s0
	global_store_b64 v[42:43], v[46:47], off
	s_wait_alu 0xfffe
	s_and_saveexec_b32 s0, s5
	s_cbranch_execz .LBB21_18
; %bb.17:
	v_ashrrev_i32_e32 v25, 31, v24
	v_dual_mov_b32 v42, v0 :: v_dual_mov_b32 v43, v16
	s_delay_alu instid0(VALU_DEP_2) | instskip(NEXT) | instid1(VALU_DEP_1)
	v_lshlrev_b64_e32 v[24:25], 3, v[24:25]
	v_add_co_u32 v24, vcc_lo, s18, v24
	s_wait_alu 0xfffd
	s_delay_alu instid0(VALU_DEP_2)
	v_add_co_ci_u32_e64 v25, null, s19, v25, vcc_lo
	global_store_b64 v[24:25], v[42:43], off
.LBB21_18:
	s_wait_alu 0xfffe
	s_or_b32 exec_lo, exec_lo, s0
	v_cndmask_b32_e64 v24, 0, 1, s6
	v_mov_b32_e32 v0, 1.0
	s_and_not1_b32 vcc_lo, exec_lo, s6
	s_wait_alu 0xfffe
	s_cbranch_vccnz .LBB21_20
; %bb.19:
	v_div_scale_f32 v0, null, v9, v9, 1.0
	s_delay_alu instid0(VALU_DEP_1) | instskip(NEXT) | instid1(TRANS32_DEP_1)
	v_rcp_f32_e32 v8, v0
	v_fma_f32 v16, -v0, v8, 1.0
	s_delay_alu instid0(VALU_DEP_1) | instskip(SKIP_1) | instid1(VALU_DEP_1)
	v_fmac_f32_e32 v8, v16, v8
	v_div_scale_f32 v16, vcc_lo, 1.0, v9, 1.0
	v_mul_f32_e32 v25, v16, v8
	s_delay_alu instid0(VALU_DEP_1) | instskip(NEXT) | instid1(VALU_DEP_1)
	v_fma_f32 v40, -v0, v25, v16
	v_fmac_f32_e32 v25, v40, v8
	s_delay_alu instid0(VALU_DEP_1) | instskip(SKIP_1) | instid1(VALU_DEP_1)
	v_fma_f32 v0, -v0, v25, v16
	s_wait_alu 0xfffd
	v_div_fmas_f32 v0, v0, v8, v25
	s_delay_alu instid0(VALU_DEP_1)
	v_div_fixup_f32 v0, v0, v9, 1.0
.LBB21_20:
	s_add_co_i32 s8, s2, 1
	v_cvt_f32_f16_e32 v16, v81
	v_dual_mov_b32 v43, 0 :: v_dual_add_nc_u32 v8, s8, v41
	s_delay_alu instid0(VALU_DEP_2) | instskip(NEXT) | instid1(VALU_DEP_2)
	v_mul_f32_e32 v46, v0, v16
	v_mad_co_u64_u32 v[8:9], null, s1, v8, s[4:5]
	v_lshrrev_b32_e32 v9, 16, v81
	s_delay_alu instid0(VALU_DEP_1) | instskip(NEXT) | instid1(VALU_DEP_3)
	v_cvt_f32_f16_e32 v9, v9
	v_lshl_add_u32 v42, v8, 6, v45
	s_delay_alu instid0(VALU_DEP_2) | instskip(NEXT) | instid1(VALU_DEP_2)
	v_mul_f32_e32 v47, v0, v9
	v_lshlrev_b64_e32 v[42:43], 2, v[42:43]
	s_delay_alu instid0(VALU_DEP_1) | instskip(SKIP_1) | instid1(VALU_DEP_2)
	v_add_co_u32 v42, vcc_lo, s16, v42
	s_wait_alu 0xfffd
	v_add_co_ci_u32_e64 v43, null, s17, v43, vcc_lo
	global_store_b64 v[42:43], v[46:47], off
	s_and_saveexec_b32 s0, s5
	s_cbranch_execz .LBB21_22
; %bb.21:
	v_ashrrev_i32_e32 v9, 31, v8
	v_mov_b32_e32 v16, v1
	s_delay_alu instid0(VALU_DEP_2) | instskip(NEXT) | instid1(VALU_DEP_1)
	v_lshlrev_b64_e32 v[8:9], 3, v[8:9]
	v_add_co_u32 v8, vcc_lo, s18, v8
	s_wait_alu 0xfffd
	s_delay_alu instid0(VALU_DEP_2)
	v_add_co_ci_u32_e64 v9, null, s19, v9, vcc_lo
	global_store_b64 v[8:9], v[16:17], off
.LBB21_22:
	s_wait_alu 0xfffe
	s_or_b32 exec_lo, exec_lo, s0
	v_cmp_ne_u32_e32 vcc_lo, 1, v24
	v_mov_b32_e32 v8, 1.0
	s_cbranch_vccnz .LBB21_24
; %bb.23:
	v_div_scale_f32 v0, null, v10, v10, 1.0
	s_delay_alu instid0(VALU_DEP_1) | instskip(NEXT) | instid1(TRANS32_DEP_1)
	v_rcp_f32_e32 v1, v0
	v_fma_f32 v8, -v0, v1, 1.0
	s_delay_alu instid0(VALU_DEP_1) | instskip(SKIP_1) | instid1(VALU_DEP_1)
	v_fmac_f32_e32 v1, v8, v1
	v_div_scale_f32 v8, vcc_lo, 1.0, v10, 1.0
	v_mul_f32_e32 v9, v8, v1
	s_delay_alu instid0(VALU_DEP_1) | instskip(NEXT) | instid1(VALU_DEP_1)
	v_fma_f32 v16, -v0, v9, v8
	v_fmac_f32_e32 v9, v16, v1
	s_delay_alu instid0(VALU_DEP_1) | instskip(SKIP_1) | instid1(VALU_DEP_1)
	v_fma_f32 v0, -v0, v9, v8
	s_wait_alu 0xfffd
	v_div_fmas_f32 v0, v0, v1, v9
	s_delay_alu instid0(VALU_DEP_1)
	v_div_fixup_f32 v8, v0, v10, 1.0
.LBB21_24:
	s_add_co_i32 s6, s2, 2
	v_cvt_f32_f16_e32 v16, v31
	s_wait_alu 0xfffe
	v_add_nc_u32_e32 v0, s6, v41
	s_delay_alu instid0(VALU_DEP_2) | instskip(NEXT) | instid1(VALU_DEP_2)
	v_mul_f32_e32 v16, v8, v16
	v_mad_co_u64_u32 v[0:1], null, s1, v0, s[4:5]
	v_lshrrev_b32_e32 v1, 16, v31
	s_delay_alu instid0(VALU_DEP_1) | instskip(SKIP_1) | instid1(VALU_DEP_4)
	v_cvt_f32_f16_e32 v1, v1
	v_mov_b32_e32 v10, 0
	v_lshl_add_u32 v9, v0, 6, v45
	s_delay_alu instid0(VALU_DEP_3) | instskip(NEXT) | instid1(VALU_DEP_2)
	v_mul_f32_e32 v17, v8, v1
	v_lshlrev_b64_e32 v[9:10], 2, v[9:10]
	s_delay_alu instid0(VALU_DEP_1) | instskip(SKIP_1) | instid1(VALU_DEP_2)
	v_add_co_u32 v8, vcc_lo, s16, v9
	s_wait_alu 0xfffd
	v_add_co_ci_u32_e64 v9, null, s17, v10, vcc_lo
	global_store_b64 v[8:9], v[16:17], off
	s_and_saveexec_b32 s0, s5
	s_cbranch_execz .LBB21_26
; %bb.25:
	v_ashrrev_i32_e32 v1, 31, v0
	v_mov_b32_e32 v17, v2
	s_delay_alu instid0(VALU_DEP_2) | instskip(NEXT) | instid1(VALU_DEP_1)
	v_lshlrev_b64_e32 v[0:1], 3, v[0:1]
	v_add_co_u32 v0, vcc_lo, s18, v0
	s_wait_alu 0xfffd
	s_delay_alu instid0(VALU_DEP_2)
	v_add_co_ci_u32_e64 v1, null, s19, v1, vcc_lo
	global_store_b64 v[0:1], v[17:18], off
.LBB21_26:
	s_wait_alu 0xfffe
	s_or_b32 exec_lo, exec_lo, s0
	v_cmp_ne_u32_e32 vcc_lo, 1, v24
	v_mov_b32_e32 v2, 1.0
	s_cbranch_vccnz .LBB21_28
; %bb.27:
	v_div_scale_f32 v0, null, v11, v11, 1.0
	s_delay_alu instid0(VALU_DEP_1) | instskip(NEXT) | instid1(TRANS32_DEP_1)
	v_rcp_f32_e32 v1, v0
	v_fma_f32 v2, -v0, v1, 1.0
	s_delay_alu instid0(VALU_DEP_1) | instskip(SKIP_1) | instid1(VALU_DEP_1)
	v_fmac_f32_e32 v1, v2, v1
	v_div_scale_f32 v2, vcc_lo, 1.0, v11, 1.0
	v_mul_f32_e32 v8, v2, v1
	s_delay_alu instid0(VALU_DEP_1) | instskip(NEXT) | instid1(VALU_DEP_1)
	v_fma_f32 v9, -v0, v8, v2
	v_fmac_f32_e32 v8, v9, v1
	s_delay_alu instid0(VALU_DEP_1) | instskip(SKIP_1) | instid1(VALU_DEP_1)
	v_fma_f32 v0, -v0, v8, v2
	s_wait_alu 0xfffd
	v_div_fmas_f32 v0, v0, v1, v8
	s_delay_alu instid0(VALU_DEP_1)
	v_div_fixup_f32 v2, v0, v11, 1.0
.LBB21_28:
	s_add_co_i32 s0, s2, 3
	v_cvt_f32_f16_e32 v10, v30
	s_wait_alu 0xfffe
	v_dual_mov_b32 v9, 0 :: v_dual_add_nc_u32 v0, s0, v41
	s_delay_alu instid0(VALU_DEP_1) | instskip(SKIP_1) | instid1(VALU_DEP_1)
	v_mad_co_u64_u32 v[0:1], null, s1, v0, s[4:5]
	v_lshrrev_b32_e32 v1, 16, v30
	v_cvt_f32_f16_e32 v11, v1
	s_delay_alu instid0(VALU_DEP_3) | instskip(SKIP_1) | instid1(VALU_DEP_3)
	v_lshl_add_u32 v8, v0, 6, v45
	v_mul_f32_e32 v1, v2, v10
	v_mul_f32_e32 v2, v2, v11
	s_delay_alu instid0(VALU_DEP_3) | instskip(NEXT) | instid1(VALU_DEP_1)
	v_lshlrev_b64_e32 v[8:9], 2, v[8:9]
	v_add_co_u32 v8, vcc_lo, s16, v8
	s_wait_alu 0xfffd
	s_delay_alu instid0(VALU_DEP_2)
	v_add_co_ci_u32_e64 v9, null, s17, v9, vcc_lo
	global_store_b64 v[8:9], v[1:2], off
	s_and_saveexec_b32 s7, s5
	s_cbranch_execz .LBB21_30
; %bb.29:
	v_ashrrev_i32_e32 v1, 31, v0
	v_mov_b32_e32 v18, v3
	s_delay_alu instid0(VALU_DEP_2) | instskip(NEXT) | instid1(VALU_DEP_1)
	v_lshlrev_b64_e32 v[0:1], 3, v[0:1]
	v_add_co_u32 v0, vcc_lo, s18, v0
	s_wait_alu 0xfffd
	s_delay_alu instid0(VALU_DEP_2)
	v_add_co_ci_u32_e64 v1, null, s19, v1, vcc_lo
	global_store_b64 v[0:1], v[18:19], off
.LBB21_30:
	s_wait_alu 0xfffe
	s_or_b32 exec_lo, exec_lo, s7
	v_cmp_gt_i32_e32 vcc_lo, s22, v39
	s_and_b32 exec_lo, exec_lo, vcc_lo
	s_cbranch_execz .LBB21_50
; %bb.31:
	v_cmp_ne_u32_e32 vcc_lo, 1, v24
	v_mov_b32_e32 v2, 1.0
	s_cbranch_vccnz .LBB21_33
; %bb.32:
	v_div_scale_f32 v0, null, v12, v12, 1.0
	s_delay_alu instid0(VALU_DEP_1) | instskip(NEXT) | instid1(TRANS32_DEP_1)
	v_rcp_f32_e32 v1, v0
	v_fma_f32 v2, -v0, v1, 1.0
	s_delay_alu instid0(VALU_DEP_1) | instskip(SKIP_1) | instid1(VALU_DEP_1)
	v_fmac_f32_e32 v1, v2, v1
	v_div_scale_f32 v2, vcc_lo, 1.0, v12, 1.0
	v_mul_f32_e32 v3, v2, v1
	s_delay_alu instid0(VALU_DEP_1) | instskip(NEXT) | instid1(VALU_DEP_1)
	v_fma_f32 v8, -v0, v3, v2
	v_fmac_f32_e32 v3, v8, v1
	s_delay_alu instid0(VALU_DEP_1) | instskip(SKIP_1) | instid1(VALU_DEP_1)
	v_fma_f32 v0, -v0, v3, v2
	s_wait_alu 0xfffd
	v_div_fmas_f32 v0, v0, v1, v3
	s_delay_alu instid0(VALU_DEP_1)
	v_div_fixup_f32 v2, v0, v12, 1.0
.LBB21_33:
	v_dual_mov_b32 v9, 0 :: v_dual_add_nc_u32 v0, s3, v38
	v_cvt_f32_f16_e32 v3, v29
	s_delay_alu instid0(VALU_DEP_2) | instskip(NEXT) | instid1(VALU_DEP_1)
	v_mad_co_u64_u32 v[0:1], null, v0, s23, s[2:3]
	v_mad_co_u64_u32 v[0:1], null, s1, v0, s[4:5]
	v_lshrrev_b32_e32 v1, 16, v29
	s_delay_alu instid0(VALU_DEP_1) | instskip(NEXT) | instid1(VALU_DEP_3)
	v_cvt_f32_f16_e32 v10, v1
	v_lshl_add_u32 v8, v0, 6, v45
	v_mul_f32_e32 v1, v2, v3
	s_delay_alu instid0(VALU_DEP_3) | instskip(NEXT) | instid1(VALU_DEP_3)
	v_mul_f32_e32 v2, v2, v10
	v_lshlrev_b64_e32 v[8:9], 2, v[8:9]
	s_delay_alu instid0(VALU_DEP_1) | instskip(SKIP_1) | instid1(VALU_DEP_2)
	v_add_co_u32 v8, vcc_lo, s16, v8
	s_wait_alu 0xfffd
	v_add_co_ci_u32_e64 v9, null, s17, v9, vcc_lo
	global_store_b64 v[8:9], v[1:2], off
	s_and_saveexec_b32 s2, s5
	s_cbranch_execz .LBB21_35
; %bb.34:
	v_ashrrev_i32_e32 v1, 31, v0
	v_mov_b32_e32 v19, v4
	s_delay_alu instid0(VALU_DEP_2) | instskip(NEXT) | instid1(VALU_DEP_1)
	v_lshlrev_b64_e32 v[0:1], 3, v[0:1]
	v_add_co_u32 v0, vcc_lo, s18, v0
	s_wait_alu 0xfffd
	s_delay_alu instid0(VALU_DEP_2)
	v_add_co_ci_u32_e64 v1, null, s19, v1, vcc_lo
	global_store_b64 v[0:1], v[19:20], off
.LBB21_35:
	s_wait_alu 0xfffe
	s_or_b32 exec_lo, exec_lo, s2
	v_cmp_gt_i32_e32 vcc_lo, s22, v37
	s_and_b32 exec_lo, exec_lo, vcc_lo
	s_cbranch_execz .LBB21_50
; %bb.36:
	v_cmp_ne_u32_e32 vcc_lo, 1, v24
	v_mov_b32_e32 v2, 1.0
	s_cbranch_vccnz .LBB21_38
; %bb.37:
	v_div_scale_f32 v0, null, v13, v13, 1.0
	s_delay_alu instid0(VALU_DEP_1) | instskip(NEXT) | instid1(TRANS32_DEP_1)
	v_rcp_f32_e32 v1, v0
	v_fma_f32 v2, -v0, v1, 1.0
	s_delay_alu instid0(VALU_DEP_1) | instskip(SKIP_1) | instid1(VALU_DEP_1)
	v_fmac_f32_e32 v1, v2, v1
	v_div_scale_f32 v2, vcc_lo, 1.0, v13, 1.0
	v_mul_f32_e32 v3, v2, v1
	s_delay_alu instid0(VALU_DEP_1) | instskip(NEXT) | instid1(VALU_DEP_1)
	v_fma_f32 v4, -v0, v3, v2
	v_fmac_f32_e32 v3, v4, v1
	s_delay_alu instid0(VALU_DEP_1) | instskip(SKIP_1) | instid1(VALU_DEP_1)
	v_fma_f32 v0, -v0, v3, v2
	s_wait_alu 0xfffd
	v_div_fmas_f32 v0, v0, v1, v3
	s_delay_alu instid0(VALU_DEP_1)
	v_div_fixup_f32 v2, v0, v13, 1.0
.LBB21_38:
	v_add_nc_u32_e32 v0, s3, v36
	v_cvt_f32_f16_e32 v8, v28
	v_mov_b32_e32 v4, 0
	s_delay_alu instid0(VALU_DEP_3) | instskip(NEXT) | instid1(VALU_DEP_1)
	v_mad_co_u64_u32 v[0:1], null, v0, s23, s[8:9]
	v_mad_co_u64_u32 v[0:1], null, s1, v0, s[4:5]
	v_lshrrev_b32_e32 v1, 16, v28
	s_delay_alu instid0(VALU_DEP_1) | instskip(NEXT) | instid1(VALU_DEP_3)
	v_cvt_f32_f16_e32 v9, v1
	v_lshl_add_u32 v3, v0, 6, v45
	v_mul_f32_e32 v1, v2, v8
	s_delay_alu instid0(VALU_DEP_3) | instskip(NEXT) | instid1(VALU_DEP_3)
	v_mul_f32_e32 v2, v2, v9
	v_lshlrev_b64_e32 v[3:4], 2, v[3:4]
	s_delay_alu instid0(VALU_DEP_1) | instskip(SKIP_1) | instid1(VALU_DEP_2)
	v_add_co_u32 v3, vcc_lo, s16, v3
	s_wait_alu 0xfffd
	v_add_co_ci_u32_e64 v4, null, s17, v4, vcc_lo
	global_store_b64 v[3:4], v[1:2], off
	s_and_saveexec_b32 s2, s5
	s_cbranch_execz .LBB21_40
; %bb.39:
	v_ashrrev_i32_e32 v1, 31, v0
	v_mov_b32_e32 v20, v5
	s_delay_alu instid0(VALU_DEP_2) | instskip(NEXT) | instid1(VALU_DEP_1)
	v_lshlrev_b64_e32 v[0:1], 3, v[0:1]
	v_add_co_u32 v0, vcc_lo, s18, v0
	s_wait_alu 0xfffd
	s_delay_alu instid0(VALU_DEP_2)
	v_add_co_ci_u32_e64 v1, null, s19, v1, vcc_lo
	global_store_b64 v[0:1], v[20:21], off
.LBB21_40:
	s_wait_alu 0xfffe
	s_or_b32 exec_lo, exec_lo, s2
	v_cmp_gt_i32_e32 vcc_lo, s22, v35
	s_and_b32 exec_lo, exec_lo, vcc_lo
	s_cbranch_execz .LBB21_50
; %bb.41:
	v_cmp_ne_u32_e32 vcc_lo, 1, v24
	v_mov_b32_e32 v2, 1.0
	s_cbranch_vccnz .LBB21_43
; %bb.42:
	v_div_scale_f32 v0, null, v14, v14, 1.0
	s_delay_alu instid0(VALU_DEP_1) | instskip(NEXT) | instid1(TRANS32_DEP_1)
	v_rcp_f32_e32 v1, v0
	v_fma_f32 v2, -v0, v1, 1.0
	s_delay_alu instid0(VALU_DEP_1) | instskip(SKIP_1) | instid1(VALU_DEP_1)
	v_fmac_f32_e32 v1, v2, v1
	v_div_scale_f32 v2, vcc_lo, 1.0, v14, 1.0
	v_mul_f32_e32 v3, v2, v1
	s_delay_alu instid0(VALU_DEP_1) | instskip(NEXT) | instid1(VALU_DEP_1)
	v_fma_f32 v4, -v0, v3, v2
	v_fmac_f32_e32 v3, v4, v1
	s_delay_alu instid0(VALU_DEP_1) | instskip(SKIP_1) | instid1(VALU_DEP_1)
	v_fma_f32 v0, -v0, v3, v2
	s_wait_alu 0xfffd
	v_div_fmas_f32 v0, v0, v1, v3
	s_delay_alu instid0(VALU_DEP_1)
	v_div_fixup_f32 v2, v0, v14, 1.0
.LBB21_43:
	v_add_nc_u32_e32 v0, s3, v33
	v_cvt_f32_f16_e32 v5, v27
	v_mov_b32_e32 v4, 0
	s_delay_alu instid0(VALU_DEP_3) | instskip(NEXT) | instid1(VALU_DEP_1)
	v_mad_co_u64_u32 v[0:1], null, v0, s23, s[6:7]
	v_mad_co_u64_u32 v[0:1], null, s1, v0, s[4:5]
	v_lshrrev_b32_e32 v1, 16, v27
	s_delay_alu instid0(VALU_DEP_1) | instskip(NEXT) | instid1(VALU_DEP_3)
	v_cvt_f32_f16_e32 v8, v1
	v_lshl_add_u32 v3, v0, 6, v45
	v_mul_f32_e32 v1, v2, v5
	s_delay_alu instid0(VALU_DEP_3) | instskip(NEXT) | instid1(VALU_DEP_3)
	v_mul_f32_e32 v2, v2, v8
	v_lshlrev_b64_e32 v[3:4], 2, v[3:4]
	s_delay_alu instid0(VALU_DEP_1) | instskip(SKIP_1) | instid1(VALU_DEP_2)
	v_add_co_u32 v3, vcc_lo, s16, v3
	s_wait_alu 0xfffd
	v_add_co_ci_u32_e64 v4, null, s17, v4, vcc_lo
	global_store_b64 v[3:4], v[1:2], off
	s_and_saveexec_b32 s2, s5
	s_cbranch_execz .LBB21_45
; %bb.44:
	v_ashrrev_i32_e32 v1, 31, v0
	v_mov_b32_e32 v21, v6
	s_delay_alu instid0(VALU_DEP_2) | instskip(NEXT) | instid1(VALU_DEP_1)
	v_lshlrev_b64_e32 v[0:1], 3, v[0:1]
	v_add_co_u32 v0, vcc_lo, s18, v0
	s_wait_alu 0xfffd
	s_delay_alu instid0(VALU_DEP_2)
	v_add_co_ci_u32_e64 v1, null, s19, v1, vcc_lo
	global_store_b64 v[0:1], v[21:22], off
.LBB21_45:
	s_wait_alu 0xfffe
	s_or_b32 exec_lo, exec_lo, s2
	v_cmp_gt_i32_e32 vcc_lo, s22, v34
	s_and_b32 exec_lo, exec_lo, vcc_lo
	s_cbranch_execz .LBB21_50
; %bb.46:
	v_cmp_ne_u32_e32 vcc_lo, 1, v24
	v_mov_b32_e32 v2, 1.0
	s_cbranch_vccnz .LBB21_48
; %bb.47:
	v_div_scale_f32 v0, null, v15, v15, 1.0
	s_delay_alu instid0(VALU_DEP_1) | instskip(NEXT) | instid1(TRANS32_DEP_1)
	v_rcp_f32_e32 v1, v0
	v_fma_f32 v2, -v0, v1, 1.0
	s_delay_alu instid0(VALU_DEP_1) | instskip(SKIP_1) | instid1(VALU_DEP_1)
	v_fmac_f32_e32 v1, v2, v1
	v_div_scale_f32 v2, vcc_lo, 1.0, v15, 1.0
	v_mul_f32_e32 v3, v2, v1
	s_delay_alu instid0(VALU_DEP_1) | instskip(NEXT) | instid1(VALU_DEP_1)
	v_fma_f32 v4, -v0, v3, v2
	v_fmac_f32_e32 v3, v4, v1
	s_delay_alu instid0(VALU_DEP_1) | instskip(SKIP_1) | instid1(VALU_DEP_1)
	v_fma_f32 v0, -v0, v3, v2
	s_wait_alu 0xfffd
	v_div_fmas_f32 v0, v0, v1, v3
	s_delay_alu instid0(VALU_DEP_1)
	v_div_fixup_f32 v2, v0, v15, 1.0
.LBB21_48:
	v_cvt_f32_f16_e32 v5, v26
	v_add_nc_u32_e32 v0, s3, v32
	v_mov_b32_e32 v4, 0
	s_delay_alu instid0(VALU_DEP_2) | instskip(NEXT) | instid1(VALU_DEP_1)
	v_mad_co_u64_u32 v[0:1], null, v0, s23, s[0:1]
	v_mad_co_u64_u32 v[0:1], null, s1, v0, s[4:5]
	v_lshrrev_b32_e32 v1, 16, v26
	s_delay_alu instid0(VALU_DEP_1) | instskip(NEXT) | instid1(VALU_DEP_3)
	v_cvt_f32_f16_e32 v6, v1
	v_lshl_add_u32 v3, v0, 6, v45
	v_mul_f32_e32 v1, v2, v5
	s_delay_alu instid0(VALU_DEP_3) | instskip(NEXT) | instid1(VALU_DEP_3)
	v_mul_f32_e32 v2, v2, v6
	v_lshlrev_b64_e32 v[3:4], 2, v[3:4]
	s_delay_alu instid0(VALU_DEP_1) | instskip(SKIP_1) | instid1(VALU_DEP_2)
	v_add_co_u32 v3, vcc_lo, s16, v3
	s_wait_alu 0xfffd
	v_add_co_ci_u32_e64 v4, null, s17, v4, vcc_lo
	global_store_b64 v[3:4], v[1:2], off
	s_and_b32 exec_lo, exec_lo, s5
	s_cbranch_execz .LBB21_50
; %bb.49:
	v_ashrrev_i32_e32 v1, 31, v0
	v_mov_b32_e32 v22, v7
	s_delay_alu instid0(VALU_DEP_2) | instskip(NEXT) | instid1(VALU_DEP_1)
	v_lshlrev_b64_e32 v[0:1], 3, v[0:1]
	v_add_co_u32 v0, vcc_lo, s18, v0
	s_wait_alu 0xfffd
	s_delay_alu instid0(VALU_DEP_2)
	v_add_co_ci_u32_e64 v1, null, s19, v1, vcc_lo
	global_store_b64 v[0:1], v[22:23], off
	s_nop 0
	s_sendmsg sendmsg(MSG_DEALLOC_VGPRS)
	s_endpgm
.LBB21_50:
	s_nop 0
	s_sendmsg sendmsg(MSG_DEALLOC_VGPRS)
	s_endpgm
	.section	.rodata,"a",@progbits
	.p2align	6, 0x0
	.amdhsa_kernel _ZL15flash_attn_tileILi64ELi64ELi8ELi4ELb0EEvPKcS1_S1_S1_S1_PKiPfP15HIP_vector_typeIfLj2EEffffjfiS5_IjLj3EEiiiiiiiiiiiliiliiiiil
		.amdhsa_group_segment_fixed_size 17408
		.amdhsa_private_segment_fixed_size 0
		.amdhsa_kernarg_size 464
		.amdhsa_user_sgpr_count 2
		.amdhsa_user_sgpr_dispatch_ptr 0
		.amdhsa_user_sgpr_queue_ptr 0
		.amdhsa_user_sgpr_kernarg_segment_ptr 1
		.amdhsa_user_sgpr_dispatch_id 0
		.amdhsa_user_sgpr_private_segment_size 0
		.amdhsa_wavefront_size32 1
		.amdhsa_uses_dynamic_stack 0
		.amdhsa_enable_private_segment 0
		.amdhsa_system_sgpr_workgroup_id_x 1
		.amdhsa_system_sgpr_workgroup_id_y 1
		.amdhsa_system_sgpr_workgroup_id_z 1
		.amdhsa_system_sgpr_workgroup_info 0
		.amdhsa_system_vgpr_workitem_id 1
		.amdhsa_next_free_vgpr 193
		.amdhsa_next_free_sgpr 50
		.amdhsa_reserve_vcc 1
		.amdhsa_float_round_mode_32 0
		.amdhsa_float_round_mode_16_64 0
		.amdhsa_float_denorm_mode_32 3
		.amdhsa_float_denorm_mode_16_64 3
		.amdhsa_fp16_overflow 0
		.amdhsa_workgroup_processor_mode 1
		.amdhsa_memory_ordered 1
		.amdhsa_forward_progress 1
		.amdhsa_inst_pref_size 210
		.amdhsa_round_robin_scheduling 0
		.amdhsa_exception_fp_ieee_invalid_op 0
		.amdhsa_exception_fp_denorm_src 0
		.amdhsa_exception_fp_ieee_div_zero 0
		.amdhsa_exception_fp_ieee_overflow 0
		.amdhsa_exception_fp_ieee_underflow 0
		.amdhsa_exception_fp_ieee_inexact 0
		.amdhsa_exception_int_div_zero 0
	.end_amdhsa_kernel
	.section	.text._ZL15flash_attn_tileILi64ELi64ELi8ELi4ELb0EEvPKcS1_S1_S1_S1_PKiPfP15HIP_vector_typeIfLj2EEffffjfiS5_IjLj3EEiiiiiiiiiiiliiliiiiil,"axG",@progbits,_ZL15flash_attn_tileILi64ELi64ELi8ELi4ELb0EEvPKcS1_S1_S1_S1_PKiPfP15HIP_vector_typeIfLj2EEffffjfiS5_IjLj3EEiiiiiiiiiiiliiliiiiil,comdat
.Lfunc_end21:
	.size	_ZL15flash_attn_tileILi64ELi64ELi8ELi4ELb0EEvPKcS1_S1_S1_S1_PKiPfP15HIP_vector_typeIfLj2EEffffjfiS5_IjLj3EEiiiiiiiiiiiliiliiiiil, .Lfunc_end21-_ZL15flash_attn_tileILi64ELi64ELi8ELi4ELb0EEvPKcS1_S1_S1_S1_PKiPfP15HIP_vector_typeIfLj2EEffffjfiS5_IjLj3EEiiiiiiiiiiiliiliiiiil
                                        ; -- End function
	.set _ZL15flash_attn_tileILi64ELi64ELi8ELi4ELb0EEvPKcS1_S1_S1_S1_PKiPfP15HIP_vector_typeIfLj2EEffffjfiS5_IjLj3EEiiiiiiiiiiiliiliiiiil.num_vgpr, 137
	.set _ZL15flash_attn_tileILi64ELi64ELi8ELi4ELb0EEvPKcS1_S1_S1_S1_PKiPfP15HIP_vector_typeIfLj2EEffffjfiS5_IjLj3EEiiiiiiiiiiiliiliiiiil.num_agpr, 0
	.set _ZL15flash_attn_tileILi64ELi64ELi8ELi4ELb0EEvPKcS1_S1_S1_S1_PKiPfP15HIP_vector_typeIfLj2EEffffjfiS5_IjLj3EEiiiiiiiiiiiliiliiiiil.numbered_sgpr, 50
	.set _ZL15flash_attn_tileILi64ELi64ELi8ELi4ELb0EEvPKcS1_S1_S1_S1_PKiPfP15HIP_vector_typeIfLj2EEffffjfiS5_IjLj3EEiiiiiiiiiiiliiliiiiil.num_named_barrier, 0
	.set _ZL15flash_attn_tileILi64ELi64ELi8ELi4ELb0EEvPKcS1_S1_S1_S1_PKiPfP15HIP_vector_typeIfLj2EEffffjfiS5_IjLj3EEiiiiiiiiiiiliiliiiiil.private_seg_size, 0
	.set _ZL15flash_attn_tileILi64ELi64ELi8ELi4ELb0EEvPKcS1_S1_S1_S1_PKiPfP15HIP_vector_typeIfLj2EEffffjfiS5_IjLj3EEiiiiiiiiiiiliiliiiiil.uses_vcc, 1
	.set _ZL15flash_attn_tileILi64ELi64ELi8ELi4ELb0EEvPKcS1_S1_S1_S1_PKiPfP15HIP_vector_typeIfLj2EEffffjfiS5_IjLj3EEiiiiiiiiiiiliiliiiiil.uses_flat_scratch, 0
	.set _ZL15flash_attn_tileILi64ELi64ELi8ELi4ELb0EEvPKcS1_S1_S1_S1_PKiPfP15HIP_vector_typeIfLj2EEffffjfiS5_IjLj3EEiiiiiiiiiiiliiliiiiil.has_dyn_sized_stack, 0
	.set _ZL15flash_attn_tileILi64ELi64ELi8ELi4ELb0EEvPKcS1_S1_S1_S1_PKiPfP15HIP_vector_typeIfLj2EEffffjfiS5_IjLj3EEiiiiiiiiiiiliiliiiiil.has_recursion, 0
	.set _ZL15flash_attn_tileILi64ELi64ELi8ELi4ELb0EEvPKcS1_S1_S1_S1_PKiPfP15HIP_vector_typeIfLj2EEffffjfiS5_IjLj3EEiiiiiiiiiiiliiliiiiil.has_indirect_call, 0
	.section	.AMDGPU.csdata,"",@progbits
; Kernel info:
; codeLenInByte = 26844
; TotalNumSgprs: 52
; NumVgprs: 137
; ScratchSize: 0
; MemoryBound: 0
; FloatMode: 240
; IeeeMode: 1
; LDSByteSize: 17408 bytes/workgroup (compile time only)
; SGPRBlocks: 0
; VGPRBlocks: 24
; NumSGPRsForWavesPerEU: 52
; NumVGPRsForWavesPerEU: 193
; Occupancy: 7
; WaveLimiterHint : 1
; COMPUTE_PGM_RSRC2:SCRATCH_EN: 0
; COMPUTE_PGM_RSRC2:USER_SGPR: 2
; COMPUTE_PGM_RSRC2:TRAP_HANDLER: 0
; COMPUTE_PGM_RSRC2:TGID_X_EN: 1
; COMPUTE_PGM_RSRC2:TGID_Y_EN: 1
; COMPUTE_PGM_RSRC2:TGID_Z_EN: 1
; COMPUTE_PGM_RSRC2:TIDIG_COMP_CNT: 1
	.section	.text._ZL33flash_attn_stream_k_fixup_uniformILi64ELi8ELi4EEvPfPK15HIP_vector_typeIfLj2EEiiiiiiS1_IjLj3EES5_S5_,"axG",@progbits,_ZL33flash_attn_stream_k_fixup_uniformILi64ELi8ELi4EEvPfPK15HIP_vector_typeIfLj2EEiiiiiiS1_IjLj3EES5_S5_,comdat
	.globl	_ZL33flash_attn_stream_k_fixup_uniformILi64ELi8ELi4EEvPfPK15HIP_vector_typeIfLj2EEiiiiiiS1_IjLj3EES5_S5_ ; -- Begin function _ZL33flash_attn_stream_k_fixup_uniformILi64ELi8ELi4EEvPfPK15HIP_vector_typeIfLj2EEiiiiiiS1_IjLj3EES5_S5_
	.p2align	8
	.type	_ZL33flash_attn_stream_k_fixup_uniformILi64ELi8ELi4EEvPfPK15HIP_vector_typeIfLj2EEiiiiiiS1_IjLj3EES5_S5_,@function
_ZL33flash_attn_stream_k_fixup_uniformILi64ELi8ELi4EEvPfPK15HIP_vector_typeIfLj2EEiiiiiiS1_IjLj3EES5_S5_: ; @_ZL33flash_attn_stream_k_fixup_uniformILi64ELi8ELi4EEvPfPK15HIP_vector_typeIfLj2EEiiiiiiS1_IjLj3EES5_S5_
; %bb.0:
	s_clause 0x1
	s_load_b256 s[4:11], s[0:1], 0x1c
	s_load_b128 s[12:15], s[0:1], 0x3c
	s_wait_kmcnt 0x0
	s_mul_hi_u32 s2, s7, ttmp9
	s_delay_alu instid0(SALU_CYCLE_1) | instskip(NEXT) | instid1(SALU_CYCLE_1)
	s_add_co_i32 s2, ttmp9, s2
	s_lshr_b32 s2, s2, s8
	s_delay_alu instid0(SALU_CYCLE_1) | instskip(SKIP_2) | instid1(SALU_CYCLE_1)
	s_mul_i32 s3, s2, s9
	s_load_b64 s[8:9], s[0:1], 0x10
	s_sub_co_i32 s7, ttmp9, s3
	s_mul_hi_u32 s3, s7, s10
	s_delay_alu instid0(SALU_CYCLE_1) | instskip(NEXT) | instid1(SALU_CYCLE_1)
	s_add_co_i32 s3, s7, s3
	s_lshr_b32 s3, s3, s11
	s_delay_alu instid0(SALU_CYCLE_1) | instskip(NEXT) | instid1(SALU_CYCLE_1)
	s_mul_i32 s10, s3, s12
	s_sub_co_i32 s7, s7, s10
	s_delay_alu instid0(SALU_CYCLE_1) | instskip(NEXT) | instid1(SALU_CYCLE_1)
	s_mul_hi_u32 s10, s7, s13
	s_add_co_i32 s10, s7, s10
	s_delay_alu instid0(SALU_CYCLE_1) | instskip(NEXT) | instid1(SALU_CYCLE_1)
	s_lshr_b32 s12, s10, s14
	s_mul_i32 s10, s12, s15
	s_lshl_b32 s12, s12, 2
	s_sub_co_i32 s11, s7, s10
	s_and_b32 s7, ttmp7, 0xffff
	s_lshl_b32 s13, s11, 3
	s_lshr_b32 s10, ttmp7, 16
	s_add_co_i32 s13, s13, s7
	s_wait_kmcnt 0x0
	s_cmp_lt_i32 s13, s8
	s_cselect_b32 s13, -1, 0
	s_add_co_i32 s14, s12, s10
	s_delay_alu instid0(SALU_CYCLE_1) | instskip(SKIP_1) | instid1(SALU_CYCLE_1)
	s_cmp_lt_i32 s14, s5
	s_cselect_b32 s14, -1, 0
	s_and_b32 s13, s13, s14
	s_delay_alu instid0(SALU_CYCLE_1)
	s_and_not1_b32 vcc_lo, exec_lo, s13
	s_cbranch_vccnz .LBB22_6
; %bb.1:
	s_mul_i32 s2, s2, s8
	s_mul_i32 s5, s3, s5
	s_add_co_i32 s2, s2, s7
	s_delay_alu instid0(SALU_CYCLE_1) | instskip(NEXT) | instid1(SALU_CYCLE_1)
	s_mul_i32 s2, s2, s9
	s_add_co_i32 s8, s2, s10
	s_load_b128 s[0:3], s[0:1], 0x0
	s_add_co_i32 s5, s8, s5
	s_mul_i32 s8, s9, s11
	s_add_co_i32 s5, s5, s12
	s_lshl_b32 s8, s8, 9
	s_lshl_b32 s5, s5, 6
	s_delay_alu instid0(SALU_CYCLE_1)
	s_add_co_i32 s8, s8, s5
	s_lshl_b32 s5, s7, 2
	v_or_b32_e32 v1, s8, v0
	s_mul_i32 s8, s6, ttmp9
	s_wait_alu 0xfffe
	s_add_co_i32 s9, s8, s6
	s_wait_alu 0xfffe
	s_add_co_i32 s12, s9, -2
	v_ashrrev_i32_e32 v2, 31, v1
	s_delay_alu instid0(VALU_DEP_1) | instskip(SKIP_1) | instid1(VALU_DEP_1)
	v_lshlrev_b64_e32 v[1:2], 2, v[1:2]
	s_wait_kmcnt 0x0
	v_add_co_u32 v1, vcc_lo, s0, v1
	s_delay_alu instid0(VALU_DEP_1)
	v_add_co_ci_u32_e64 v2, null, s1, v2, vcc_lo
	s_add_co_i32 s0, s5, s10
	s_lshl_b32 s1, s9, 5
	global_load_b32 v5, v[1:2], off
	s_wait_alu 0xfffe
	s_add_co_i32 s0, s0, s1
	s_wait_alu 0xfffe
	s_sub_co_i32 s0, s0, 32
	s_wait_alu 0xfffe
	s_ashr_i32 s1, s0, 31
	s_wait_alu 0xfffe
	s_lshl_b64 s[0:1], s[0:1], 3
	s_cmp_lt_i32 s12, s8
	s_wait_alu 0xfffe
	s_add_nc_u64 s[0:1], s[2:3], s[0:1]
	s_load_b32 s11, s[0:1], 0x4
	s_cbranch_scc1 .LBB22_4
; %bb.2:
	s_load_b32 s0, s[0:1], 0x0
	s_add_co_i32 s13, ttmp9, 1
	s_lshl_b32 s12, s4, 7
	s_mul_i32 s1, s6, s13
	s_lshl_b32 s6, s7, 8
	s_lshl_b32 s7, s10, 6
	s_wait_alu 0xfffe
	s_lshl_b32 s14, s1, 11
	s_add_co_i32 s6, s7, s6
	s_lshl_b32 s1, s1, 5
	s_add_co_i32 s14, s6, s14
	s_wait_alu 0xfffe
	s_add_co_i32 s1, s10, s1
	v_or_b32_e32 v0, s14, v0
	s_lshl_b32 s4, s4, 5
	s_ashr_i32 s13, s12, 31
	s_wait_alu 0xfffe
	s_add_co_i32 s1, s1, s4
	s_wait_kmcnt 0x0
	v_dual_mov_b32 v6, s11 :: v_dual_add_nc_u32 v3, 0xfffff000, v0
	s_lshl_b64 s[6:7], s[12:13], 2
	s_wait_alu 0xfffe
	s_add_co_i32 s4, s1, s5
	s_add_nc_u64 s[6:7], s[2:3], s[6:7]
	s_add_co_i32 s1, s9, -1
	s_sub_co_i32 s4, s4, 64
.LBB22_3:                               ; =>This Inner Loop Header: Depth=1
	v_ashrrev_i32_e32 v4, 31, v3
	s_ashr_i32 s5, s4, 31
	v_mov_b32_e32 v10, v6
	s_lshl_b64 s[10:11], s[4:5], 3
	s_wait_loadcnt 0x0
	v_mov_b32_e32 v9, v5
	v_lshlrev_b64_e32 v[7:8], 2, v[3:4]
	s_wait_alu 0xfffe
	s_add_nc_u64 s[10:11], s[2:3], s[10:11]
	v_max_num_f32_e64 v4, s0, s0
	s_load_b64 s[10:11], s[10:11], 0x0
	v_add_nc_u32_e32 v3, 0xfffff800, v3
	v_add_co_u32 v7, vcc_lo, s6, v7
	s_wait_alu 0xfffd
	v_add_co_ci_u32_e64 v8, null, s7, v8, vcc_lo
	v_readfirstlane_b32 s5, v4
	global_load_b32 v0, v[7:8], off
	s_wait_kmcnt 0x0
	v_max_num_f32_e64 v4, s10, s10
	s_delay_alu instid0(VALU_DEP_1) | instskip(SKIP_1) | instid1(SALU_CYCLE_3)
	v_readfirstlane_b32 s9, v4
	s_max_num_f32 s5, s5, s9
	s_sub_f32 s0, s0, s5
	s_sub_f32 s9, s10, s5
	s_wait_alu 0xfffe
	s_delay_alu instid0(SALU_CYCLE_1) | instskip(NEXT) | instid1(SALU_CYCLE_1)
	s_mul_f32 s10, s0, 0x3fb8aa3b
	s_mul_f32 s12, s9, 0x3fb8aa3b
	s_wait_alu 0xfffe
	s_delay_alu instid0(SALU_CYCLE_1)
	s_xor_b32 s13, s10, 0x80000000
	s_rndne_f32 s14, s10
	s_fmamk_f32 s13, s0, 0x3fb8aa3b, s13
	s_cmp_nlt_f32 s0, 0xc2ce8ed0
	s_rndne_f32 s15, s12
	s_wait_alu 0xfffe
	s_sub_f32 s10, s10, s14
	s_fmamk_f32 s13, s0, 0x32a5705f, s13
	s_cvt_i32_f32 s14, s14
	s_cselect_b32 vcc_lo, -1, 0
	s_cmp_ngt_f32 s0, 0x42b17218
	s_wait_alu 0xfffe
	s_add_f32 s10, s10, s13
	s_sub_f32 s13, s12, s15
	s_wait_alu 0xfffe
	s_delay_alu instid0(SALU_CYCLE_1) | instskip(SKIP_1) | instid1(TRANS32_DEP_1)
	v_s_exp_f32 s10, s10
	s_wait_alu 0xf1ff
	v_ldexp_f32 v4, s10, s14
	s_cvt_i32_f32 s10, s15
	s_delay_alu instid0(VALU_DEP_1) | instskip(SKIP_3) | instid1(VALU_DEP_1)
	v_cndmask_b32_e32 v4, 0, v4, vcc_lo
	s_cselect_b32 vcc_lo, -1, 0
	s_cmp_ge_f32 s0, 0xc1a00000
	s_wait_alu 0xfffe
	v_cndmask_b32_e32 v4, 0x7f800000, v4, vcc_lo
	s_cselect_b32 vcc_lo, -1, 0
	s_xor_b32 s0, s12, 0x80000000
	s_cmp_nlt_f32 s9, 0xc2ce8ed0
	s_wait_alu 0xfffe
	s_fmamk_f32 s0, s9, 0x3fb8aa3b, s0
	s_wait_alu 0xfffe
	s_delay_alu instid0(SALU_CYCLE_2) | instskip(SKIP_1) | instid1(SALU_CYCLE_2)
	s_fmamk_f32 s0, s9, 0x32a5705f, s0
	s_wait_alu 0xfffe
	s_add_f32 s0, s13, s0
	s_wait_alu 0xfffe
	s_delay_alu instid0(SALU_CYCLE_2) | instskip(SKIP_1) | instid1(TRANS32_DEP_1)
	v_s_exp_f32 s0, s0
	s_wait_alu 0xf1ff
	v_ldexp_f32 v7, s0, s10
	s_cselect_b32 s0, -1, 0
	s_cmp_ngt_f32 s9, 0x42b17218
	s_wait_alu 0xfffe
	s_delay_alu instid0(VALU_DEP_1) | instskip(SKIP_3) | instid1(VALU_DEP_1)
	v_cndmask_b32_e64 v7, 0, v7, s0
	s_cselect_b32 s0, -1, 0
	s_cmp_ge_f32 s9, 0xc1a00000
	s_wait_alu 0xfffe
	v_cndmask_b32_e64 v7, 0x7f800000, v7, s0
	s_cselect_b32 s0, -1, 0
	s_add_co_i32 s1, s1, -1
	s_sub_co_i32 s4, s4, 32
	s_wait_alu 0xfffe
	s_cmp_le_i32 s1, s8
	v_cndmask_b32_e64 v7, 0, v7, s0
	s_mov_b32 s0, s5
	s_wait_loadcnt 0x0
	s_delay_alu instid0(VALU_DEP_1) | instskip(NEXT) | instid1(VALU_DEP_1)
	v_dual_mul_f32 v5, v0, v7 :: v_dual_cndmask_b32 v4, 0, v4
	v_dual_mul_f32 v8, s11, v7 :: v_dual_fmac_f32 v5, v9, v4
	s_delay_alu instid0(VALU_DEP_1) | instskip(NEXT) | instid1(VALU_DEP_1)
	v_mov_b32_e32 v6, v8
	v_fmac_f32_e32 v6, v10, v4
	s_cbranch_scc0 .LBB22_3
	s_branch .LBB22_5
.LBB22_4:
	s_wait_kmcnt 0x0
	v_mov_b32_e32 v6, s11
.LBB22_5:
	s_wait_loadcnt 0x0
	s_delay_alu instid0(VALU_DEP_1) | instskip(NEXT) | instid1(VALU_DEP_1)
	v_div_scale_f32 v0, null, v6, v6, v5
	v_rcp_f32_e32 v3, v0
	s_delay_alu instid0(TRANS32_DEP_1) | instskip(NEXT) | instid1(VALU_DEP_1)
	v_fma_f32 v4, -v0, v3, 1.0
	v_fmac_f32_e32 v3, v4, v3
	v_div_scale_f32 v4, vcc_lo, v5, v6, v5
	s_delay_alu instid0(VALU_DEP_1) | instskip(NEXT) | instid1(VALU_DEP_1)
	v_mul_f32_e32 v7, v4, v3
	v_fma_f32 v8, -v0, v7, v4
	s_delay_alu instid0(VALU_DEP_1) | instskip(NEXT) | instid1(VALU_DEP_1)
	v_fmac_f32_e32 v7, v8, v3
	v_fma_f32 v0, -v0, v7, v4
	s_wait_alu 0xfffd
	s_delay_alu instid0(VALU_DEP_1) | instskip(NEXT) | instid1(VALU_DEP_1)
	v_div_fmas_f32 v0, v0, v3, v7
	v_div_fixup_f32 v0, v0, v6, v5
	global_store_b32 v[1:2], v0, off
.LBB22_6:
	s_endpgm
	.section	.rodata,"a",@progbits
	.p2align	6, 0x0
	.amdhsa_kernel _ZL33flash_attn_stream_k_fixup_uniformILi64ELi8ELi4EEvPfPK15HIP_vector_typeIfLj2EEiiiiiiS1_IjLj3EES5_S5_
		.amdhsa_group_segment_fixed_size 0
		.amdhsa_private_segment_fixed_size 0
		.amdhsa_kernarg_size 76
		.amdhsa_user_sgpr_count 2
		.amdhsa_user_sgpr_dispatch_ptr 0
		.amdhsa_user_sgpr_queue_ptr 0
		.amdhsa_user_sgpr_kernarg_segment_ptr 1
		.amdhsa_user_sgpr_dispatch_id 0
		.amdhsa_user_sgpr_private_segment_size 0
		.amdhsa_wavefront_size32 1
		.amdhsa_uses_dynamic_stack 0
		.amdhsa_enable_private_segment 0
		.amdhsa_system_sgpr_workgroup_id_x 1
		.amdhsa_system_sgpr_workgroup_id_y 1
		.amdhsa_system_sgpr_workgroup_id_z 1
		.amdhsa_system_sgpr_workgroup_info 0
		.amdhsa_system_vgpr_workitem_id 0
		.amdhsa_next_free_vgpr 11
		.amdhsa_next_free_sgpr 16
		.amdhsa_reserve_vcc 1
		.amdhsa_float_round_mode_32 0
		.amdhsa_float_round_mode_16_64 0
		.amdhsa_float_denorm_mode_32 3
		.amdhsa_float_denorm_mode_16_64 3
		.amdhsa_fp16_overflow 0
		.amdhsa_workgroup_processor_mode 1
		.amdhsa_memory_ordered 1
		.amdhsa_forward_progress 1
		.amdhsa_inst_pref_size 9
		.amdhsa_round_robin_scheduling 0
		.amdhsa_exception_fp_ieee_invalid_op 0
		.amdhsa_exception_fp_denorm_src 0
		.amdhsa_exception_fp_ieee_div_zero 0
		.amdhsa_exception_fp_ieee_overflow 0
		.amdhsa_exception_fp_ieee_underflow 0
		.amdhsa_exception_fp_ieee_inexact 0
		.amdhsa_exception_int_div_zero 0
	.end_amdhsa_kernel
	.section	.text._ZL33flash_attn_stream_k_fixup_uniformILi64ELi8ELi4EEvPfPK15HIP_vector_typeIfLj2EEiiiiiiS1_IjLj3EES5_S5_,"axG",@progbits,_ZL33flash_attn_stream_k_fixup_uniformILi64ELi8ELi4EEvPfPK15HIP_vector_typeIfLj2EEiiiiiiS1_IjLj3EES5_S5_,comdat
.Lfunc_end22:
	.size	_ZL33flash_attn_stream_k_fixup_uniformILi64ELi8ELi4EEvPfPK15HIP_vector_typeIfLj2EEiiiiiiS1_IjLj3EES5_S5_, .Lfunc_end22-_ZL33flash_attn_stream_k_fixup_uniformILi64ELi8ELi4EEvPfPK15HIP_vector_typeIfLj2EEiiiiiiS1_IjLj3EES5_S5_
                                        ; -- End function
	.set _ZL33flash_attn_stream_k_fixup_uniformILi64ELi8ELi4EEvPfPK15HIP_vector_typeIfLj2EEiiiiiiS1_IjLj3EES5_S5_.num_vgpr, 11
	.set _ZL33flash_attn_stream_k_fixup_uniformILi64ELi8ELi4EEvPfPK15HIP_vector_typeIfLj2EEiiiiiiS1_IjLj3EES5_S5_.num_agpr, 0
	.set _ZL33flash_attn_stream_k_fixup_uniformILi64ELi8ELi4EEvPfPK15HIP_vector_typeIfLj2EEiiiiiiS1_IjLj3EES5_S5_.numbered_sgpr, 16
	.set _ZL33flash_attn_stream_k_fixup_uniformILi64ELi8ELi4EEvPfPK15HIP_vector_typeIfLj2EEiiiiiiS1_IjLj3EES5_S5_.num_named_barrier, 0
	.set _ZL33flash_attn_stream_k_fixup_uniformILi64ELi8ELi4EEvPfPK15HIP_vector_typeIfLj2EEiiiiiiS1_IjLj3EES5_S5_.private_seg_size, 0
	.set _ZL33flash_attn_stream_k_fixup_uniformILi64ELi8ELi4EEvPfPK15HIP_vector_typeIfLj2EEiiiiiiS1_IjLj3EES5_S5_.uses_vcc, 1
	.set _ZL33flash_attn_stream_k_fixup_uniformILi64ELi8ELi4EEvPfPK15HIP_vector_typeIfLj2EEiiiiiiS1_IjLj3EES5_S5_.uses_flat_scratch, 0
	.set _ZL33flash_attn_stream_k_fixup_uniformILi64ELi8ELi4EEvPfPK15HIP_vector_typeIfLj2EEiiiiiiS1_IjLj3EES5_S5_.has_dyn_sized_stack, 0
	.set _ZL33flash_attn_stream_k_fixup_uniformILi64ELi8ELi4EEvPfPK15HIP_vector_typeIfLj2EEiiiiiiS1_IjLj3EES5_S5_.has_recursion, 0
	.set _ZL33flash_attn_stream_k_fixup_uniformILi64ELi8ELi4EEvPfPK15HIP_vector_typeIfLj2EEiiiiiiS1_IjLj3EES5_S5_.has_indirect_call, 0
	.section	.AMDGPU.csdata,"",@progbits
; Kernel info:
; codeLenInByte = 1140
; TotalNumSgprs: 18
; NumVgprs: 11
; ScratchSize: 0
; MemoryBound: 0
; FloatMode: 240
; IeeeMode: 1
; LDSByteSize: 0 bytes/workgroup (compile time only)
; SGPRBlocks: 0
; VGPRBlocks: 1
; NumSGPRsForWavesPerEU: 18
; NumVGPRsForWavesPerEU: 11
; Occupancy: 16
; WaveLimiterHint : 0
; COMPUTE_PGM_RSRC2:SCRATCH_EN: 0
; COMPUTE_PGM_RSRC2:USER_SGPR: 2
; COMPUTE_PGM_RSRC2:TRAP_HANDLER: 0
; COMPUTE_PGM_RSRC2:TGID_X_EN: 1
; COMPUTE_PGM_RSRC2:TGID_Y_EN: 1
; COMPUTE_PGM_RSRC2:TGID_Z_EN: 1
; COMPUTE_PGM_RSRC2:TIDIG_COMP_CNT: 0
	.section	.text._ZL33flash_attn_stream_k_fixup_generalILi64ELi8ELi4EEvPfPK15HIP_vector_typeIfLj2EEiiiiS1_IjLj3EES5_S5_S5_,"axG",@progbits,_ZL33flash_attn_stream_k_fixup_generalILi64ELi8ELi4EEvPfPK15HIP_vector_typeIfLj2EEiiiiS1_IjLj3EES5_S5_S5_,comdat
	.globl	_ZL33flash_attn_stream_k_fixup_generalILi64ELi8ELi4EEvPfPK15HIP_vector_typeIfLj2EEiiiiS1_IjLj3EES5_S5_S5_ ; -- Begin function _ZL33flash_attn_stream_k_fixup_generalILi64ELi8ELi4EEvPfPK15HIP_vector_typeIfLj2EEiiiiS1_IjLj3EES5_S5_S5_
	.p2align	8
	.type	_ZL33flash_attn_stream_k_fixup_generalILi64ELi8ELi4EEvPfPK15HIP_vector_typeIfLj2EEiiiiS1_IjLj3EES5_S5_S5_,@function
_ZL33flash_attn_stream_k_fixup_generalILi64ELi8ELi4EEvPfPK15HIP_vector_typeIfLj2EEiiiiS1_IjLj3EES5_S5_S5_: ; @_ZL33flash_attn_stream_k_fixup_generalILi64ELi8ELi4EEvPfPK15HIP_vector_typeIfLj2EEiiiiS1_IjLj3EES5_S5_S5_
; %bb.0:
	s_clause 0x1
	s_load_b128 s[4:7], s[0:1], 0x10
	s_load_b32 s16, s[0:1], 0x50
	s_mov_b32 s2, ttmp9
	s_ashr_i32 s3, ttmp9, 31
	s_mov_b32 s17, 0
	s_delay_alu instid0(SALU_CYCLE_1) | instskip(SKIP_3) | instid1(SALU_CYCLE_1)
	s_mov_b32 s8, s17
	s_wait_kmcnt 0x0
	s_ashr_i32 s19, s7, 31
	s_mov_b32 s18, s7
	s_mul_u64 s[2:3], s[18:19], s[2:3]
	s_delay_alu instid0(SALU_CYCLE_1) | instskip(NEXT) | instid1(SALU_CYCLE_1)
	s_mov_b32 s9, s3
	s_cmp_lg_u64 s[8:9], 0
	s_cbranch_scc0 .LBB23_21
; %bb.1:
	s_add_nc_u64 s[8:9], s[16:17], 0
	s_mov_b32 s15, s17
	s_xor_b64 s[8:9], s[8:9], 0
	s_mov_b32 s23, s17
	s_cvt_f32_u32 s7, s8
	s_cvt_f32_u32 s10, s9
	s_sub_nc_u64 s[12:13], 0, s[8:9]
	s_delay_alu instid0(SALU_CYCLE_2) | instskip(NEXT) | instid1(SALU_CYCLE_3)
	s_fmamk_f32 s7, s10, 0x4f800000, s7
	v_s_rcp_f32 s7, s7
	s_delay_alu instid0(TRANS32_DEP_1) | instskip(SKIP_1) | instid1(SALU_CYCLE_2)
	s_mul_f32 s7, s7, 0x5f7ffffc
	s_wait_alu 0xfffe
	s_mul_f32 s10, s7, 0x2f800000
	s_delay_alu instid0(SALU_CYCLE_3) | instskip(NEXT) | instid1(SALU_CYCLE_3)
	s_trunc_f32 s10, s10
	s_fmamk_f32 s7, s10, 0xcf800000, s7
	s_cvt_u32_f32 s11, s10
	s_wait_alu 0xfffe
	s_delay_alu instid0(SALU_CYCLE_1) | instskip(NEXT) | instid1(SALU_CYCLE_3)
	s_cvt_u32_f32 s10, s7
	s_mul_u64 s[20:21], s[12:13], s[10:11]
	s_delay_alu instid0(SALU_CYCLE_1)
	s_mul_hi_u32 s25, s10, s21
	s_mul_i32 s24, s10, s21
	s_mul_hi_u32 s14, s10, s20
	s_mul_i32 s22, s11, s20
	s_add_nc_u64 s[14:15], s[14:15], s[24:25]
	s_mul_hi_u32 s7, s11, s20
	s_mul_hi_u32 s26, s11, s21
	s_add_co_u32 s14, s14, s22
	s_wait_alu 0xfffe
	s_add_co_ci_u32 s22, s15, s7
	s_mul_i32 s20, s11, s21
	s_add_co_ci_u32 s21, s26, 0
	s_delay_alu instid0(SALU_CYCLE_1)
	s_add_nc_u64 s[14:15], s[22:23], s[20:21]
	s_mov_b32 s21, s17
	s_add_co_u32 s10, s10, s14
	s_cselect_b32 s7, -1, 0
	s_wait_alu 0xfffe
	s_cmp_lg_u32 s7, 0
	s_add_co_ci_u32 s11, s11, s15
	s_mov_b32 s15, s17
	s_mul_u64 s[12:13], s[12:13], s[10:11]
	s_delay_alu instid0(SALU_CYCLE_1)
	s_mul_hi_u32 s23, s10, s13
	s_mul_i32 s22, s10, s13
	s_mul_hi_u32 s14, s10, s12
	s_mul_i32 s20, s11, s12
	s_add_nc_u64 s[14:15], s[14:15], s[22:23]
	s_mul_hi_u32 s7, s11, s12
	s_mul_hi_u32 s24, s11, s13
	s_mul_i32 s12, s11, s13
	s_add_co_u32 s13, s14, s20
	s_wait_alu 0xfffe
	s_add_co_ci_u32 s20, s15, s7
	s_add_co_ci_u32 s13, s24, 0
	s_mov_b32 s15, s17
	s_add_nc_u64 s[12:13], s[20:21], s[12:13]
	s_delay_alu instid0(SALU_CYCLE_1) | instskip(SKIP_1) | instid1(SALU_CYCLE_1)
	s_add_co_u32 s7, s10, s12
	s_cselect_b32 s10, -1, 0
	s_cmp_lg_u32 s10, 0
	s_add_co_ci_u32 s20, s11, s13
	s_ashr_i32 s10, s3, 31
	s_delay_alu instid0(SALU_CYCLE_1) | instskip(NEXT) | instid1(SALU_CYCLE_1)
	s_mov_b32 s11, s10
	s_add_nc_u64 s[12:13], s[2:3], s[10:11]
	s_delay_alu instid0(SALU_CYCLE_1) | instskip(NEXT) | instid1(SALU_CYCLE_1)
	s_xor_b64 s[12:13], s[12:13], s[10:11]
	s_mul_hi_u32 s23, s12, s20
	s_mul_i32 s22, s12, s20
	s_wait_alu 0xfffe
	s_mul_hi_u32 s14, s12, s7
	s_mul_hi_u32 s24, s13, s7
	s_mul_i32 s7, s13, s7
	s_add_nc_u64 s[14:15], s[14:15], s[22:23]
	s_mul_hi_u32 s3, s13, s20
	s_wait_alu 0xfffe
	s_add_co_u32 s7, s14, s7
	s_mul_i32 s22, s13, s20
	s_add_co_ci_u32 s20, s15, s24
	s_add_co_ci_u32 s23, s3, 0
	s_delay_alu instid0(SALU_CYCLE_1) | instskip(NEXT) | instid1(SALU_CYCLE_1)
	s_add_nc_u64 s[14:15], s[20:21], s[22:23]
	s_mul_u64 s[20:21], s[8:9], s[14:15]
	s_delay_alu instid0(SALU_CYCLE_1)
	s_sub_co_u32 s3, s12, s20
	s_cselect_b32 s7, -1, 0
	s_sub_co_i32 s12, s13, s21
	s_wait_alu 0xfffe
	s_cmp_lg_u32 s7, 0
	s_sub_co_ci_u32 s12, s12, s9
	s_sub_co_u32 s20, s3, s8
	s_cselect_b32 s22, -1, 0
	s_delay_alu instid0(SALU_CYCLE_1) | instskip(SKIP_2) | instid1(SALU_CYCLE_1)
	s_cmp_lg_u32 s22, 0
	s_add_nc_u64 s[22:23], s[14:15], 1
	s_sub_co_ci_u32 s12, s12, 0
	s_cmp_ge_u32 s12, s9
	s_cselect_b32 s24, -1, 0
	s_cmp_ge_u32 s20, s8
	s_cselect_b32 s20, -1, 0
	s_cmp_eq_u32 s12, s9
	s_cselect_b32 s12, s20, s24
	s_add_nc_u64 s[24:25], s[14:15], 2
	s_cmp_lg_u32 s12, 0
	s_cselect_b32 s12, s24, s22
	s_cselect_b32 s20, s25, s23
	s_cmp_lg_u32 s7, 0
	s_sub_co_ci_u32 s7, s13, s21
	s_wait_alu 0xfffe
	s_cmp_ge_u32 s7, s9
	s_cselect_b32 s13, -1, 0
	s_cmp_ge_u32 s3, s8
	s_cselect_b32 s3, -1, 0
	s_cmp_eq_u32 s7, s9
	s_cselect_b32 s3, s3, s13
	s_delay_alu instid0(SALU_CYCLE_1) | instskip(SKIP_4) | instid1(SALU_CYCLE_1)
	s_cmp_lg_u32 s3, 0
	s_mov_b32 s3, s17
	s_cselect_b32 s9, s20, s15
	s_cselect_b32 s8, s12, s14
	s_xor_b64 s[10:11], s[10:11], 0
	s_xor_b64 s[8:9], s[8:9], s[10:11]
	s_delay_alu instid0(SALU_CYCLE_1)
	s_sub_nc_u64 s[20:21], s[8:9], s[10:11]
	s_and_not1_b32 vcc_lo, exec_lo, s3
	s_cbranch_vccnz .LBB23_3
.LBB23_2:
	v_cvt_f32_u32_e32 v1, s16
	s_sub_co_i32 s7, 0, s16
	s_delay_alu instid0(VALU_DEP_1) | instskip(NEXT) | instid1(TRANS32_DEP_1)
	v_rcp_iflag_f32_e32 v1, v1
	v_mul_f32_e32 v1, 0x4f7ffffe, v1
	s_delay_alu instid0(VALU_DEP_1) | instskip(NEXT) | instid1(VALU_DEP_1)
	v_cvt_u32_f32_e32 v1, v1
	v_readfirstlane_b32 s3, v1
	s_wait_alu 0xfffe
	s_mul_i32 s7, s7, s3
	s_wait_alu 0xfffe
	s_mul_hi_u32 s7, s3, s7
	s_wait_alu 0xfffe
	s_add_co_i32 s3, s3, s7
	s_delay_alu instid0(SALU_CYCLE_1) | instskip(NEXT) | instid1(SALU_CYCLE_1)
	s_mul_hi_u32 s3, s2, s3
	s_mul_i32 s7, s3, s16
	s_wait_alu 0xfffe
	s_sub_co_i32 s2, s2, s7
	s_add_co_i32 s7, s3, 1
	s_sub_co_i32 s8, s2, s16
	s_cmp_ge_u32 s2, s16
	s_wait_alu 0xfffe
	s_cselect_b32 s3, s7, s3
	s_cselect_b32 s2, s8, s2
	s_add_co_i32 s7, s3, 1
	s_cmp_ge_u32 s2, s16
	s_wait_alu 0xfffe
	s_cselect_b32 s20, s7, s3
.LBB23_3:
	s_add_co_i32 s2, ttmp9, 1
	s_mov_b32 s8, 0
	s_ashr_i32 s3, s2, 31
	s_delay_alu instid0(SALU_CYCLE_1) | instskip(NEXT) | instid1(SALU_CYCLE_1)
	s_mul_u64 s[2:3], s[18:19], s[2:3]
	s_mov_b32 s9, s3
	s_delay_alu instid0(SALU_CYCLE_1)
	s_cmp_lg_u64 s[8:9], 0
	s_cbranch_scc0 .LBB23_22
; %bb.4:
	s_add_nc_u64 s[10:11], s[16:17], 0
	s_mov_b32 s23, s8
	s_xor_b64 s[10:11], s[10:11], 0
	s_mov_b32 s27, s8
	s_cvt_f32_u32 s7, s10
	s_cvt_f32_u32 s9, s11
	s_sub_nc_u64 s[14:15], 0, s[10:11]
	s_wait_alu 0xfffe
	s_delay_alu instid0(SALU_CYCLE_1) | instskip(SKIP_1) | instid1(SALU_CYCLE_2)
	s_fmamk_f32 s7, s9, 0x4f800000, s7
	s_wait_alu 0xfffe
	v_s_rcp_f32 s7, s7
	s_delay_alu instid0(TRANS32_DEP_1) | instskip(SKIP_1) | instid1(SALU_CYCLE_2)
	s_mul_f32 s7, s7, 0x5f7ffffc
	s_wait_alu 0xfffe
	s_mul_f32 s9, s7, 0x2f800000
	s_delay_alu instid0(SALU_CYCLE_3) | instskip(NEXT) | instid1(SALU_CYCLE_3)
	s_trunc_f32 s9, s9
	s_fmamk_f32 s7, s9, 0xcf800000, s7
	s_cvt_u32_f32 s13, s9
	s_wait_alu 0xfffe
	s_delay_alu instid0(SALU_CYCLE_1) | instskip(NEXT) | instid1(SALU_CYCLE_3)
	s_cvt_u32_f32 s12, s7
	s_mul_u64 s[24:25], s[14:15], s[12:13]
	s_delay_alu instid0(SALU_CYCLE_1)
	s_mul_hi_u32 s29, s12, s25
	s_mul_i32 s28, s12, s25
	s_mul_hi_u32 s22, s12, s24
	s_mul_i32 s9, s13, s24
	s_add_nc_u64 s[22:23], s[22:23], s[28:29]
	s_mul_hi_u32 s7, s13, s24
	s_mul_hi_u32 s21, s13, s25
	s_add_co_u32 s9, s22, s9
	s_wait_alu 0xfffe
	s_add_co_ci_u32 s26, s23, s7
	s_mul_i32 s24, s13, s25
	s_add_co_ci_u32 s25, s21, 0
	s_delay_alu instid0(SALU_CYCLE_1)
	s_add_nc_u64 s[22:23], s[26:27], s[24:25]
	s_mov_b32 s25, s8
	s_add_co_u32 s12, s12, s22
	s_cselect_b32 s7, -1, 0
	s_wait_alu 0xfffe
	s_cmp_lg_u32 s7, 0
	s_add_co_ci_u32 s13, s13, s23
	s_mov_b32 s23, s8
	s_mul_u64 s[14:15], s[14:15], s[12:13]
	s_delay_alu instid0(SALU_CYCLE_1)
	s_mul_hi_u32 s27, s12, s15
	s_mul_i32 s26, s12, s15
	s_mul_hi_u32 s22, s12, s14
	s_mul_i32 s9, s13, s14
	s_add_nc_u64 s[22:23], s[22:23], s[26:27]
	s_mul_hi_u32 s7, s13, s14
	s_mul_hi_u32 s21, s13, s15
	s_add_co_u32 s9, s22, s9
	s_wait_alu 0xfffe
	s_add_co_ci_u32 s24, s23, s7
	s_mul_i32 s14, s13, s15
	s_add_co_ci_u32 s15, s21, 0
	s_mov_b32 s23, s8
	s_add_nc_u64 s[14:15], s[24:25], s[14:15]
	s_delay_alu instid0(SALU_CYCLE_1) | instskip(SKIP_1) | instid1(SALU_CYCLE_1)
	s_add_co_u32 s7, s12, s14
	s_cselect_b32 s9, -1, 0
	s_cmp_lg_u32 s9, 0
	s_add_co_ci_u32 s9, s13, s15
	s_ashr_i32 s12, s3, 31
	s_delay_alu instid0(SALU_CYCLE_1) | instskip(NEXT) | instid1(SALU_CYCLE_1)
	s_mov_b32 s13, s12
	s_add_nc_u64 s[14:15], s[2:3], s[12:13]
	s_delay_alu instid0(SALU_CYCLE_1) | instskip(NEXT) | instid1(SALU_CYCLE_1)
	s_xor_b64 s[14:15], s[14:15], s[12:13]
	s_mul_hi_u32 s27, s14, s9
	s_mul_i32 s26, s14, s9
	s_wait_alu 0xfffe
	s_mul_hi_u32 s22, s14, s7
	s_mul_hi_u32 s21, s15, s7
	s_mul_i32 s7, s15, s7
	s_add_nc_u64 s[22:23], s[22:23], s[26:27]
	s_mul_hi_u32 s3, s15, s9
	s_wait_alu 0xfffe
	s_add_co_u32 s7, s22, s7
	s_add_co_ci_u32 s24, s23, s21
	s_mul_i32 s26, s15, s9
	s_add_co_ci_u32 s27, s3, 0
	s_delay_alu instid0(SALU_CYCLE_1) | instskip(NEXT) | instid1(SALU_CYCLE_1)
	s_add_nc_u64 s[22:23], s[24:25], s[26:27]
	s_mul_u64 s[24:25], s[10:11], s[22:23]
	s_add_nc_u64 s[26:27], s[22:23], 1
	s_sub_co_u32 s3, s14, s24
	s_cselect_b32 s7, -1, 0
	s_sub_co_i32 s9, s15, s25
	s_wait_alu 0xfffe
	s_cmp_lg_u32 s7, 0
	s_add_nc_u64 s[28:29], s[22:23], 2
	s_sub_co_ci_u32 s9, s9, s11
	s_sub_co_u32 s14, s3, s10
	s_cselect_b32 s21, -1, 0
	s_delay_alu instid0(SALU_CYCLE_1) | instskip(SKIP_1) | instid1(SALU_CYCLE_1)
	s_cmp_lg_u32 s21, 0
	s_sub_co_ci_u32 s9, s9, 0
	s_cmp_ge_u32 s9, s11
	s_cselect_b32 s21, -1, 0
	s_cmp_ge_u32 s14, s10
	s_cselect_b32 s14, -1, 0
	s_cmp_eq_u32 s9, s11
	s_cselect_b32 s9, s14, s21
	s_delay_alu instid0(SALU_CYCLE_1)
	s_cmp_lg_u32 s9, 0
	s_cselect_b32 s9, s28, s26
	s_cselect_b32 s14, s29, s27
	s_cmp_lg_u32 s7, 0
	s_sub_co_ci_u32 s7, s15, s25
	s_wait_alu 0xfffe
	s_cmp_ge_u32 s7, s11
	s_cselect_b32 s15, -1, 0
	s_cmp_ge_u32 s3, s10
	s_cselect_b32 s3, -1, 0
	s_cmp_eq_u32 s7, s11
	s_cselect_b32 s3, s3, s15
	s_delay_alu instid0(SALU_CYCLE_1) | instskip(SKIP_3) | instid1(SALU_CYCLE_1)
	s_cmp_lg_u32 s3, 0
	s_cselect_b32 s11, s14, s23
	s_cselect_b32 s10, s9, s22
	s_xor_b64 s[12:13], s[12:13], 0
	s_xor_b64 s[10:11], s[10:11], s[12:13]
	s_delay_alu instid0(SALU_CYCLE_1)
	s_sub_nc_u64 s[10:11], s[10:11], s[12:13]
	s_load_b96 s[12:14], s[0:1], 0x44
	s_and_not1_b32 vcc_lo, exec_lo, s8
	s_cbranch_vccnz .LBB23_6
.LBB23_5:
	v_cvt_f32_u32_e32 v1, s16
	s_sub_co_i32 s7, 0, s16
	s_delay_alu instid0(VALU_DEP_1) | instskip(NEXT) | instid1(TRANS32_DEP_1)
	v_rcp_iflag_f32_e32 v1, v1
	v_mul_f32_e32 v1, 0x4f7ffffe, v1
	s_delay_alu instid0(VALU_DEP_1) | instskip(NEXT) | instid1(VALU_DEP_1)
	v_cvt_u32_f32_e32 v1, v1
	v_readfirstlane_b32 s3, v1
	s_wait_alu 0xfffe
	s_mul_i32 s7, s7, s3
	s_wait_alu 0xfffe
	s_mul_hi_u32 s7, s3, s7
	s_wait_alu 0xfffe
	s_add_co_i32 s3, s3, s7
	s_delay_alu instid0(SALU_CYCLE_1) | instskip(NEXT) | instid1(SALU_CYCLE_1)
	s_mul_hi_u32 s3, s2, s3
	s_mul_i32 s7, s3, s16
	s_wait_alu 0xfffe
	s_sub_co_i32 s2, s2, s7
	s_add_co_i32 s7, s3, 1
	s_sub_co_i32 s8, s2, s16
	s_cmp_ge_u32 s2, s16
	s_wait_alu 0xfffe
	s_cselect_b32 s3, s7, s3
	s_cselect_b32 s2, s8, s2
	s_add_co_i32 s7, s3, 1
	s_cmp_ge_u32 s2, s16
	s_wait_alu 0xfffe
	s_cselect_b32 s10, s7, s3
.LBB23_6:
	s_mov_b32 s21, 0
	s_wait_kmcnt 0x0
	s_mov_b32 s22, s12
	s_mov_b32 s23, s21
	s_cmp_eq_u32 s20, s10
	s_mul_u64 s[2:3], s[20:21], s[22:23]
	s_cselect_b32 s7, -1, 0
	s_add_co_i32 s2, s3, s20
	s_mov_b32 s11, s21
	s_lshr_b32 s12, s2, s13
	s_mul_u64 s[2:3], s[10:11], s[22:23]
	s_mul_i32 s2, s12, s14
	s_delay_alu instid0(SALU_CYCLE_1) | instskip(SKIP_2) | instid1(SALU_CYCLE_1)
	s_cmp_eq_u32 s2, s20
	s_cselect_b32 s2, -1, 0
	s_add_co_i32 s3, s3, s10
	s_lshr_b32 s3, s3, s13
	s_delay_alu instid0(SALU_CYCLE_1)
	s_cmp_eq_u32 s12, s3
	s_mul_i32 s3, s3, s14
	s_cselect_b32 s8, -1, 0
	s_cmp_lg_u32 s3, s10
	s_cselect_b32 s3, -1, 0
	s_wait_alu 0xfffe
	s_or_b32 s2, s7, s2
	s_and_b32 s3, s8, s3
	s_delay_alu instid0(SALU_CYCLE_1) | instskip(NEXT) | instid1(SALU_CYCLE_1)
	s_or_b32 s2, s2, s3
	s_and_b32 vcc_lo, exec_lo, s2
	s_cbranch_vccnz .LBB23_24
; %bb.7:
	s_load_b256 s[24:31], s[0:1], 0x20
	s_mov_b32 s3, s21
	s_wait_kmcnt 0x0
	s_mov_b32 s2, s24
	s_delay_alu instid0(SALU_CYCLE_1) | instskip(NEXT) | instid1(SALU_CYCLE_1)
	s_mul_u64 s[2:3], s[20:21], s[2:3]
	s_add_co_i32 s2, s3, s20
	s_delay_alu instid0(SALU_CYCLE_1) | instskip(SKIP_2) | instid1(SALU_CYCLE_1)
	s_lshr_b32 s7, s2, s25
	s_load_b32 s2, s[0:1], 0x40
	s_mul_i32 s3, s7, s26
	s_sub_co_i32 s3, s20, s3
	s_delay_alu instid0(SALU_CYCLE_1) | instskip(NEXT) | instid1(SALU_CYCLE_1)
	s_mul_hi_u32 s8, s3, s27
	s_add_co_i32 s8, s3, s8
	s_delay_alu instid0(SALU_CYCLE_1) | instskip(NEXT) | instid1(SALU_CYCLE_1)
	s_lshr_b32 s8, s8, s28
	s_mul_i32 s9, s8, s29
	s_delay_alu instid0(SALU_CYCLE_1) | instskip(NEXT) | instid1(SALU_CYCLE_1)
	s_sub_co_i32 s9, s3, s9
	s_mul_hi_u32 s3, s9, s30
	s_delay_alu instid0(SALU_CYCLE_1) | instskip(NEXT) | instid1(SALU_CYCLE_1)
	s_add_co_i32 s3, s9, s3
	s_lshr_b32 s24, s3, s31
	s_mov_b32 s3, s21
	s_wait_kmcnt 0x0
	s_mul_i32 s2, s24, s2
	s_lshl_b32 s21, s24, 2
	s_sub_co_i32 s2, s9, s2
	s_delay_alu instid0(SALU_CYCLE_1) | instskip(SKIP_2) | instid1(SALU_CYCLE_1)
	s_mul_u64 s[10:11], s[2:3], s[22:23]
	s_lshr_b32 s3, ttmp7, 16
	s_add_co_i32 s2, s2, s11
	s_lshr_b32 s15, s2, s13
	s_and_b32 s2, ttmp7, 0xffff
	s_lshl_b32 s9, s15, 3
	s_delay_alu instid0(SALU_CYCLE_1) | instskip(NEXT) | instid1(SALU_CYCLE_1)
	s_add_co_i32 s9, s9, s2
	s_cmp_lt_i32 s9, s4
	s_cselect_b32 s9, -1, 0
	s_add_co_i32 s10, s21, s3
	s_delay_alu instid0(SALU_CYCLE_1) | instskip(SKIP_1) | instid1(SALU_CYCLE_1)
	s_cmp_lt_i32 s10, s6
	s_cselect_b32 s10, -1, 0
	s_and_b32 s9, s9, s10
	s_delay_alu instid0(SALU_CYCLE_1)
	s_and_not1_b32 vcc_lo, exec_lo, s9
	s_cbranch_vccnz .LBB23_24
; %bb.8:
	s_mul_i32 s4, s7, s4
	s_mul_i32 s6, s8, s6
	s_add_co_i32 s4, s4, s2
	s_load_b128 s[8:11], s[0:1], 0x0
	s_mul_i32 s4, s4, s5
	s_mul_i32 s1, s5, s15
	s_add_co_i32 s4, s4, s3
	s_lshl_b32 s1, s1, 9
	s_add_co_i32 s0, s4, s6
	s_lshl_b32 s15, s2, 2
	s_add_co_i32 s0, s0, s21
	s_add_co_i32 s15, s15, s3
	s_lshl_b32 s0, s0, 6
	v_cvt_f32_u32_e32 v4, s16
	s_add_co_i32 s1, s1, s0
	s_add_co_i32 s34, ttmp9, -1
	v_or_b32_e32 v1, s1, v0
	s_add_nc_u64 s[0:1], s[16:17], 0
	v_rcp_iflag_f32_e32 v4, v4
	s_wait_alu 0xfffe
	s_xor_b64 s[6:7], s[0:1], 0
	s_lshl_b32 s0, ttmp9, 5
	v_ashrrev_i32_e32 v2, 31, v1
	s_wait_alu 0xfffe
	s_cvt_f32_u32 s1, s6
	s_cvt_f32_u32 s2, s7
	s_add_co_i32 s0, s15, s0
	v_lshl_or_b32 v0, s15, 6, v0
	v_lshlrev_b64_e32 v[1:2], 2, v[1:2]
	s_wait_alu 0xfffe
	s_fmamk_f32 s2, s2, 0x4f800000, s1
	s_ashr_i32 s1, s0, 31
	s_sub_nc_u64 s[30:31], 0, s[6:7]
	s_wait_alu 0xfffe
	s_lshl_b64 s[0:1], s[0:1], 3
	v_s_rcp_f32 s2, s2
	s_wait_kmcnt 0x0
	v_add_co_u32 v1, vcc_lo, s8, v1
	s_delay_alu instid0(VALU_DEP_1)
	v_add_co_ci_u32_e64 v2, null, s9, v2, vcc_lo
	s_wait_alu 0xfffe
	s_add_nc_u64 s[0:1], s[10:11], s[0:1]
	s_mov_b32 s8, 0
	s_load_b64 s[26:27], s[0:1], 0x0
	global_load_b32 v3, v[1:2], off
	s_mul_f32 s2, s2, 0x5f7ffffc
	v_mul_f32_e32 v4, 0x4f7ffffe, v4
	s_lshl_b32 s0, s16, 7
	s_wait_alu 0xfffe
	s_mul_f32 s1, s2, 0x2f800000
	s_wait_alu 0xfffe
	s_delay_alu instid0(SALU_CYCLE_2)
	s_trunc_f32 s3, s1
	s_mov_b32 s1, s8
	s_wait_alu 0xfffe
	s_lshl_b64 s[0:1], s[0:1], 2
	s_fmamk_f32 s2, s3, 0xcf800000, s2
	s_cvt_u32_f32 s29, s3
	s_wait_alu 0xfffe
	s_add_nc_u64 s[24:25], s[10:11], s[0:1]
	s_cvt_u32_f32 s28, s2
	s_wait_kmcnt 0x0
	v_mov_b32_e32 v5, s27
	v_cvt_u32_f32_e32 v4, v4
.LBB23_9:                               ; =>This Inner Loop Header: Depth=1
	s_wait_alu 0xfffe
	s_ashr_i32 s35, s34, 31
	s_mov_b32 s2, -1
	s_wait_alu 0xfffe
	s_mul_u64 s[0:1], s[34:35], s[18:19]
                                        ; implicit-def: $sgpr38_sgpr39
	s_wait_alu 0xfffe
	s_mov_b32 s9, s1
	s_wait_alu 0xfffe
	s_cmp_lg_u64 s[8:9], 0
	s_cbranch_scc0 .LBB23_11
; %bb.10:                               ;   in Loop: Header=BB23_9 Depth=1
	s_mul_u64 s[2:3], s[30:31], s[28:29]
	s_mov_b32 s37, s8
	s_wait_alu 0xfffe
	s_mul_hi_u32 s5, s28, s3
	s_mul_i32 s4, s28, s3
	s_mul_hi_u32 s36, s28, s2
	s_mul_hi_u32 s9, s29, s2
	s_wait_alu 0xfffe
	s_add_nc_u64 s[4:5], s[36:37], s[4:5]
	s_mul_i32 s2, s29, s2
	s_mul_hi_u32 s17, s29, s3
	s_wait_alu 0xfffe
	s_add_co_u32 s2, s4, s2
	s_add_co_ci_u32 s2, s5, s9
	s_add_co_ci_u32 s5, s17, 0
	s_mul_i32 s4, s29, s3
	s_mov_b32 s3, s8
	s_mov_b32 s39, s8
	s_wait_alu 0xfffe
	s_add_nc_u64 s[2:3], s[2:3], s[4:5]
	s_wait_alu 0xfffe
	s_add_co_u32 s2, s28, s2
	s_cselect_b32 s4, -1, 0
	s_wait_alu 0xfffe
	s_cmp_lg_u32 s4, 0
	s_add_co_ci_u32 s3, s29, s3
	s_wait_alu 0xfffe
	s_mul_u64 s[4:5], s[30:31], s[2:3]
	s_wait_alu 0xfffe
	s_mul_hi_u32 s37, s2, s5
	s_mul_i32 s36, s2, s5
	s_mul_hi_u32 s38, s2, s4
	s_mul_hi_u32 s9, s3, s4
	s_mul_i32 s4, s3, s4
	s_wait_alu 0xfffe
	s_add_nc_u64 s[36:37], s[38:39], s[36:37]
	s_mul_hi_u32 s17, s3, s5
	s_wait_alu 0xfffe
	s_add_co_u32 s4, s36, s4
	s_add_co_ci_u32 s4, s37, s9
	s_add_co_ci_u32 s37, s17, 0
	s_mul_i32 s36, s3, s5
	s_mov_b32 s5, s8
	s_wait_alu 0xfffe
	s_add_nc_u64 s[4:5], s[4:5], s[36:37]
	s_mov_b32 s37, s8
	s_wait_alu 0xfffe
	s_add_co_u32 s9, s2, s4
	s_cselect_b32 s2, -1, 0
	s_wait_alu 0xfffe
	s_cmp_lg_u32 s2, 0
	s_add_co_ci_u32 s17, s3, s5
	s_ashr_i32 s2, s1, 31
	s_wait_alu 0xfffe
	s_mov_b32 s3, s2
	s_wait_alu 0xfffe
	s_add_nc_u64 s[4:5], s[0:1], s[2:3]
	s_wait_alu 0xfffe
	s_xor_b64 s[4:5], s[4:5], s[2:3]
	s_wait_alu 0xfffe
	s_mul_hi_u32 s39, s4, s17
	s_mul_i32 s38, s4, s17
	s_mul_hi_u32 s36, s4, s9
	s_mul_i32 s21, s5, s9
	s_wait_alu 0xfffe
	s_add_nc_u64 s[36:37], s[36:37], s[38:39]
	s_mul_hi_u32 s9, s5, s9
	s_mul_hi_u32 s1, s5, s17
	s_wait_alu 0xfffe
	s_add_co_u32 s21, s36, s21
	s_add_co_ci_u32 s36, s37, s9
	s_add_co_ci_u32 s39, s1, 0
	s_mul_i32 s38, s5, s17
	s_mov_b32 s37, s8
	s_wait_alu 0xfffe
	s_add_nc_u64 s[36:37], s[36:37], s[38:39]
	s_wait_alu 0xfffe
	s_mul_u64 s[38:39], s[6:7], s[36:37]
	s_add_nc_u64 s[40:41], s[36:37], 1
	s_sub_co_u32 s1, s4, s38
	s_cselect_b32 s4, -1, 0
	s_sub_co_i32 s9, s5, s39
	s_wait_alu 0xfffe
	s_cmp_lg_u32 s4, 0
	s_add_nc_u64 s[42:43], s[36:37], 2
	s_sub_co_ci_u32 s9, s9, s7
	s_sub_co_u32 s17, s1, s6
	s_cselect_b32 s21, -1, 0
	s_delay_alu instid0(SALU_CYCLE_1)
	s_cmp_lg_u32 s21, 0
	s_wait_alu 0xfffe
	s_sub_co_ci_u32 s9, s9, 0
	s_wait_alu 0xfffe
	s_cmp_ge_u32 s9, s7
	s_cselect_b32 s21, -1, 0
	s_cmp_ge_u32 s17, s6
	s_cselect_b32 s17, -1, 0
	s_cmp_eq_u32 s9, s7
	s_wait_alu 0xfffe
	s_cselect_b32 s9, s17, s21
	s_wait_alu 0xfffe
	s_cmp_lg_u32 s9, 0
	s_cselect_b32 s9, s42, s40
	s_cselect_b32 s17, s43, s41
	s_cmp_lg_u32 s4, 0
	s_sub_co_ci_u32 s4, s5, s39
	s_wait_alu 0xfffe
	s_cmp_ge_u32 s4, s7
	s_cselect_b32 s5, -1, 0
	s_cmp_ge_u32 s1, s6
	s_cselect_b32 s1, -1, 0
	s_cmp_eq_u32 s4, s7
	s_wait_alu 0xfffe
	s_cselect_b32 s1, s1, s5
	s_wait_alu 0xfffe
	s_cmp_lg_u32 s1, 0
	s_cselect_b32 s5, s17, s37
	s_cselect_b32 s4, s9, s36
	s_xor_b64 s[2:3], s[2:3], 0
	s_wait_alu 0xfffe
	s_xor_b64 s[4:5], s[4:5], s[2:3]
	s_wait_alu 0xfffe
	s_sub_nc_u64 s[38:39], s[4:5], s[2:3]
	s_mov_b32 s2, 0
.LBB23_11:                              ;   in Loop: Header=BB23_9 Depth=1
	s_wait_alu 0xfffe
	s_and_not1_b32 vcc_lo, exec_lo, s2
	s_wait_alu 0xfffe
	s_cbranch_vccnz .LBB23_13
; %bb.12:                               ;   in Loop: Header=BB23_9 Depth=1
	v_readfirstlane_b32 s1, v4
	s_sub_co_i32 s2, 0, s16
	s_wait_alu 0xfffe
	s_mul_i32 s2, s2, s1
	s_wait_alu 0xfffe
	s_mul_hi_u32 s2, s1, s2
	s_wait_alu 0xfffe
	s_add_co_i32 s1, s1, s2
	s_wait_alu 0xfffe
	s_mul_hi_u32 s1, s0, s1
	s_wait_alu 0xfffe
	s_mul_i32 s2, s1, s16
	s_wait_alu 0xfffe
	s_sub_co_i32 s0, s0, s2
	s_add_co_i32 s2, s1, 1
	s_wait_alu 0xfffe
	s_sub_co_i32 s3, s0, s16
	s_cmp_ge_u32 s0, s16
	s_cselect_b32 s1, s2, s1
	s_wait_alu 0xfffe
	s_cselect_b32 s0, s3, s0
	s_add_co_i32 s2, s1, 1
	s_wait_alu 0xfffe
	s_cmp_ge_u32 s0, s16
	s_cselect_b32 s38, s2, s1
.LBB23_13:                              ;   in Loop: Header=BB23_9 Depth=1
	v_readfirstlane_b32 s9, v0
	s_cmp_lg_u32 s20, s38
	s_mov_b32 s0, -1
                                        ; implicit-def: $sgpr21
                                        ; implicit-def: $vgpr6
                                        ; implicit-def: $vgpr7
                                        ; implicit-def: $sgpr17
                                        ; implicit-def: $sgpr27
	s_cbranch_scc1 .LBB23_16
; %bb.14:                               ;   in Loop: Header=BB23_9 Depth=1
	s_wait_alu 0xfffe
	s_and_not1_b32 vcc_lo, exec_lo, s0
	s_wait_alu 0xfffe
	s_cbranch_vccz .LBB23_19
.LBB23_15:                              ;   in Loop: Header=BB23_9 Depth=1
	s_and_not1_b32 vcc_lo, exec_lo, s21
	s_wait_alu 0xfffe
	s_cbranch_vccnz .LBB23_20
	s_branch .LBB23_23
.LBB23_16:                              ;   in Loop: Header=BB23_9 Depth=1
	s_add_co_i32 s0, s34, s16
	s_mov_b32 s1, s8
	s_wait_alu 0xfffe
	s_lshl_b32 s0, s0, 5
	v_max_num_f32_e64 v6, s26, s26
	s_wait_alu 0xfffe
	s_add_co_i32 s0, s0, s15
	s_mov_b32 s39, s8
	s_wait_alu 0xfffe
	s_lshl_b64 s[0:1], s[0:1], 3
	s_mul_u64 s[40:41], s[38:39], s[22:23]
	s_wait_alu 0xfffe
	s_add_nc_u64 s[0:1], s[10:11], s[0:1]
	s_mov_b32 s27, s20
	s_load_b64 s[36:37], s[0:1], 0x0
	v_readfirstlane_b32 s0, v6
	s_wait_kmcnt 0x0
	v_max_num_f32_e64 v7, s36, s36
	s_delay_alu instid0(VALU_DEP_1) | instskip(SKIP_2) | instid1(SALU_CYCLE_2)
	v_readfirstlane_b32 s1, v7
	s_max_num_f32 s9, s0, s1
	s_wait_alu 0xfffe
	s_sub_f32 s33, s26, s9
	s_sub_f32 s35, s36, s9
	s_wait_alu 0xfffe
	s_delay_alu instid0(SALU_CYCLE_1)
	s_cmp_nlt_f32 s33, 0xc2ce8ed0
	s_cselect_b32 s0, -1, 0
	s_cmp_ngt_f32 s33, 0x42b17218
	s_cselect_b32 s1, -1, 0
	s_cmp_ge_f32 s33, 0xc1a00000
	s_cselect_b32 s2, -1, 0
	s_cmp_nlt_f32 s35, 0xc2ce8ed0
	s_cselect_b32 s3, -1, 0
	s_cmp_ngt_f32 s35, 0x42b17218
	s_cselect_b32 s4, -1, 0
	s_cmp_ge_f32 s35, 0xc1a00000
	s_cselect_b32 s5, -1, 0
	s_add_co_i32 s17, s41, s38
	s_wait_alu 0xfffe
	s_lshr_b32 s17, s17, s13
	s_wait_alu 0xfffe
	s_mul_i32 s21, s17, s14
	s_delay_alu instid0(SALU_CYCLE_1)
	s_cmp_eq_u32 s21, s38
	s_cselect_b32 s21, -1, 0
	s_cmp_lt_u32 s17, s12
	s_cselect_b32 s17, -1, 0
	s_wait_alu 0xfffe
	s_or_b32 s17, s17, s21
	s_mov_b32 s21, -1
	s_wait_alu 0xfffe
	s_and_b32 vcc_lo, exec_lo, s17
	s_mov_b32 s17, s34
	s_wait_alu 0xfffe
	s_cbranch_vccnz .LBB23_18
; %bb.17:                               ;   in Loop: Header=BB23_9 Depth=1
	s_add_co_i32 s17, s34, -1
	s_mov_b32 s21, 0
	s_mov_b32 s27, s38
.LBB23_18:                              ;   in Loop: Header=BB23_9 Depth=1
	v_lshl_add_u32 v6, s34, 11, v0
	s_mul_f32 s36, s35, 0x3fb8aa3b
	s_mul_f32 s38, s33, 0x3fb8aa3b
	s_wait_alu 0xfffe
	s_delay_alu instid0(SALU_CYCLE_1)
	s_xor_b32 s39, s36, 0x80000000
	v_ashrrev_i32_e32 v7, 31, v6
	s_rndne_f32 s40, s36
	s_fmamk_f32 s39, s35, 0x3fb8aa3b, s39
	s_xor_b32 s41, s38, 0x80000000
	s_rndne_f32 s42, s38
	v_lshlrev_b64_e32 v[6:7], 2, v[6:7]
	s_sub_f32 s36, s36, s40
	s_fmamk_f32 s35, s35, 0x32a5705f, s39
	s_fmamk_f32 s39, s33, 0x3fb8aa3b, s41
	s_sub_f32 s38, s38, s42
	s_delay_alu instid0(VALU_DEP_1)
	v_add_co_u32 v6, vcc_lo, s24, v6
	s_wait_alu 0xfffd
	v_add_co_ci_u32_e64 v7, null, s25, v7, vcc_lo
	s_wait_alu 0xfffe
	s_add_f32 s35, s36, s35
	s_fmamk_f32 s33, s33, 0x32a5705f, s39
	s_cvt_i32_f32 s36, s40
	global_load_b32 v6, v[6:7], off
	s_wait_alu 0xfffe
	v_s_exp_f32 s35, s35
	s_add_f32 s33, s38, s33
	s_wait_alu 0xfffe
	s_delay_alu instid0(SALU_CYCLE_2) | instskip(NEXT) | instid1(TRANS32_DEP_2)
	v_s_exp_f32 s33, s33
	v_ldexp_f32 v7, s35, s36
	s_cvt_i32_f32 s35, s42
	s_wait_alu 0xf1fe
	s_delay_alu instid0(TRANS32_DEP_1) | instid1(SALU_CYCLE_2)
	v_ldexp_f32 v8, s33, s35
	s_delay_alu instid0(VALU_DEP_2) | instskip(NEXT) | instid1(VALU_DEP_2)
	v_cndmask_b32_e64 v7, 0, v7, s3
	v_cndmask_b32_e64 v8, 0, v8, s0
	s_delay_alu instid0(VALU_DEP_2) | instskip(NEXT) | instid1(VALU_DEP_2)
	v_cndmask_b32_e64 v7, 0x7f800000, v7, s4
	v_cndmask_b32_e64 v8, 0x7f800000, v8, s1
	;; [unrolled: 3-line block ×3, first 2 shown]
	s_wait_loadcnt 0x0
	s_delay_alu instid0(VALU_DEP_2) | instskip(SKIP_1) | instid1(VALU_DEP_1)
	v_mul_f32_e32 v6, v6, v7
	v_mul_f32_e32 v7, s37, v7
	v_fmac_f32_e32 v7, v5, v8
	s_delay_alu instid0(VALU_DEP_3)
	v_fmac_f32_e32 v6, v3, v8
	s_cbranch_execnz .LBB23_15
.LBB23_19:                              ;   in Loop: Header=BB23_9 Depth=1
	s_wait_loadcnt 0x0
	v_dual_mov_b32 v7, v5 :: v_dual_mov_b32 v6, v3
	s_add_co_i32 s17, s34, -1
	s_mov_b32 s27, s20
	s_mov_b32 s9, s26
	s_cbranch_execz .LBB23_23
.LBB23_20:                              ;   in Loop: Header=BB23_9 Depth=1
	v_mov_b32_e32 v5, v7
	s_wait_loadcnt 0x0
	v_mov_b32_e32 v3, v6
	s_wait_alu 0xfffe
	s_mov_b32 s20, s27
	s_mov_b32 s34, s17
	;; [unrolled: 1-line block ×3, first 2 shown]
	s_branch .LBB23_9
.LBB23_21:
                                        ; implicit-def: $sgpr20_sgpr21
	s_branch .LBB23_2
.LBB23_22:
                                        ; implicit-def: $sgpr10_sgpr11
	s_load_b96 s[12:14], s[0:1], 0x44
	s_branch .LBB23_5
.LBB23_23:
	v_div_scale_f32 v0, null, v7, v7, v6
	s_wait_loadcnt 0x0
	s_delay_alu instid0(VALU_DEP_1) | instskip(NEXT) | instid1(TRANS32_DEP_1)
	v_rcp_f32_e32 v3, v0
	v_fma_f32 v4, -v0, v3, 1.0
	s_delay_alu instid0(VALU_DEP_1) | instskip(SKIP_1) | instid1(VALU_DEP_1)
	v_fmac_f32_e32 v3, v4, v3
	v_div_scale_f32 v4, vcc_lo, v6, v7, v6
	v_mul_f32_e32 v5, v4, v3
	s_delay_alu instid0(VALU_DEP_1) | instskip(NEXT) | instid1(VALU_DEP_1)
	v_fma_f32 v8, -v0, v5, v4
	v_fmac_f32_e32 v5, v8, v3
	s_delay_alu instid0(VALU_DEP_1) | instskip(SKIP_1) | instid1(VALU_DEP_1)
	v_fma_f32 v0, -v0, v5, v4
	s_wait_alu 0xfffd
	v_div_fmas_f32 v0, v0, v3, v5
	s_delay_alu instid0(VALU_DEP_1)
	v_div_fixup_f32 v0, v0, v7, v6
	global_store_b32 v[1:2], v0, off
.LBB23_24:
	s_endpgm
	.section	.rodata,"a",@progbits
	.p2align	6, 0x0
	.amdhsa_kernel _ZL33flash_attn_stream_k_fixup_generalILi64ELi8ELi4EEvPfPK15HIP_vector_typeIfLj2EEiiiiS1_IjLj3EES5_S5_S5_
		.amdhsa_group_segment_fixed_size 0
		.amdhsa_private_segment_fixed_size 0
		.amdhsa_kernarg_size 336
		.amdhsa_user_sgpr_count 2
		.amdhsa_user_sgpr_dispatch_ptr 0
		.amdhsa_user_sgpr_queue_ptr 0
		.amdhsa_user_sgpr_kernarg_segment_ptr 1
		.amdhsa_user_sgpr_dispatch_id 0
		.amdhsa_user_sgpr_private_segment_size 0
		.amdhsa_wavefront_size32 1
		.amdhsa_uses_dynamic_stack 0
		.amdhsa_enable_private_segment 0
		.amdhsa_system_sgpr_workgroup_id_x 1
		.amdhsa_system_sgpr_workgroup_id_y 1
		.amdhsa_system_sgpr_workgroup_id_z 1
		.amdhsa_system_sgpr_workgroup_info 0
		.amdhsa_system_vgpr_workitem_id 0
		.amdhsa_next_free_vgpr 9
		.amdhsa_next_free_sgpr 44
		.amdhsa_reserve_vcc 1
		.amdhsa_float_round_mode_32 0
		.amdhsa_float_round_mode_16_64 0
		.amdhsa_float_denorm_mode_32 3
		.amdhsa_float_denorm_mode_16_64 3
		.amdhsa_fp16_overflow 0
		.amdhsa_workgroup_processor_mode 1
		.amdhsa_memory_ordered 1
		.amdhsa_forward_progress 1
		.amdhsa_inst_pref_size 28
		.amdhsa_round_robin_scheduling 0
		.amdhsa_exception_fp_ieee_invalid_op 0
		.amdhsa_exception_fp_denorm_src 0
		.amdhsa_exception_fp_ieee_div_zero 0
		.amdhsa_exception_fp_ieee_overflow 0
		.amdhsa_exception_fp_ieee_underflow 0
		.amdhsa_exception_fp_ieee_inexact 0
		.amdhsa_exception_int_div_zero 0
	.end_amdhsa_kernel
	.section	.text._ZL33flash_attn_stream_k_fixup_generalILi64ELi8ELi4EEvPfPK15HIP_vector_typeIfLj2EEiiiiS1_IjLj3EES5_S5_S5_,"axG",@progbits,_ZL33flash_attn_stream_k_fixup_generalILi64ELi8ELi4EEvPfPK15HIP_vector_typeIfLj2EEiiiiS1_IjLj3EES5_S5_S5_,comdat
.Lfunc_end23:
	.size	_ZL33flash_attn_stream_k_fixup_generalILi64ELi8ELi4EEvPfPK15HIP_vector_typeIfLj2EEiiiiS1_IjLj3EES5_S5_S5_, .Lfunc_end23-_ZL33flash_attn_stream_k_fixup_generalILi64ELi8ELi4EEvPfPK15HIP_vector_typeIfLj2EEiiiiS1_IjLj3EES5_S5_S5_
                                        ; -- End function
	.set _ZL33flash_attn_stream_k_fixup_generalILi64ELi8ELi4EEvPfPK15HIP_vector_typeIfLj2EEiiiiS1_IjLj3EES5_S5_S5_.num_vgpr, 9
	.set _ZL33flash_attn_stream_k_fixup_generalILi64ELi8ELi4EEvPfPK15HIP_vector_typeIfLj2EEiiiiS1_IjLj3EES5_S5_S5_.num_agpr, 0
	.set _ZL33flash_attn_stream_k_fixup_generalILi64ELi8ELi4EEvPfPK15HIP_vector_typeIfLj2EEiiiiS1_IjLj3EES5_S5_S5_.numbered_sgpr, 44
	.set _ZL33flash_attn_stream_k_fixup_generalILi64ELi8ELi4EEvPfPK15HIP_vector_typeIfLj2EEiiiiS1_IjLj3EES5_S5_S5_.num_named_barrier, 0
	.set _ZL33flash_attn_stream_k_fixup_generalILi64ELi8ELi4EEvPfPK15HIP_vector_typeIfLj2EEiiiiS1_IjLj3EES5_S5_S5_.private_seg_size, 0
	.set _ZL33flash_attn_stream_k_fixup_generalILi64ELi8ELi4EEvPfPK15HIP_vector_typeIfLj2EEiiiiS1_IjLj3EES5_S5_S5_.uses_vcc, 1
	.set _ZL33flash_attn_stream_k_fixup_generalILi64ELi8ELi4EEvPfPK15HIP_vector_typeIfLj2EEiiiiS1_IjLj3EES5_S5_S5_.uses_flat_scratch, 0
	.set _ZL33flash_attn_stream_k_fixup_generalILi64ELi8ELi4EEvPfPK15HIP_vector_typeIfLj2EEiiiiS1_IjLj3EES5_S5_S5_.has_dyn_sized_stack, 0
	.set _ZL33flash_attn_stream_k_fixup_generalILi64ELi8ELi4EEvPfPK15HIP_vector_typeIfLj2EEiiiiS1_IjLj3EES5_S5_S5_.has_recursion, 0
	.set _ZL33flash_attn_stream_k_fixup_generalILi64ELi8ELi4EEvPfPK15HIP_vector_typeIfLj2EEiiiiS1_IjLj3EES5_S5_S5_.has_indirect_call, 0
	.section	.AMDGPU.csdata,"",@progbits
; Kernel info:
; codeLenInByte = 3548
; TotalNumSgprs: 46
; NumVgprs: 9
; ScratchSize: 0
; MemoryBound: 0
; FloatMode: 240
; IeeeMode: 1
; LDSByteSize: 0 bytes/workgroup (compile time only)
; SGPRBlocks: 0
; VGPRBlocks: 1
; NumSGPRsForWavesPerEU: 46
; NumVGPRsForWavesPerEU: 9
; Occupancy: 16
; WaveLimiterHint : 0
; COMPUTE_PGM_RSRC2:SCRATCH_EN: 0
; COMPUTE_PGM_RSRC2:USER_SGPR: 2
; COMPUTE_PGM_RSRC2:TRAP_HANDLER: 0
; COMPUTE_PGM_RSRC2:TGID_X_EN: 1
; COMPUTE_PGM_RSRC2:TGID_Y_EN: 1
; COMPUTE_PGM_RSRC2:TGID_Z_EN: 1
; COMPUTE_PGM_RSRC2:TIDIG_COMP_CNT: 0
	.section	.text._ZL15flash_attn_tileILi64ELi64ELi4ELi4ELb0EEvPKcS1_S1_S1_S1_PKiPfP15HIP_vector_typeIfLj2EEffffjfiS5_IjLj3EEiiiiiiiiiiiliiliiiiil,"axG",@progbits,_ZL15flash_attn_tileILi64ELi64ELi4ELi4ELb0EEvPKcS1_S1_S1_S1_PKiPfP15HIP_vector_typeIfLj2EEffffjfiS5_IjLj3EEiiiiiiiiiiiliiliiiiil,comdat
	.globl	_ZL15flash_attn_tileILi64ELi64ELi4ELi4ELb0EEvPKcS1_S1_S1_S1_PKiPfP15HIP_vector_typeIfLj2EEffffjfiS5_IjLj3EEiiiiiiiiiiiliiliiiiil ; -- Begin function _ZL15flash_attn_tileILi64ELi64ELi4ELi4ELb0EEvPKcS1_S1_S1_S1_PKiPfP15HIP_vector_typeIfLj2EEffffjfiS5_IjLj3EEiiiiiiiiiiiliiliiiiil
	.p2align	8
	.type	_ZL15flash_attn_tileILi64ELi64ELi4ELi4ELb0EEvPKcS1_S1_S1_S1_PKiPfP15HIP_vector_typeIfLj2EEffffjfiS5_IjLj3EEiiiiiiiiiiiliiliiiiil,@function
_ZL15flash_attn_tileILi64ELi64ELi4ELi4ELb0EEvPKcS1_S1_S1_S1_PKiPfP15HIP_vector_typeIfLj2EEffffjfiS5_IjLj3EEiiiiiiiiiiiliiliiiiil: ; @_ZL15flash_attn_tileILi64ELi64ELi4ELi4ELb0EEvPKcS1_S1_S1_S1_PKiPfP15HIP_vector_typeIfLj2EEffffjfiS5_IjLj3EEiiiiiiiiiiiliiliiiiil
; %bb.0:
	s_clause 0x1
	s_load_b128 s[20:23], s[0:1], 0x5c
	s_load_b64 s[30:31], s[0:1], 0x80
	s_lshr_b32 s5, ttmp7, 16
	s_load_b64 s[38:39], s[0:1], 0xb8
	s_mov_b32 s37, 0
	s_mov_b64 s[34:35], 0
	s_wait_kmcnt 0x0
	s_ashr_i32 s2, s23, 31
	s_delay_alu instid0(SALU_CYCLE_1) | instskip(NEXT) | instid1(SALU_CYCLE_1)
	s_lshr_b32 s2, s2, 30
	s_add_co_i32 s2, s23, s2
	s_delay_alu instid0(SALU_CYCLE_1) | instskip(NEXT) | instid1(SALU_CYCLE_1)
	s_ashr_i32 s2, s2, 2
	s_cvt_f32_u32 s3, s2
	s_sub_co_i32 s4, 0, s2
	s_delay_alu instid0(SALU_CYCLE_2) | instskip(NEXT) | instid1(TRANS32_DEP_1)
	v_rcp_iflag_f32_e32 v1, s3
	v_readfirstlane_b32 s3, v1
	s_mul_f32 s3, s3, 0x4f7ffffe
	s_wait_alu 0xfffe
	s_delay_alu instid0(SALU_CYCLE_2) | instskip(SKIP_1) | instid1(SALU_CYCLE_2)
	s_cvt_u32_f32 s3, s3
	s_wait_alu 0xfffe
	s_mul_i32 s4, s4, s3
	s_delay_alu instid0(SALU_CYCLE_1) | instskip(NEXT) | instid1(SALU_CYCLE_1)
	s_mul_hi_u32 s4, s3, s4
	s_add_co_i32 s3, s3, s4
	s_wait_alu 0xfffe
	s_mul_hi_u32 s3, s5, s3
	s_wait_alu 0xfffe
	s_mul_i32 s4, s3, s2
	s_add_co_i32 s6, s3, 1
	s_sub_co_i32 s4, s5, s4
	s_delay_alu instid0(SALU_CYCLE_1)
	s_sub_co_i32 s7, s4, s2
	s_cmp_ge_u32 s4, s2
	s_cselect_b32 s3, s6, s3
	s_cselect_b32 s4, s7, s4
	s_wait_alu 0xfffe
	s_add_co_i32 s6, s3, 1
	s_cmp_ge_u32 s4, s2
	s_cselect_b32 s2, s6, s3
	s_abs_i32 s3, s31
	s_abs_i32 s8, s23
	s_wait_alu 0xfffe
	s_cvt_f32_u32 s4, s3
	s_sub_co_i32 s6, 0, s3
	s_lshl_b32 s5, s5, 2
	s_mul_i32 s7, s2, s23
	v_rcp_iflag_f32_e32 v1, s4
	s_sub_co_i32 s28, s5, s7
	s_xor_b32 s5, s23, s31
	s_wait_alu 0xfffe
	s_ashr_i32 s24, s5, 31
	s_delay_alu instid0(TRANS32_DEP_1) | instskip(SKIP_2) | instid1(SALU_CYCLE_2)
	v_readfirstlane_b32 s4, v1
	s_mul_f32 s4, s4, 0x4f7ffffe
	s_wait_alu 0xfffe
	s_cvt_u32_f32 s4, s4
	s_wait_alu 0xfffe
	s_delay_alu instid0(SALU_CYCLE_2) | instskip(NEXT) | instid1(SALU_CYCLE_1)
	s_mul_i32 s6, s6, s4
	s_mul_hi_u32 s6, s4, s6
	s_delay_alu instid0(SALU_CYCLE_1) | instskip(SKIP_4) | instid1(SALU_CYCLE_1)
	s_add_co_i32 s4, s4, s6
	s_wait_alu 0xfffe
	s_mul_hi_u32 s4, s8, s4
	s_wait_alu 0xfffe
	s_mul_i32 s6, s4, s3
	s_sub_co_i32 s5, s8, s6
	s_add_co_i32 s6, s4, 1
	s_wait_alu 0xfffe
	s_sub_co_i32 s7, s5, s3
	s_cmp_ge_u32 s5, s3
	s_cselect_b32 s4, s6, s4
	s_cselect_b32 s5, s7, s5
	s_wait_alu 0xfffe
	s_add_co_i32 s6, s4, 1
	s_cmp_ge_u32 s5, s3
	s_cselect_b32 s3, s6, s4
	s_load_b512 s[4:19], s[0:1], 0x0
	s_xor_b32 s3, s3, s24
	s_wait_alu 0xfffe
	s_sub_co_i32 s31, s3, s24
	s_delay_alu instid0(SALU_CYCLE_1) | instskip(NEXT) | instid1(SALU_CYCLE_1)
	s_abs_i32 s29, s31
	s_cvt_f32_u32 s3, s29
	s_wait_alu 0xfffe
	s_delay_alu instid0(SALU_CYCLE_2) | instskip(SKIP_2) | instid1(TRANS32_DEP_1)
	v_rcp_iflag_f32_e32 v1, s3
	s_wait_kmcnt 0x0
	s_cmp_eq_u64 s[10:11], 0
	v_readfirstlane_b32 s27, v1
	s_cbranch_scc1 .LBB24_2
; %bb.1:
	s_abs_i32 s3, s38
	s_wait_alu 0xfffe
	s_cvt_f32_u32 s24, s3
	s_delay_alu instid0(SALU_CYCLE_3) | instskip(NEXT) | instid1(TRANS32_DEP_1)
	v_rcp_iflag_f32_e32 v1, s24
	v_readfirstlane_b32 s24, v1
	s_mul_f32 s24, s24, 0x4f7ffffe
	s_wait_alu 0xfffe
	s_delay_alu instid0(SALU_CYCLE_2) | instskip(SKIP_2) | instid1(SALU_CYCLE_1)
	s_cvt_u32_f32 s26, s24
	s_sub_co_i32 s24, 0, s3
	s_wait_alu 0xfffe
	s_mul_i32 s24, s24, s26
	s_wait_alu 0xfffe
	s_mul_hi_u32 s33, s26, s24
	s_load_b64 s[24:25], s[0:1], 0xc8
	s_add_co_i32 s26, s26, s33
	s_delay_alu instid0(SALU_CYCLE_1) | instskip(NEXT) | instid1(SALU_CYCLE_1)
	s_mul_hi_u32 s26, s2, s26
	s_mul_i32 s26, s26, s3
	s_delay_alu instid0(SALU_CYCLE_1) | instskip(NEXT) | instid1(SALU_CYCLE_1)
	s_sub_co_i32 s26, s2, s26
	s_sub_co_i32 s33, s26, s3
	s_cmp_ge_u32 s26, s3
	s_cselect_b32 s26, s33, s26
	s_delay_alu instid0(SALU_CYCLE_1) | instskip(SKIP_2) | instid1(SALU_CYCLE_1)
	s_sub_co_i32 s33, s26, s3
	s_cmp_ge_u32 s26, s3
	s_cselect_b32 s34, s33, s26
	s_ashr_i32 s35, s34, 31
	s_wait_kmcnt 0x0
	s_mul_u64 s[24:25], s[24:25], s[34:35]
	s_wait_alu 0xfffe
	s_add_nc_u64 s[34:35], s[10:11], s[24:25]
.LBB24_2:
	v_bfe_u32 v2, v0, 10, 10
	s_load_b96 s[24:26], s[0:1], 0x70
	v_and_b32_e32 v12, 0x3ff, v0
	s_delay_alu instid0(VALU_DEP_2) | instskip(NEXT) | instid1(VALU_DEP_1)
	v_lshl_add_u32 v13, ttmp9, 2, v2
	v_mul_hi_u32 v1, s20, v13
	s_delay_alu instid0(VALU_DEP_1) | instskip(SKIP_3) | instid1(VALU_DEP_1)
	v_add_nc_u32_e32 v1, v13, v1
	s_wait_kmcnt 0x0
	s_ashr_i32 s11, s24, 31
	s_mov_b32 s10, s24
	v_lshrrev_b32_e32 v1, s21, v1
	s_lshr_b64 s[20:21], s[10:11], 2
	s_lshr_b32 s3, s11, 2
	s_mul_i32 s10, s2, s26
	s_delay_alu instid0(VALU_DEP_1) | instskip(SKIP_1) | instid1(SALU_CYCLE_1)
	v_mul_lo_u32 v1, v1, s22
	s_ashr_i32 s11, s10, 31
	s_add_nc_u64 s[4:5], s[4:5], s[10:11]
	s_delay_alu instid0(VALU_DEP_1) | instskip(SKIP_1) | instid1(VALU_DEP_1)
	v_sub_nc_u32_e32 v3, v13, v1
	s_wait_alu 0xfffe
	v_mad_co_u64_u32 v[4:5], null, s20, v3, 0
	s_mul_i32 s20, s28, s25
	s_wait_alu 0xfffe
	s_ashr_i32 s21, s20, 31
	s_wait_alu 0xfffe
	s_add_nc_u64 s[4:5], s[4:5], s[20:21]
	v_mov_b32_e32 v1, v5
	s_delay_alu instid0(VALU_DEP_1) | instskip(SKIP_2) | instid1(VALU_DEP_2)
	v_mad_co_u64_u32 v[5:6], null, s3, v3, v[1:2]
	v_lshlrev_b32_e32 v1, 3, v12
	s_and_b32 s3, s25, -4
	v_lshlrev_b64_e32 v[4:5], 2, v[4:5]
	s_wait_alu 0xfffe
	s_delay_alu instid0(VALU_DEP_1) | instskip(NEXT) | instid1(VALU_DEP_1)
	v_add_co_u32 v0, vcc_lo, s4, v4
	v_add_co_ci_u32_e64 v5, null, s5, v5, vcc_lo
	s_ashr_i32 s5, s25, 31
	v_add_co_u32 v4, vcc_lo, v0, v1
	s_wait_alu 0xfffd
	v_add_co_ci_u32_e64 v5, null, 0, v5, vcc_lo
	s_mov_b32 s4, s25
	v_add_co_u32 v14, vcc_lo, v4, s3
	global_load_b64 v[8:9], v[4:5], off
	s_wait_alu 0xfffe
	s_lshr_b64 s[10:11], s[4:5], 2
	s_load_b32 s3, s[0:1], 0x40
	v_mad_co_u64_u32 v[6:7], null, s10, 12, v[4:5]
	v_add_co_ci_u32_e64 v15, null, s5, v5, vcc_lo
	s_lshl_b64 s[10:11], s[10:11], 3
	s_cmp_eq_u64 s[14:15], 0
	global_load_b64 v[14:15], v[14:15], off
	v_mov_b32_e32 v0, v7
	s_wait_alu 0xfffe
	v_add_co_u32 v4, vcc_lo, v4, s10
	s_wait_alu 0xfffd
	v_add_co_ci_u32_e64 v5, null, s11, v5, vcc_lo
	v_mad_co_u64_u32 v[10:11], null, s5, 12, v[0:1]
	v_lshl_add_u32 v11, v2, 9, 0x5800
	s_wait_loadcnt 0x1
	s_wait_kmcnt 0x0
	v_fma_mixlo_f16 v0, s3, v9, 0
	s_delay_alu instid0(VALU_DEP_3) | instskip(SKIP_1) | instid1(VALU_DEP_3)
	v_mov_b32_e32 v7, v10
	v_fma_mixlo_f16 v8, s3, v8, 0
	v_lshlrev_b32_e32 v0, 16, v0
	s_clause 0x1
	global_load_b64 v[4:5], v[4:5], off
	global_load_b64 v[6:7], v[6:7], off
	v_and_b32_e32 v8, 0xffff, v8
	s_wait_loadcnt 0x2
	v_fma_mixlo_f16 v9, s3, v15, 0
	v_fma_mixlo_f16 v10, s3, v14, 0
	v_lshl_add_u32 v14, v12, 2, v11
	v_or_b32_e32 v0, v0, v8
	s_delay_alu instid0(VALU_DEP_4) | instskip(NEXT) | instid1(VALU_DEP_4)
	v_lshlrev_b32_e32 v9, 16, v9
	v_and_b32_e32 v10, 0xffff, v10
	s_delay_alu instid0(VALU_DEP_1)
	v_or_b32_e32 v8, v9, v10
	s_wait_loadcnt 0x1
	v_fma_mixlo_f16 v4, s3, v4, 0
	v_fma_mixlo_f16 v5, s3, v5, 0
	s_wait_loadcnt 0x0
	v_fma_mixlo_f16 v7, s3, v7, 0
	v_fma_mixlo_f16 v6, s3, v6, 0
	v_and_b32_e32 v4, 0xffff, v4
	v_lshlrev_b32_e32 v5, 16, v5
	s_delay_alu instid0(VALU_DEP_4) | instskip(NEXT) | instid1(VALU_DEP_4)
	v_lshlrev_b32_e32 v7, 16, v7
	v_and_b32_e32 v6, 0xffff, v6
	s_delay_alu instid0(VALU_DEP_3) | instskip(NEXT) | instid1(VALU_DEP_2)
	v_or_b32_e32 v4, v5, v4
	v_or_b32_e32 v5, v7, v6
	ds_store_2addr_b32 v14, v0, v8 offset1:32
	ds_store_2addr_b32 v14, v4, v5 offset0:64 offset1:96
	s_wait_dscnt 0x0
	s_barrier_signal -1
	s_barrier_wait -1
	global_inv scope:SCOPE_SE
	s_cbranch_scc1 .LBB24_4
; %bb.3:
	s_load_b32 s3, s[0:1], 0xd0
	s_mov_b32 s5, 0
	s_wait_kmcnt 0x0
	s_mul_i32 s3, s3, s2
	s_wait_alu 0xfffe
	s_add_co_i32 s4, s3, ttmp9
	s_wait_alu 0xfffe
	s_lshl_b64 s[4:5], s[4:5], 2
	s_wait_alu 0xfffe
	s_add_nc_u64 s[4:5], s[14:15], s[4:5]
	s_load_b32 s30, s[4:5], 0x0
.LBB24_4:
	s_and_b32 s4, ttmp7, 0xffff
	v_mbcnt_lo_u32_b32 v56, -1, 0
	s_wait_alu 0xfffe
	s_lshl_b32 s10, s4, 7
	s_wait_kmcnt 0x0
	s_wait_alu 0xfffe
	s_cmp_lt_i32 s10, s30
	s_cbranch_scc1 .LBB24_7
; %bb.5:
	v_mbcnt_lo_u32_b32 v4, -1, 0
	v_mov_b32_e32 v57, 32
	s_delay_alu instid0(VALU_DEP_2)
	v_xor_b32_e32 v65, 16, v4
	v_xor_b32_e32 v62, 8, v4
	;; [unrolled: 1-line block ×5, first 2 shown]
	s_mov_b32 s3, 0
	s_cbranch_execz .LBB24_8
; %bb.6:
	v_dual_mov_b32 v105, 0 :: v_dual_mov_b32 v68, 0
	v_dual_mov_b32 v3, 0xfeffffff :: v_dual_mov_b32 v2, 0xfeffffff
	;; [unrolled: 1-line block ×5, first 2 shown]
	v_dual_mov_b32 v104, 0 :: v_dual_lshlrev_b32 v15, 1, v12
	v_mov_b32_e32 v40, 0
	s_branch .LBB24_11
.LBB24_7:
                                        ; implicit-def: $vgpr4
                                        ; implicit-def: $vgpr57
                                        ; implicit-def: $vgpr65
                                        ; implicit-def: $vgpr62
                                        ; implicit-def: $vgpr61
                                        ; implicit-def: $vgpr60
                                        ; implicit-def: $vgpr58
	s_mov_b32 s3, 0
.LBB24_8:
	s_mul_f32 s5, s27, 0x4f7ffffe
	s_clause 0x1
	s_load_b128 s[24:27], s[0:1], 0x98
	s_load_b64 s[20:21], s[0:1], 0x8c
	s_sub_co_i32 s11, 0, s29
	s_abs_i32 s36, s28
	s_cvt_u32_f32 s5, s5
	s_mov_b32 s15, s37
	s_ashr_i32 s33, s28, 31
	s_ashr_i32 s31, s31, 31
	s_wait_alu 0xfffe
	s_mul_i32 s11, s11, s5
	s_load_b64 s[40:41], s[0:1], 0xa8
	s_mul_hi_u32 s11, s5, s11
	v_lshrrev_b32_e32 v0, 3, v12
	s_wait_alu 0xfffe
	s_add_co_i32 s14, s5, s11
	s_xor_b32 s11, s33, s31
	s_mul_u64 s[14:15], s[36:37], s[14:15]
	s_ashr_i32 s5, s39, 1
	s_mul_i32 s31, s15, s29
	s_add_co_i32 s33, s15, 1
	v_lshl_add_u32 v0, v2, 2, v0
	v_lshl_add_u32 v75, v2, 10, 0x4800
	s_wait_kmcnt 0x0
	s_ashr_i32 s14, s26, 2
	s_sub_co_i32 s26, s36, s31
	s_ashr_i32 s20, s20, 2
	s_sub_co_i32 s31, s26, s29
	s_cmp_ge_u32 s26, s29
	s_wait_alu 0xfffe
	v_mul_lo_u32 v6, s20, v0
	s_cselect_b32 s15, s33, s15
	s_cselect_b32 s26, s31, s26
	s_add_co_i32 s31, s15, 1
	s_cmp_ge_u32 s26, s29
	s_mul_u64 s[24:25], s[24:25], s[2:3]
	s_cselect_b32 s15, s31, s15
	v_mul_lo_u32 v24, s14, v0
	s_xor_b32 s15, s15, s11
	s_wait_alu 0xfffe
	s_add_nc_u64 s[6:7], s[6:7], s[24:25]
	s_sub_co_i32 s11, s15, s11
	s_lshl_b32 s15, s20, 4
	s_wait_alu 0xfffe
	s_mul_i32 s24, s11, s21
	v_dual_mov_b32 v103, 0 :: v_dual_add_nc_u32 v8, s15, v6
	s_wait_alu 0xfffe
	s_ashr_i32 s25, s24, 31
	v_add_nc_u32_e32 v84, v75, v1
	s_wait_alu 0xfffe
	s_add_nc_u64 s[6:7], s[6:7], s[24:25]
	s_mul_u64 s[24:25], s[40:41], s[2:3]
	s_lshl_b32 s3, s14, 4
	v_dual_mov_b32 v1, 0xfeffffff :: v_dual_add_nc_u32 v14, s15, v8
	s_wait_alu 0xfffe
	v_add_nc_u32_e32 v26, s3, v24
	v_dual_mov_b32 v40, 0 :: v_dual_lshlrev_b32 v59, 2, v12
	s_delay_alu instid0(VALU_DEP_3) | instskip(NEXT) | instid1(VALU_DEP_3)
	v_dual_mov_b32 v57, 32 :: v_dual_add_nc_u32 v16, s15, v14
	v_add_nc_u32_e32 v28, s3, v26
	s_delay_alu instid0(VALU_DEP_3) | instskip(SKIP_1) | instid1(VALU_DEP_4)
	v_and_b32_e32 v10, 28, v59
	v_ashrrev_i32_e32 v7, 31, v6
	v_add_nc_u32_e32 v18, s15, v16
	v_ashrrev_i32_e32 v9, 31, v8
	v_add_nc_u32_e32 v32, s3, v28
	v_dual_mov_b32 v105, 0 :: v_dual_lshlrev_b32 v4, 2, v10
	s_delay_alu instid0(VALU_DEP_4) | instskip(SKIP_1) | instid1(VALU_DEP_4)
	v_add_nc_u32_e32 v20, s15, v18
	v_ashrrev_i32_e32 v15, 31, v14
	v_add_nc_u32_e32 v34, s3, v32
	s_delay_alu instid0(VALU_DEP_4)
	v_mad_u32_u24 v63, 0x90, v0, v4
	v_ashrrev_i32_e32 v17, 31, v16
	v_add_nc_u32_e32 v22, s15, v20
	v_ashrrev_i32_e32 v19, 31, v18
	v_add_nc_u32_e32 v2, s3, v34
	v_ashrrev_i32_e32 v21, 31, v20
	v_lshl_or_b32 v74, v0, 7, v4
	v_add_nc_u32_e32 v30, s15, v22
	v_ashrrev_i32_e32 v23, 31, v22
	v_add_nc_u32_e32 v36, s3, v2
	v_mad_co_u64_u32 v[4:5], null, v3, s5, v[12:13]
	s_delay_alu instid0(VALU_DEP_4) | instskip(SKIP_1) | instid1(VALU_DEP_4)
	v_ashrrev_i32_e32 v31, 31, v30
	v_ashrrev_i32_e32 v25, 31, v24
	v_add_nc_u32_e32 v38, s3, v36
	v_ashrrev_i32_e32 v27, 31, v26
	v_ashrrev_i32_e32 v29, 31, v28
	;; [unrolled: 1-line block ×7, first 2 shown]
	s_mul_i32 s26, s11, s27
	v_dual_mov_b32 v0, 0xfeffffff :: v_dual_lshlrev_b32 v83, 2, v10
	v_lshlrev_b64_e32 v[5:6], 2, v[6:7]
	v_lshlrev_b64_e32 v[7:8], 2, v[8:9]
	;; [unrolled: 1-line block ×16, first 2 shown]
	v_dual_mov_b32 v101, 0 :: v_dual_add_nc_u32 v64, 0x900, v63
	v_add_nc_u32_e32 v66, 0x1200, v63
	v_dual_mov_b32 v104, 0 :: v_dual_add_nc_u32 v67, 0x1b00, v63
	v_dual_mov_b32 v100, 0 :: v_dual_add_nc_u32 v69, 0x2400, v63
	v_add_nc_u32_e32 v70, 0x2d00, v63
	v_dual_mov_b32 v102, 0 :: v_dual_add_nc_u32 v71, 0x3600, v63
	v_add_nc_u32_e32 v72, 0x3f00, v63
	v_mul_u32_u24_e32 v73, 0x90, v12
	v_add_nc_u32_e32 v76, 0x800, v74
	v_dual_mov_b32 v68, 0 :: v_dual_add_nc_u32 v77, 0x1000, v74
	v_add_nc_u32_e32 v78, 0x1800, v74
	v_add_nc_u32_e32 v79, 0x2000, v74
	;; [unrolled: 1-line block ×5, first 2 shown]
	v_xor_b32_e32 v65, 16, v56
	v_xor_b32_e32 v62, 8, v56
	;; [unrolled: 1-line block ×5, first 2 shown]
	v_add_nc_u32_e32 v85, 0x400, v59
	v_add_nc_u32_e32 v86, 0x800, v59
	;; [unrolled: 1-line block ×15, first 2 shown]
	v_dual_mov_b32 v2, 0xfeffffff :: v_dual_mov_b32 v3, 0xfeffffff
	s_add_nc_u64 s[8:9], s[8:9], s[24:25]
	s_ashr_i32 s27, s26, 31
	s_ashr_i32 s21, s20, 31
	s_add_nc_u64 s[8:9], s[8:9], s[26:27]
	s_ashr_i32 s15, s14, 31
	s_add_nc_u64 s[24:25], s[0:1], 0xd0
.LBB24_9:                               ; =>This Inner Loop Header: Depth=1
	s_ashr_i32 s11, s10, 31
	v_mov_b32_e32 v47, v0
	s_wait_alu 0xfffe
	s_mul_u64 s[26:27], s[10:11], s[20:21]
	v_dual_mov_b32 v46, v100 :: v_dual_mov_b32 v45, v1
	s_wait_alu 0xfffe
	s_lshl_b64 s[26:27], s[26:27], 2
	v_dual_mov_b32 v42, v102 :: v_dual_mov_b32 v41, v3
	s_wait_alu 0xfffe
	s_add_nc_u64 s[26:27], s[6:7], s[26:27]
	v_dual_mov_b32 v44, v101 :: v_dual_mov_b32 v43, v2
	s_wait_alu 0xfffe
	v_add_co_u32 v0, vcc_lo, s26, v5
	s_wait_alu 0xfffd
	v_add_co_ci_u32_e64 v1, null, s27, v6, vcc_lo
	v_mov_b32_e32 v100, 0
	s_delay_alu instid0(VALU_DEP_3) | instskip(SKIP_1) | instid1(VALU_DEP_3)
	v_add_co_u32 v0, vcc_lo, v0, v83
	s_wait_alu 0xfffd
	v_add_co_ci_u32_e64 v1, null, 0, v1, vcc_lo
	v_dual_mov_b32 v54, 0 :: v_dual_mov_b32 v101, 0
	v_mov_b32_e32 v102, 0
	global_load_b128 v[0:3], v[0:1], off
	v_dual_mov_b32 v52, 0 :: v_dual_mov_b32 v53, 0
	v_mov_b32_e32 v55, 0
	s_wait_loadcnt 0x0
	ds_store_b128 v63, v[0:3]
	v_add_co_u32 v0, vcc_lo, s26, v7
	s_wait_alu 0xfffd
	v_add_co_ci_u32_e64 v1, null, s27, v8, vcc_lo
	s_delay_alu instid0(VALU_DEP_2) | instskip(SKIP_1) | instid1(VALU_DEP_2)
	v_add_co_u32 v0, vcc_lo, v0, v83
	s_wait_alu 0xfffd
	v_add_co_ci_u32_e64 v1, null, 0, v1, vcc_lo
	global_load_b128 v[0:3], v[0:1], off
	s_wait_loadcnt 0x0
	ds_store_b128 v64, v[0:3]
	v_add_co_u32 v0, vcc_lo, s26, v9
	s_wait_alu 0xfffd
	v_add_co_ci_u32_e64 v1, null, s27, v10, vcc_lo
	s_delay_alu instid0(VALU_DEP_2) | instskip(SKIP_1) | instid1(VALU_DEP_2)
	v_add_co_u32 v0, vcc_lo, v0, v83
	s_wait_alu 0xfffd
	v_add_co_ci_u32_e64 v1, null, 0, v1, vcc_lo
	global_load_b128 v[0:3], v[0:1], off
	s_wait_loadcnt 0x0
	ds_store_b128 v66, v[0:3]
	v_add_co_u32 v0, vcc_lo, s26, v14
	s_wait_alu 0xfffd
	v_add_co_ci_u32_e64 v1, null, s27, v15, vcc_lo
	s_delay_alu instid0(VALU_DEP_2) | instskip(SKIP_1) | instid1(VALU_DEP_2)
	v_add_co_u32 v0, vcc_lo, v0, v83
	s_wait_alu 0xfffd
	v_add_co_ci_u32_e64 v1, null, 0, v1, vcc_lo
	global_load_b128 v[0:3], v[0:1], off
	s_wait_loadcnt 0x0
	ds_store_b128 v67, v[0:3]
	v_add_co_u32 v0, vcc_lo, s26, v16
	s_wait_alu 0xfffd
	v_add_co_ci_u32_e64 v1, null, s27, v17, vcc_lo
	s_delay_alu instid0(VALU_DEP_2) | instskip(SKIP_1) | instid1(VALU_DEP_2)
	v_add_co_u32 v0, vcc_lo, v0, v83
	s_wait_alu 0xfffd
	v_add_co_ci_u32_e64 v1, null, 0, v1, vcc_lo
	global_load_b128 v[0:3], v[0:1], off
	s_wait_loadcnt 0x0
	ds_store_b128 v69, v[0:3]
	v_add_co_u32 v0, vcc_lo, s26, v18
	s_wait_alu 0xfffd
	v_add_co_ci_u32_e64 v1, null, s27, v19, vcc_lo
	s_delay_alu instid0(VALU_DEP_2) | instskip(SKIP_1) | instid1(VALU_DEP_2)
	v_add_co_u32 v0, vcc_lo, v0, v83
	s_wait_alu 0xfffd
	v_add_co_ci_u32_e64 v1, null, 0, v1, vcc_lo
	global_load_b128 v[0:3], v[0:1], off
	s_wait_loadcnt 0x0
	ds_store_b128 v70, v[0:3]
	v_add_co_u32 v0, vcc_lo, s26, v20
	s_wait_alu 0xfffd
	v_add_co_ci_u32_e64 v1, null, s27, v21, vcc_lo
	s_delay_alu instid0(VALU_DEP_2) | instskip(SKIP_1) | instid1(VALU_DEP_2)
	v_add_co_u32 v0, vcc_lo, v0, v83
	s_wait_alu 0xfffd
	v_add_co_ci_u32_e64 v1, null, 0, v1, vcc_lo
	global_load_b128 v[0:3], v[0:1], off
	s_wait_loadcnt 0x0
	ds_store_b128 v71, v[0:3]
	v_add_co_u32 v0, vcc_lo, s26, v22
	s_wait_alu 0xfffd
	v_add_co_ci_u32_e64 v1, null, s27, v23, vcc_lo
	s_mul_u64 s[26:27], s[10:11], s[14:15]
	v_add_co_u32 v0, vcc_lo, v0, v83
	s_wait_alu 0xfffd
	v_add_co_ci_u32_e64 v1, null, 0, v1, vcc_lo
	v_cmp_gt_i32_e32 vcc_lo, 32, v65
	s_wait_alu 0xfffe
	s_lshl_b64 s[26:27], s[26:27], 2
	global_load_b128 v[0:3], v[0:1], off
	s_wait_alu 0xfffe
	s_add_nc_u64 s[26:27], s[8:9], s[26:27]
	s_wait_loadcnt 0x0
	ds_store_b128 v72, v[0:3]
	s_wait_dscnt 0x0
	s_barrier_signal -1
	s_barrier_wait -1
	global_inv scope:SCOPE_SE
	ds_load_b128 v[48:51], v73
	ds_load_b128 v[106:109], v73 offset:4608
	ds_load_b128 v[110:113], v73 offset:9216
	;; [unrolled: 1-line block ×3, first 2 shown]
	ds_load_b128 v[118:121], v11
	ds_load_b128 v[122:125], v11 offset:128
	ds_load_b128 v[126:129], v11 offset:256
	;; [unrolled: 1-line block ×3, first 2 shown]
	v_mov_b32_e32 v0, 0
	s_wait_dscnt 0x3
	;;#ASMSTART
	v_dot2_f32_f16 v0, v48, v118, v0
	;;#ASMEND
	;;#ASMSTART
	v_dot2_f32_f16 v0, v49, v119, v0
	;;#ASMEND
	;; [unrolled: 3-line block ×3, first 2 shown]
	v_dual_mov_b32 v1, 0 :: v_dual_mov_b32 v2, 0
	;;#ASMSTART
	v_dot2_f32_f16 v0, v51, v121, v0
	;;#ASMEND
	s_wait_dscnt 0x2
	;;#ASMSTART
	v_dot2_f32_f16 v1, v48, v122, v1
	;;#ASMEND
	;;#ASMSTART
	v_dot2_f32_f16 v1, v49, v123, v1
	;;#ASMEND
	;; [unrolled: 3-line block ×4, first 2 shown]
	s_wait_dscnt 0x1
	;;#ASMSTART
	v_dot2_f32_f16 v2, v48, v126, v2
	;;#ASMEND
	;;#ASMSTART
	v_dot2_f32_f16 v2, v49, v127, v2
	;;#ASMEND
	;; [unrolled: 3-line block ×3, first 2 shown]
	v_mov_b32_e32 v3, 0
	;;#ASMSTART
	v_dot2_f32_f16 v2, v51, v129, v2
	;;#ASMEND
	s_wait_dscnt 0x0
	;;#ASMSTART
	v_dot2_f32_f16 v3, v48, v130, v3
	;;#ASMEND
	;;#ASMSTART
	v_dot2_f32_f16 v3, v49, v131, v3
	;;#ASMEND
	;; [unrolled: 3-line block ×7, first 2 shown]
	v_dual_mov_b32 v50, 0 :: v_dual_mov_b32 v49, 0
	;;#ASMSTART
	v_dot2_f32_f16 v52, v109, v121, v52
	;;#ASMEND
	;;#ASMSTART
	v_dot2_f32_f16 v50, v106, v122, v50
	;;#ASMEND
	;; [unrolled: 3-line block ×8, first 2 shown]
	v_mov_b32_e32 v48, 0
	;;#ASMSTART
	v_dot2_f32_f16 v49, v109, v129, v49
	;;#ASMEND
	;;#ASMSTART
	v_dot2_f32_f16 v48, v106, v130, v48
	;;#ASMEND
	;; [unrolled: 3-line block ×5, first 2 shown]
	v_mov_b32_e32 v51, 0
	;;#ASMSTART
	v_dot2_f32_f16 v100, v110, v118, v100
	;;#ASMEND
	;;#ASMSTART
	v_dot2_f32_f16 v100, v111, v119, v100
	;;#ASMEND
	;; [unrolled: 3-line block ×15, first 2 shown]
	v_mov_b32_e32 v106, 0
	;;#ASMSTART
	v_dot2_f32_f16 v51, v113, v133, v51
	;;#ASMEND
	;;#ASMSTART
	v_dot2_f32_f16 v106, v114, v118, v106
	;;#ASMEND
	;; [unrolled: 3-line block ×17, first 2 shown]
	ds_load_b128 v[107:110], v73 offset:16
	ds_load_b128 v[111:114], v73 offset:4624
	ds_load_b128 v[115:118], v73 offset:9232
	ds_load_b128 v[119:122], v73 offset:13840
	ds_load_b128 v[123:126], v11 offset:16
	ds_load_b128 v[127:130], v11 offset:144
	ds_load_b128 v[131:134], v11 offset:272
	ds_load_b128 v[135:138], v11 offset:400
	s_wait_dscnt 0x3
	;;#ASMSTART
	v_dot2_f32_f16 v0, v107, v123, v0
	;;#ASMEND
	;;#ASMSTART
	v_dot2_f32_f16 v0, v108, v124, v0
	;;#ASMEND
	;;#ASMSTART
	v_dot2_f32_f16 v0, v109, v125, v0
	;;#ASMEND
	;;#ASMSTART
	v_dot2_f32_f16 v0, v110, v126, v0
	;;#ASMEND
	s_wait_dscnt 0x2
	;;#ASMSTART
	v_dot2_f32_f16 v1, v107, v127, v1
	;;#ASMEND
	;;#ASMSTART
	v_dot2_f32_f16 v1, v108, v128, v1
	;;#ASMEND
	;;#ASMSTART
	v_dot2_f32_f16 v1, v109, v129, v1
	;;#ASMEND
	;;#ASMSTART
	v_dot2_f32_f16 v1, v110, v130, v1
	;;#ASMEND
	s_wait_dscnt 0x1
	;;#ASMSTART
	v_dot2_f32_f16 v2, v107, v131, v2
	;;#ASMEND
	;;#ASMSTART
	v_dot2_f32_f16 v2, v108, v132, v2
	;;#ASMEND
	;;#ASMSTART
	v_dot2_f32_f16 v2, v109, v133, v2
	;;#ASMEND
	;;#ASMSTART
	v_dot2_f32_f16 v2, v110, v134, v2
	;;#ASMEND
	s_wait_dscnt 0x0
	;;#ASMSTART
	v_dot2_f32_f16 v3, v107, v135, v3
	;;#ASMEND
	;;#ASMSTART
	v_dot2_f32_f16 v3, v108, v136, v3
	;;#ASMEND
	;;#ASMSTART
	v_dot2_f32_f16 v3, v109, v137, v3
	;;#ASMEND
	;;#ASMSTART
	v_dot2_f32_f16 v3, v110, v138, v3
	;;#ASMEND
	;;#ASMSTART
	v_dot2_f32_f16 v52, v111, v123, v52
	;;#ASMEND
	;;#ASMSTART
	v_dot2_f32_f16 v52, v112, v124, v52
	;;#ASMEND
	;; [unrolled: 3-line block ×48, first 2 shown]
	ds_load_b128 v[107:110], v73 offset:32
	ds_load_b128 v[111:114], v73 offset:4640
	;; [unrolled: 1-line block ×8, first 2 shown]
	s_wait_dscnt 0x3
	;;#ASMSTART
	v_dot2_f32_f16 v0, v107, v123, v0
	;;#ASMEND
	;;#ASMSTART
	v_dot2_f32_f16 v0, v108, v124, v0
	;;#ASMEND
	;;#ASMSTART
	v_dot2_f32_f16 v0, v109, v125, v0
	;;#ASMEND
	;;#ASMSTART
	v_dot2_f32_f16 v0, v110, v126, v0
	;;#ASMEND
	s_wait_dscnt 0x2
	;;#ASMSTART
	v_dot2_f32_f16 v1, v107, v127, v1
	;;#ASMEND
	;;#ASMSTART
	v_dot2_f32_f16 v1, v108, v128, v1
	;;#ASMEND
	;;#ASMSTART
	v_dot2_f32_f16 v1, v109, v129, v1
	;;#ASMEND
	;;#ASMSTART
	v_dot2_f32_f16 v1, v110, v130, v1
	;;#ASMEND
	;; [unrolled: 13-line block ×4, first 2 shown]
	;;#ASMSTART
	v_dot2_f32_f16 v52, v111, v123, v52
	;;#ASMEND
	;;#ASMSTART
	v_dot2_f32_f16 v52, v112, v124, v52
	;;#ASMEND
	;; [unrolled: 3-line block ×48, first 2 shown]
	ds_load_b128 v[107:110], v73 offset:48
	ds_load_b128 v[111:114], v73 offset:4656
	;; [unrolled: 1-line block ×8, first 2 shown]
	s_wait_dscnt 0x3
	;;#ASMSTART
	v_dot2_f32_f16 v0, v107, v123, v0
	;;#ASMEND
	;;#ASMSTART
	v_dot2_f32_f16 v0, v108, v124, v0
	;;#ASMEND
	;;#ASMSTART
	v_dot2_f32_f16 v0, v109, v125, v0
	;;#ASMEND
	;;#ASMSTART
	v_dot2_f32_f16 v0, v110, v126, v0
	;;#ASMEND
	s_wait_dscnt 0x2
	;;#ASMSTART
	v_dot2_f32_f16 v1, v107, v127, v1
	;;#ASMEND
	;;#ASMSTART
	v_dot2_f32_f16 v1, v108, v128, v1
	;;#ASMEND
	;;#ASMSTART
	v_dot2_f32_f16 v1, v109, v129, v1
	;;#ASMEND
	;;#ASMSTART
	v_dot2_f32_f16 v1, v110, v130, v1
	;;#ASMEND
	;; [unrolled: 13-line block ×4, first 2 shown]
	;;#ASMSTART
	v_dot2_f32_f16 v52, v111, v123, v52
	;;#ASMEND
	;;#ASMSTART
	v_dot2_f32_f16 v52, v112, v124, v52
	;;#ASMEND
	;; [unrolled: 3-line block ×48, first 2 shown]
	ds_load_b128 v[107:110], v73 offset:64
	ds_load_b128 v[111:114], v73 offset:4672
	;; [unrolled: 1-line block ×8, first 2 shown]
	s_wait_dscnt 0x3
	;;#ASMSTART
	v_dot2_f32_f16 v0, v107, v123, v0
	;;#ASMEND
	;;#ASMSTART
	v_dot2_f32_f16 v0, v108, v124, v0
	;;#ASMEND
	;;#ASMSTART
	v_dot2_f32_f16 v0, v109, v125, v0
	;;#ASMEND
	;;#ASMSTART
	v_dot2_f32_f16 v0, v110, v126, v0
	;;#ASMEND
	s_wait_dscnt 0x2
	;;#ASMSTART
	v_dot2_f32_f16 v1, v107, v127, v1
	;;#ASMEND
	;;#ASMSTART
	v_dot2_f32_f16 v1, v108, v128, v1
	;;#ASMEND
	;;#ASMSTART
	v_dot2_f32_f16 v1, v109, v129, v1
	;;#ASMEND
	;;#ASMSTART
	v_dot2_f32_f16 v1, v110, v130, v1
	;;#ASMEND
	;; [unrolled: 13-line block ×4, first 2 shown]
	;;#ASMSTART
	v_dot2_f32_f16 v52, v111, v123, v52
	;;#ASMEND
	;;#ASMSTART
	v_dot2_f32_f16 v52, v112, v124, v52
	;;#ASMEND
	;; [unrolled: 3-line block ×48, first 2 shown]
	ds_load_b128 v[107:110], v73 offset:80
	ds_load_b128 v[111:114], v73 offset:4688
	;; [unrolled: 1-line block ×8, first 2 shown]
	s_wait_dscnt 0x3
	;;#ASMSTART
	v_dot2_f32_f16 v0, v107, v123, v0
	;;#ASMEND
	;;#ASMSTART
	v_dot2_f32_f16 v0, v108, v124, v0
	;;#ASMEND
	;;#ASMSTART
	v_dot2_f32_f16 v0, v109, v125, v0
	;;#ASMEND
	;;#ASMSTART
	v_dot2_f32_f16 v0, v110, v126, v0
	;;#ASMEND
	s_wait_dscnt 0x2
	;;#ASMSTART
	v_dot2_f32_f16 v1, v107, v127, v1
	;;#ASMEND
	;;#ASMSTART
	v_dot2_f32_f16 v1, v108, v128, v1
	;;#ASMEND
	;;#ASMSTART
	v_dot2_f32_f16 v1, v109, v129, v1
	;;#ASMEND
	;;#ASMSTART
	v_dot2_f32_f16 v1, v110, v130, v1
	;;#ASMEND
	s_wait_dscnt 0x1
	;;#ASMSTART
	v_dot2_f32_f16 v2, v107, v131, v2
	;;#ASMEND
	;;#ASMSTART
	v_dot2_f32_f16 v2, v108, v132, v2
	;;#ASMEND
	;;#ASMSTART
	v_dot2_f32_f16 v2, v109, v133, v2
	;;#ASMEND
	;;#ASMSTART
	v_dot2_f32_f16 v2, v110, v134, v2
	;;#ASMEND
	s_wait_dscnt 0x0
	;;#ASMSTART
	v_dot2_f32_f16 v3, v107, v135, v3
	;;#ASMEND
	;;#ASMSTART
	v_dot2_f32_f16 v3, v108, v136, v3
	;;#ASMEND
	;;#ASMSTART
	v_dot2_f32_f16 v3, v109, v137, v3
	;;#ASMEND
	;;#ASMSTART
	v_dot2_f32_f16 v3, v110, v138, v3
	;;#ASMEND
	;;#ASMSTART
	v_dot2_f32_f16 v52, v111, v123, v52
	;;#ASMEND
	;;#ASMSTART
	v_dot2_f32_f16 v52, v112, v124, v52
	;;#ASMEND
	;; [unrolled: 3-line block ×48, first 2 shown]
	ds_load_b128 v[107:110], v73 offset:96
	ds_load_b128 v[111:114], v73 offset:4704
	ds_load_b128 v[115:118], v73 offset:9312
	ds_load_b128 v[119:122], v73 offset:13920
	ds_load_b128 v[123:126], v11 offset:96
	ds_load_b128 v[127:130], v11 offset:224
	ds_load_b128 v[131:134], v11 offset:352
	ds_load_b128 v[135:138], v11 offset:480
	s_wait_dscnt 0x3
	;;#ASMSTART
	v_dot2_f32_f16 v0, v107, v123, v0
	;;#ASMEND
	;;#ASMSTART
	v_dot2_f32_f16 v0, v108, v124, v0
	;;#ASMEND
	;;#ASMSTART
	v_dot2_f32_f16 v0, v109, v125, v0
	;;#ASMEND
	;;#ASMSTART
	v_dot2_f32_f16 v0, v110, v126, v0
	;;#ASMEND
	s_wait_dscnt 0x2
	;;#ASMSTART
	v_dot2_f32_f16 v1, v107, v127, v1
	;;#ASMEND
	;;#ASMSTART
	v_dot2_f32_f16 v1, v108, v128, v1
	;;#ASMEND
	;;#ASMSTART
	v_dot2_f32_f16 v1, v109, v129, v1
	;;#ASMEND
	;;#ASMSTART
	v_dot2_f32_f16 v1, v110, v130, v1
	;;#ASMEND
	;; [unrolled: 13-line block ×4, first 2 shown]
	;;#ASMSTART
	v_dot2_f32_f16 v52, v111, v123, v52
	;;#ASMEND
	;;#ASMSTART
	v_dot2_f32_f16 v52, v112, v124, v52
	;;#ASMEND
	;; [unrolled: 3-line block ×48, first 2 shown]
	ds_load_b128 v[107:110], v73 offset:112
	ds_load_b128 v[111:114], v73 offset:4720
	;; [unrolled: 1-line block ×8, first 2 shown]
	s_wait_dscnt 0x3
	;;#ASMSTART
	v_dot2_f32_f16 v0, v107, v123, v0
	;;#ASMEND
	;;#ASMSTART
	v_dot2_f32_f16 v0, v108, v124, v0
	;;#ASMEND
	;;#ASMSTART
	v_dot2_f32_f16 v0, v109, v125, v0
	;;#ASMEND
	;;#ASMSTART
	v_dot2_f32_f16 v0, v110, v126, v0
	;;#ASMEND
	s_wait_dscnt 0x2
	;;#ASMSTART
	v_dot2_f32_f16 v1, v107, v127, v1
	;;#ASMEND
	;;#ASMSTART
	v_dot2_f32_f16 v1, v108, v128, v1
	;;#ASMEND
	;;#ASMSTART
	v_dot2_f32_f16 v1, v109, v129, v1
	;;#ASMEND
	;;#ASMSTART
	v_dot2_f32_f16 v1, v110, v130, v1
	;;#ASMEND
	;; [unrolled: 13-line block ×4, first 2 shown]
	;;#ASMSTART
	v_dot2_f32_f16 v52, v111, v123, v52
	;;#ASMEND
	;;#ASMSTART
	v_dot2_f32_f16 v52, v112, v124, v52
	;;#ASMEND
	;; [unrolled: 3-line block ×24, first 2 shown]
	s_wait_alu 0xfffd
	v_cndmask_b32_e32 v108, v56, v65, vcc_lo
	v_cmp_gt_i32_e32 vcc_lo, 32, v62
	v_add_nc_u32_e32 v107, s10, v4
	;;#ASMSTART
	v_dot2_f32_f16 v53, v115, v131, v53
	;;#ASMEND
	;;#ASMSTART
	v_dot2_f32_f16 v53, v116, v132, v53
	;;#ASMEND
	s_wait_alu 0xfffd
	v_dual_cndmask_b32 v108, v56, v62 :: v_dual_lshlrev_b32 v109, 2, v108
	v_cmp_gt_i32_e32 vcc_lo, 32, v61
	;;#ASMSTART
	v_dot2_f32_f16 v53, v117, v133, v53
	;;#ASMEND
	;;#ASMSTART
	v_dot2_f32_f16 v53, v118, v134, v53
	;;#ASMEND
	;;#ASMSTART
	v_dot2_f32_f16 v51, v115, v135, v51
	;;#ASMEND
	v_lshlrev_b32_e32 v110, 2, v108
	s_wait_alu 0xfffd
	v_cndmask_b32_e32 v108, v56, v61, vcc_lo
	v_cmp_gt_i32_e32 vcc_lo, 32, v60
	;;#ASMSTART
	v_dot2_f32_f16 v51, v116, v136, v51
	;;#ASMEND
	;;#ASMSTART
	v_dot2_f32_f16 v51, v117, v137, v51
	;;#ASMEND
	;;#ASMSTART
	v_dot2_f32_f16 v51, v118, v138, v51
	;;#ASMEND
	v_lshlrev_b32_e32 v111, 2, v108
	s_wait_alu 0xfffd
	v_cndmask_b32_e32 v108, v56, v60, vcc_lo
	;; [unrolled: 13-line block ×3, first 2 shown]
	;;#ASMSTART
	v_dot2_f32_f16 v106, v122, v126, v106
	;;#ASMEND
	;;#ASMSTART
	v_dot2_f32_f16 v102, v119, v127, v102
	;;#ASMEND
	;; [unrolled: 3-line block ×4, first 2 shown]
	v_lshlrev_b32_e32 v113, 2, v108
	v_ashrrev_i32_e32 v108, 31, v107
	;;#ASMSTART
	v_dot2_f32_f16 v102, v122, v130, v102
	;;#ASMEND
	;;#ASMSTART
	v_dot2_f32_f16 v101, v119, v131, v101
	;;#ASMEND
	;; [unrolled: 3-line block ×4, first 2 shown]
	v_lshlrev_b64_e32 v[107:108], 1, v[107:108]
	;;#ASMSTART
	v_dot2_f32_f16 v101, v122, v134, v101
	;;#ASMEND
	;;#ASMSTART
	v_dot2_f32_f16 v55, v119, v135, v55
	;;#ASMEND
	;; [unrolled: 3-line block ×5, first 2 shown]
	v_add_co_u32 v107, vcc_lo, s34, v107
	s_wait_alu 0xfffd
	v_add_co_ci_u32_e64 v108, null, s35, v108, vcc_lo
	s_clause 0x1
	global_load_u16 v114, v[107:108], off
	global_load_u16 v116, v[107:108], off offset:64
	s_wait_loadcnt 0x1
	v_cvt_f32_f16_e32 v114, v114
	s_wait_loadcnt 0x0
	v_cvt_f32_f16_e32 v116, v116
	s_delay_alu instid0(VALU_DEP_2) | instskip(NEXT) | instid1(VALU_DEP_2)
	v_add_f32_e32 v115, v0, v114
	v_add_f32_e32 v117, v52, v116
	v_dual_add_f32 v122, v49, v116 :: v_dual_add_f32 v121, v2, v114
	s_delay_alu instid0(VALU_DEP_3) | instskip(NEXT) | instid1(VALU_DEP_2)
	v_add_f32_e32 v0, 0x40051340, v115
	v_dual_add_f32 v52, 0x40051340, v117 :: v_dual_add_f32 v49, 0x40051340, v122
	s_delay_alu instid0(VALU_DEP_3) | instskip(NEXT) | instid1(VALU_DEP_2)
	v_add_f32_e32 v2, 0x40051340, v121
	v_max3_num_f32 v0, v47, v0, v52
	s_clause 0x1
	global_load_u16 v52, v[107:108], off offset:128
	global_load_u16 v107, v[107:108], off offset:192
	s_wait_loadcnt 0x0
	s_barrier_signal -1
	s_barrier_wait -1
	global_inv scope:SCOPE_SE
	v_max3_num_f32 v2, v43, v2, v49
	v_cvt_f32_f16_e32 v52, v52
	v_cvt_f32_f16_e32 v107, v107
	s_delay_alu instid0(VALU_DEP_2) | instskip(NEXT) | instid1(VALU_DEP_2)
	v_add_f32_e32 v100, v100, v52
	v_dual_add_f32 v106, v106, v107 :: v_dual_add_f32 v123, v53, v52
	v_add_f32_e32 v119, v54, v52
	v_add_f32_e32 v120, v102, v107
	s_delay_alu instid0(VALU_DEP_4) | instskip(NEXT) | instid1(VALU_DEP_4)
	v_add_f32_e32 v118, 0x40051340, v100
	v_dual_add_f32 v108, 0x40051340, v106 :: v_dual_add_f32 v49, 0x40051340, v123
	v_add_f32_e32 v53, v48, v116
	s_delay_alu instid0(VALU_DEP_4) | instskip(SKIP_1) | instid1(VALU_DEP_4)
	v_add_f32_e32 v54, 0x40051340, v120
	v_add_f32_e32 v102, v101, v107
	v_max3_num_f32 v0, v0, v118, v108
	v_add_f32_e32 v118, v50, v116
	v_add_f32_e32 v48, 0x40051340, v53
	v_add_f32_e32 v52, v51, v52
	ds_bpermute_b32 v108, v109, v0
	v_add_f32_e32 v50, 0x40051340, v118
	s_wait_dscnt 0x0
	v_max_num_f32_e32 v108, v108, v108
	s_delay_alu instid0(VALU_DEP_1) | instskip(SKIP_3) | instid1(VALU_DEP_1)
	v_max_num_f32_e32 v0, v0, v108
	ds_bpermute_b32 v108, v110, v0
	s_wait_dscnt 0x0
	v_max_num_f32_e32 v108, v108, v108
	v_max_num_f32_e32 v0, v0, v108
	ds_bpermute_b32 v108, v111, v0
	s_wait_dscnt 0x0
	v_max_num_f32_e32 v108, v108, v108
	s_delay_alu instid0(VALU_DEP_1) | instskip(SKIP_3) | instid1(VALU_DEP_1)
	v_max_num_f32_e32 v0, v0, v108
	ds_bpermute_b32 v108, v112, v0
	s_wait_dscnt 0x0
	v_max_num_f32_e32 v108, v108, v108
	v_max_num_f32_e32 v0, v0, v108
	ds_bpermute_b32 v108, v113, v0
	s_wait_dscnt 0x0
	v_max_num_f32_e32 v108, v108, v108
	s_delay_alu instid0(VALU_DEP_1) | instskip(SKIP_1) | instid1(VALU_DEP_1)
	v_max_num_f32_e32 v0, v0, v108
	v_add_f32_e32 v108, v1, v114
	v_add_f32_e32 v1, 0x40051340, v108
	s_delay_alu instid0(VALU_DEP_1) | instskip(SKIP_1) | instid1(VALU_DEP_1)
	v_max3_num_f32 v1, v45, v1, v50
	v_add_f32_e32 v50, 0x40051340, v119
	v_max3_num_f32 v1, v1, v50, v54
	v_add_f32_e32 v54, v3, v114
	ds_bpermute_b32 v50, v109, v1
	v_add_f32_e32 v3, 0x40051340, v54
	s_delay_alu instid0(VALU_DEP_1) | instskip(SKIP_3) | instid1(VALU_DEP_1)
	v_max3_num_f32 v3, v41, v3, v48
	v_add_f32_e32 v48, 0x40051340, v52
	s_wait_dscnt 0x0
	v_max_num_f32_e32 v50, v50, v50
	v_max_num_f32_e32 v1, v1, v50
	ds_bpermute_b32 v50, v110, v1
	s_wait_dscnt 0x0
	v_max_num_f32_e32 v50, v50, v50
	s_delay_alu instid0(VALU_DEP_1) | instskip(SKIP_3) | instid1(VALU_DEP_1)
	v_max_num_f32_e32 v1, v1, v50
	ds_bpermute_b32 v50, v111, v1
	s_wait_dscnt 0x0
	v_max_num_f32_e32 v50, v50, v50
	v_max_num_f32_e32 v1, v1, v50
	ds_bpermute_b32 v50, v112, v1
	s_wait_dscnt 0x0
	v_max_num_f32_e32 v50, v50, v50
	s_delay_alu instid0(VALU_DEP_1) | instskip(SKIP_3) | instid1(VALU_DEP_1)
	v_max_num_f32_e32 v1, v1, v50
	ds_bpermute_b32 v50, v113, v1
	s_wait_dscnt 0x0
	v_max_num_f32_e32 v50, v50, v50
	v_max_num_f32_e32 v1, v1, v50
	v_add_f32_e32 v50, 0x40051340, v102
	s_delay_alu instid0(VALU_DEP_1) | instskip(SKIP_4) | instid1(VALU_DEP_1)
	v_max3_num_f32 v2, v2, v49, v50
	v_add_f32_e32 v50, v55, v107
	ds_bpermute_b32 v49, v109, v2
	s_wait_dscnt 0x0
	v_max_num_f32_e32 v49, v49, v49
	v_max_num_f32_e32 v2, v2, v49
	ds_bpermute_b32 v49, v110, v2
	s_wait_dscnt 0x0
	v_max_num_f32_e32 v49, v49, v49
	s_delay_alu instid0(VALU_DEP_1) | instskip(SKIP_3) | instid1(VALU_DEP_1)
	v_max_num_f32_e32 v2, v2, v49
	ds_bpermute_b32 v49, v111, v2
	s_wait_dscnt 0x0
	v_max_num_f32_e32 v49, v49, v49
	v_max_num_f32_e32 v2, v2, v49
	ds_bpermute_b32 v49, v112, v2
	s_wait_dscnt 0x0
	v_max_num_f32_e32 v49, v49, v49
	s_delay_alu instid0(VALU_DEP_1) | instskip(SKIP_3) | instid1(VALU_DEP_1)
	v_max_num_f32_e32 v2, v2, v49
	ds_bpermute_b32 v49, v113, v2
	s_wait_dscnt 0x0
	v_max_num_f32_e32 v49, v49, v49
	v_dual_max_num_f32 v2, v2, v49 :: v_dual_add_f32 v49, 0x40051340, v50
	v_sub_f32_e32 v55, v47, v0
	v_sub_f32_e32 v47, v115, v0
	s_delay_alu instid0(VALU_DEP_3) | instskip(NEXT) | instid1(VALU_DEP_2)
	v_max3_num_f32 v3, v3, v48, v49
	v_cmp_ngt_f32_e32 vcc_lo, 0xc2ce8ed0, v47
	ds_bpermute_b32 v48, v109, v3
	s_wait_dscnt 0x0
	v_max_num_f32_e32 v48, v48, v48
	s_delay_alu instid0(VALU_DEP_1) | instskip(SKIP_3) | instid1(VALU_DEP_1)
	v_max_num_f32_e32 v3, v3, v48
	ds_bpermute_b32 v48, v110, v3
	s_wait_dscnt 0x0
	v_max_num_f32_e32 v48, v48, v48
	v_max_num_f32_e32 v3, v3, v48
	ds_bpermute_b32 v48, v111, v3
	s_wait_dscnt 0x0
	v_max_num_f32_e32 v48, v48, v48
	s_delay_alu instid0(VALU_DEP_1) | instskip(SKIP_3) | instid1(VALU_DEP_1)
	v_max_num_f32_e32 v3, v3, v48
	ds_bpermute_b32 v48, v112, v3
	s_wait_dscnt 0x0
	v_max_num_f32_e32 v48, v48, v48
	v_max_num_f32_e32 v3, v3, v48
	ds_bpermute_b32 v48, v113, v3
	s_wait_dscnt 0x0
	v_max_num_f32_e32 v48, v48, v48
	s_delay_alu instid0(VALU_DEP_1) | instskip(NEXT) | instid1(VALU_DEP_1)
	v_dual_max_num_f32 v3, v3, v48 :: v_dual_mul_f32 v48, 0x3fb8aa3b, v47
	v_sub_f32_e32 v41, v41, v3
	s_delay_alu instid0(VALU_DEP_2) | instskip(SKIP_2) | instid1(VALU_DEP_3)
	v_fma_f32 v49, 0x3fb8aa3b, v47, -v48
	v_rndne_f32_e32 v51, v48
	v_sub_f32_e32 v53, v53, v3
	v_fmac_f32_e32 v49, 0x32a5705f, v47
	s_delay_alu instid0(VALU_DEP_3) | instskip(NEXT) | instid1(VALU_DEP_1)
	v_sub_f32_e32 v48, v48, v51
	v_add_f32_e32 v48, v48, v49
	v_cvt_i32_f32_e32 v49, v51
	s_delay_alu instid0(VALU_DEP_2) | instskip(NEXT) | instid1(TRANS32_DEP_1)
	v_exp_f32_e32 v48, v48
	v_ldexp_f32 v48, v48, v49
	s_wait_alu 0xfffd
	s_delay_alu instid0(VALU_DEP_1) | instskip(SKIP_2) | instid1(VALU_DEP_2)
	v_cndmask_b32_e32 v48, 0, v48, vcc_lo
	v_cmp_nlt_f32_e32 vcc_lo, 0x42b17218, v47
	s_wait_alu 0xfffd
	v_cndmask_b32_e32 v47, 0x7f800000, v48, vcc_lo
	v_sub_f32_e32 v48, v117, v0
	s_delay_alu instid0(VALU_DEP_2) | instskip(NEXT) | instid1(VALU_DEP_2)
	v_cvt_f16_f32_e32 v51, v47
	v_mul_f32_e32 v49, 0x3fb8aa3b, v48
	v_cmp_ngt_f32_e32 vcc_lo, 0xc2ce8ed0, v48
	s_delay_alu instid0(VALU_DEP_2) | instskip(SKIP_1) | instid1(VALU_DEP_2)
	v_fma_f32 v101, 0x3fb8aa3b, v48, -v49
	v_rndne_f32_e32 v107, v49
	v_fmac_f32_e32 v101, 0x32a5705f, v48
	s_delay_alu instid0(VALU_DEP_2) | instskip(NEXT) | instid1(VALU_DEP_1)
	v_sub_f32_e32 v49, v49, v107
	v_add_f32_e32 v49, v49, v101
	v_cvt_i32_f32_e32 v101, v107
	s_delay_alu instid0(VALU_DEP_2) | instskip(NEXT) | instid1(TRANS32_DEP_1)
	v_exp_f32_e32 v49, v49
	v_ldexp_f32 v49, v49, v101
	s_wait_alu 0xfffd
	s_delay_alu instid0(VALU_DEP_1) | instskip(SKIP_2) | instid1(VALU_DEP_2)
	v_cndmask_b32_e32 v49, 0, v49, vcc_lo
	v_cmp_nlt_f32_e32 vcc_lo, 0x42b17218, v48
	s_wait_alu 0xfffd
	v_cndmask_b32_e32 v48, 0x7f800000, v49, vcc_lo
	s_delay_alu instid0(VALU_DEP_1) | instskip(SKIP_2) | instid1(VALU_DEP_1)
	v_add_f32_e32 v47, v47, v48
	v_cvt_f16_f32_e32 v49, v48
	v_sub_f32_e32 v48, v100, v0
	v_mul_f32_e32 v100, 0x3fb8aa3b, v48
	v_cmp_ngt_f32_e32 vcc_lo, 0xc2ce8ed0, v48
	s_delay_alu instid0(VALU_DEP_2) | instskip(SKIP_1) | instid1(VALU_DEP_1)
	v_fma_f32 v101, 0x3fb8aa3b, v48, -v100
	v_rndne_f32_e32 v107, v100
	v_dual_fmac_f32 v101, 0x32a5705f, v48 :: v_dual_sub_f32 v100, v100, v107
	s_delay_alu instid0(VALU_DEP_1) | instskip(SKIP_1) | instid1(VALU_DEP_2)
	v_add_f32_e32 v100, v100, v101
	v_cvt_i32_f32_e32 v101, v107
	v_exp_f32_e32 v100, v100
	s_delay_alu instid0(TRANS32_DEP_1) | instskip(SKIP_1) | instid1(VALU_DEP_1)
	v_ldexp_f32 v100, v100, v101
	s_wait_alu 0xfffd
	v_cndmask_b32_e32 v100, 0, v100, vcc_lo
	v_cmp_nlt_f32_e32 vcc_lo, 0x42b17218, v48
	s_wait_alu 0xfffd
	s_delay_alu instid0(VALU_DEP_2) | instskip(NEXT) | instid1(VALU_DEP_1)
	v_cndmask_b32_e32 v48, 0x7f800000, v100, vcc_lo
	v_dual_sub_f32 v100, v106, v0 :: v_dual_add_f32 v47, v48, v47
	s_delay_alu instid0(VALU_DEP_1) | instskip(SKIP_1) | instid1(VALU_DEP_2)
	v_mul_f32_e32 v101, 0x3fb8aa3b, v100
	v_cmp_ngt_f32_e32 vcc_lo, 0xc2ce8ed0, v100
	v_fma_f32 v106, 0x3fb8aa3b, v100, -v101
	v_rndne_f32_e32 v107, v101
	s_delay_alu instid0(VALU_DEP_1) | instskip(SKIP_2) | instid1(VALU_DEP_3)
	v_dual_fmac_f32 v106, 0x32a5705f, v100 :: v_dual_sub_f32 v101, v101, v107
	v_sub_f32_e32 v43, v43, v2
	v_sub_f32_e32 v102, v102, v2
	v_add_f32_e32 v101, v101, v106
	v_cvt_i32_f32_e32 v106, v107
	s_delay_alu instid0(VALU_DEP_2) | instskip(NEXT) | instid1(TRANS32_DEP_1)
	v_exp_f32_e32 v101, v101
	v_ldexp_f32 v101, v101, v106
	s_wait_alu 0xfffd
	s_delay_alu instid0(VALU_DEP_1) | instskip(SKIP_2) | instid1(VALU_DEP_2)
	v_cndmask_b32_e32 v101, 0, v101, vcc_lo
	v_cmp_nlt_f32_e32 vcc_lo, 0x42b17218, v100
	s_wait_alu 0xfffd
	v_cndmask_b32_e32 v101, 0x7f800000, v101, vcc_lo
	v_cmp_ngt_f32_e32 vcc_lo, 0xc2ce8ed0, v55
	v_sub_f32_e32 v52, v52, v3
	s_delay_alu instid0(VALU_DEP_3) | instskip(SKIP_2) | instid1(VALU_DEP_1)
	v_add_f32_e32 v100, v101, v47
	v_cvt_f16_f32_e32 v47, v101
	v_mul_f32_e32 v101, 0x3fb8aa3b, v55
	v_fma_f32 v106, 0x3fb8aa3b, v55, -v101
	v_rndne_f32_e32 v107, v101
	s_delay_alu instid0(VALU_DEP_2) | instskip(NEXT) | instid1(VALU_DEP_2)
	v_fmac_f32_e32 v106, 0x32a5705f, v55
	v_sub_f32_e32 v101, v101, v107
	s_delay_alu instid0(VALU_DEP_1) | instskip(SKIP_3) | instid1(VALU_DEP_4)
	v_add_f32_e32 v101, v101, v106
	v_cvt_i32_f32_e32 v106, v107
	v_sub_f32_e32 v107, v45, v1
	v_dual_sub_f32 v45, v108, v1 :: v_dual_sub_f32 v50, v50, v3
	v_exp_f32_e32 v101, v101
	s_delay_alu instid0(TRANS32_DEP_1) | instskip(SKIP_1) | instid1(VALU_DEP_1)
	v_ldexp_f32 v101, v101, v106
	s_wait_alu 0xfffd
	v_cndmask_b32_e32 v101, 0, v101, vcc_lo
	v_cmp_nlt_f32_e32 vcc_lo, 0x42b17218, v55
	s_wait_alu 0xfffd
	s_delay_alu instid0(VALU_DEP_2) | instskip(SKIP_1) | instid1(VALU_DEP_2)
	v_cndmask_b32_e32 v55, 0x7f800000, v101, vcc_lo
	v_cmp_ngt_f32_e32 vcc_lo, 0xc2ce8ed0, v45
	v_fmac_f32_e32 v100, v46, v55
	v_cvt_f16_f32_e32 v46, v55
	s_delay_alu instid0(VALU_DEP_1) | instskip(NEXT) | instid1(VALU_DEP_1)
	v_and_b32_e32 v46, 0xffff, v46
	v_mul_u32_u24_e32 v106, 0x10001, v46
	v_mul_f32_e32 v46, 0x3fb8aa3b, v45
	s_delay_alu instid0(VALU_DEP_1) | instskip(SKIP_1) | instid1(VALU_DEP_2)
	v_fma_f32 v55, 0x3fb8aa3b, v45, -v46
	v_rndne_f32_e32 v101, v46
	v_fmac_f32_e32 v55, 0x32a5705f, v45
	s_delay_alu instid0(VALU_DEP_2) | instskip(NEXT) | instid1(VALU_DEP_1)
	v_sub_f32_e32 v46, v46, v101
	v_add_f32_e32 v46, v46, v55
	v_cvt_i32_f32_e32 v55, v101
	s_delay_alu instid0(VALU_DEP_2) | instskip(NEXT) | instid1(TRANS32_DEP_1)
	v_exp_f32_e32 v46, v46
	v_ldexp_f32 v46, v46, v55
	s_wait_alu 0xfffd
	s_delay_alu instid0(VALU_DEP_1) | instskip(SKIP_2) | instid1(VALU_DEP_2)
	v_cndmask_b32_e32 v46, 0, v46, vcc_lo
	v_cmp_nlt_f32_e32 vcc_lo, 0x42b17218, v45
	s_wait_alu 0xfffd
	v_dual_cndmask_b32 v45, 0x7f800000, v46 :: v_dual_sub_f32 v46, v118, v1
	s_delay_alu instid0(VALU_DEP_1) | instskip(NEXT) | instid1(VALU_DEP_2)
	v_cvt_f16_f32_e32 v110, v45
	v_mul_f32_e32 v55, 0x3fb8aa3b, v46
	v_cmp_ngt_f32_e32 vcc_lo, 0xc2ce8ed0, v46
	s_delay_alu instid0(VALU_DEP_2) | instskip(SKIP_1) | instid1(VALU_DEP_2)
	v_fma_f32 v101, 0x3fb8aa3b, v46, -v55
	v_rndne_f32_e32 v108, v55
	v_fmac_f32_e32 v101, 0x32a5705f, v46
	s_delay_alu instid0(VALU_DEP_2) | instskip(NEXT) | instid1(VALU_DEP_1)
	v_sub_f32_e32 v55, v55, v108
	v_add_f32_e32 v55, v55, v101
	v_cvt_i32_f32_e32 v101, v108
	s_delay_alu instid0(VALU_DEP_2) | instskip(NEXT) | instid1(TRANS32_DEP_1)
	v_exp_f32_e32 v55, v55
	v_ldexp_f32 v55, v55, v101
	s_wait_alu 0xfffd
	s_delay_alu instid0(VALU_DEP_1) | instskip(SKIP_2) | instid1(VALU_DEP_2)
	v_cndmask_b32_e32 v55, 0, v55, vcc_lo
	v_cmp_nlt_f32_e32 vcc_lo, 0x42b17218, v46
	s_wait_alu 0xfffd
	v_cndmask_b32_e32 v46, 0x7f800000, v55, vcc_lo
	s_delay_alu instid0(VALU_DEP_1) | instskip(SKIP_2) | instid1(VALU_DEP_1)
	v_add_f32_e32 v45, v45, v46
	v_cvt_f16_f32_e32 v55, v46
	v_sub_f32_e32 v46, v119, v1
	v_mul_f32_e32 v101, 0x3fb8aa3b, v46
	v_cmp_ngt_f32_e32 vcc_lo, 0xc2ce8ed0, v46
	s_delay_alu instid0(VALU_DEP_2) | instskip(SKIP_1) | instid1(VALU_DEP_1)
	v_fma_f32 v108, 0x3fb8aa3b, v46, -v101
	v_rndne_f32_e32 v109, v101
	v_dual_fmac_f32 v108, 0x32a5705f, v46 :: v_dual_sub_f32 v101, v101, v109
	s_delay_alu instid0(VALU_DEP_1) | instskip(SKIP_1) | instid1(VALU_DEP_2)
	v_add_f32_e32 v101, v101, v108
	v_cvt_i32_f32_e32 v108, v109
	v_exp_f32_e32 v101, v101
	s_delay_alu instid0(TRANS32_DEP_1) | instskip(SKIP_1) | instid1(VALU_DEP_1)
	v_ldexp_f32 v101, v101, v108
	s_wait_alu 0xfffd
	v_cndmask_b32_e32 v101, 0, v101, vcc_lo
	v_cmp_nlt_f32_e32 vcc_lo, 0x42b17218, v46
	s_wait_alu 0xfffd
	s_delay_alu instid0(VALU_DEP_2) | instskip(SKIP_1) | instid1(VALU_DEP_2)
	v_cndmask_b32_e32 v46, 0x7f800000, v101, vcc_lo
	v_sub_f32_e32 v101, v120, v1
	v_add_f32_e32 v45, v46, v45
	s_delay_alu instid0(VALU_DEP_2) | instskip(SKIP_2) | instid1(VALU_DEP_3)
	v_mul_f32_e32 v108, 0x3fb8aa3b, v101
	v_cmp_ngt_f32_e32 vcc_lo, 0xc2ce8ed0, v101
	v_cvt_f16_f32_e32 v48, v48
	v_fma_f32 v109, 0x3fb8aa3b, v101, -v108
	v_rndne_f32_e32 v111, v108
	s_delay_alu instid0(VALU_DEP_1) | instskip(NEXT) | instid1(VALU_DEP_1)
	v_dual_fmac_f32 v109, 0x32a5705f, v101 :: v_dual_sub_f32 v108, v108, v111
	v_add_f32_e32 v108, v108, v109
	v_cvt_i32_f32_e32 v109, v111
	s_delay_alu instid0(VALU_DEP_2) | instskip(NEXT) | instid1(TRANS32_DEP_1)
	v_exp_f32_e32 v108, v108
	v_ldexp_f32 v108, v108, v109
	s_wait_alu 0xfffd
	s_delay_alu instid0(VALU_DEP_1) | instskip(SKIP_2) | instid1(VALU_DEP_2)
	v_cndmask_b32_e32 v108, 0, v108, vcc_lo
	v_cmp_nlt_f32_e32 vcc_lo, 0x42b17218, v101
	s_wait_alu 0xfffd
	v_cndmask_b32_e32 v108, 0x7f800000, v108, vcc_lo
	v_cmp_ngt_f32_e32 vcc_lo, 0xc2ce8ed0, v107
	s_delay_alu instid0(VALU_DEP_2) | instskip(SKIP_2) | instid1(VALU_DEP_1)
	v_add_f32_e32 v101, v108, v45
	v_cvt_f16_f32_e32 v45, v108
	v_mul_f32_e32 v108, 0x3fb8aa3b, v107
	v_fma_f32 v109, 0x3fb8aa3b, v107, -v108
	v_rndne_f32_e32 v111, v108
	s_delay_alu instid0(VALU_DEP_2) | instskip(NEXT) | instid1(VALU_DEP_2)
	v_fmac_f32_e32 v109, 0x32a5705f, v107
	v_sub_f32_e32 v108, v108, v111
	s_delay_alu instid0(VALU_DEP_1) | instskip(SKIP_1) | instid1(VALU_DEP_2)
	v_add_f32_e32 v108, v108, v109
	v_cvt_i32_f32_e32 v109, v111
	v_exp_f32_e32 v108, v108
	s_delay_alu instid0(TRANS32_DEP_1) | instskip(SKIP_1) | instid1(VALU_DEP_1)
	v_ldexp_f32 v108, v108, v109
	s_wait_alu 0xfffd
	v_cndmask_b32_e32 v108, 0, v108, vcc_lo
	v_cmp_nlt_f32_e32 vcc_lo, 0x42b17218, v107
	s_wait_alu 0xfffd
	s_delay_alu instid0(VALU_DEP_2) | instskip(NEXT) | instid1(VALU_DEP_1)
	v_cndmask_b32_e32 v107, 0x7f800000, v108, vcc_lo
	v_fmac_f32_e32 v101, v44, v107
	v_cvt_f16_f32_e32 v44, v107
	s_delay_alu instid0(VALU_DEP_1) | instskip(NEXT) | instid1(VALU_DEP_1)
	v_and_b32_e32 v44, 0xffff, v44
	v_mul_u32_u24_e32 v107, 0x10001, v44
	v_sub_f32_e32 v44, v121, v2
	s_delay_alu instid0(VALU_DEP_1) | instskip(SKIP_1) | instid1(VALU_DEP_2)
	v_mul_f32_e32 v108, 0x3fb8aa3b, v44
	v_cmp_ngt_f32_e32 vcc_lo, 0xc2ce8ed0, v44
	v_fma_f32 v109, 0x3fb8aa3b, v44, -v108
	v_rndne_f32_e32 v111, v108
	s_delay_alu instid0(VALU_DEP_1) | instskip(NEXT) | instid1(VALU_DEP_1)
	v_dual_fmac_f32 v109, 0x32a5705f, v44 :: v_dual_sub_f32 v108, v108, v111
	v_add_f32_e32 v108, v108, v109
	v_cvt_i32_f32_e32 v109, v111
	s_delay_alu instid0(VALU_DEP_2) | instskip(NEXT) | instid1(TRANS32_DEP_1)
	v_exp_f32_e32 v108, v108
	v_ldexp_f32 v108, v108, v109
	s_wait_alu 0xfffd
	s_delay_alu instid0(VALU_DEP_1) | instskip(SKIP_2) | instid1(VALU_DEP_2)
	v_cndmask_b32_e32 v108, 0, v108, vcc_lo
	v_cmp_nlt_f32_e32 vcc_lo, 0x42b17218, v44
	s_wait_alu 0xfffd
	v_cndmask_b32_e32 v44, 0x7f800000, v108, vcc_lo
	v_sub_f32_e32 v108, v122, v2
	s_delay_alu instid0(VALU_DEP_2) | instskip(NEXT) | instid1(VALU_DEP_2)
	v_cvt_f16_f32_e32 v111, v44
	v_mul_f32_e32 v109, 0x3fb8aa3b, v108
	v_cmp_ngt_f32_e32 vcc_lo, 0xc2ce8ed0, v108
	s_delay_alu instid0(VALU_DEP_2) | instskip(SKIP_1) | instid1(VALU_DEP_1)
	v_fma_f32 v112, 0x3fb8aa3b, v108, -v109
	v_rndne_f32_e32 v113, v109
	v_dual_fmac_f32 v112, 0x32a5705f, v108 :: v_dual_sub_f32 v109, v109, v113
	s_delay_alu instid0(VALU_DEP_1) | instskip(SKIP_1) | instid1(VALU_DEP_2)
	v_add_f32_e32 v109, v109, v112
	v_cvt_i32_f32_e32 v112, v113
	v_exp_f32_e32 v109, v109
	s_delay_alu instid0(TRANS32_DEP_1) | instskip(SKIP_1) | instid1(VALU_DEP_1)
	v_ldexp_f32 v109, v109, v112
	s_wait_alu 0xfffd
	v_cndmask_b32_e32 v109, 0, v109, vcc_lo
	v_cmp_nlt_f32_e32 vcc_lo, 0x42b17218, v108
	s_wait_alu 0xfffd
	s_delay_alu instid0(VALU_DEP_2) | instskip(NEXT) | instid1(VALU_DEP_1)
	v_cndmask_b32_e32 v108, 0x7f800000, v109, vcc_lo
	v_add_f32_e32 v44, v44, v108
	v_cvt_f16_f32_e32 v112, v108
	v_sub_f32_e32 v108, v123, v2
	s_delay_alu instid0(VALU_DEP_1) | instskip(SKIP_1) | instid1(VALU_DEP_2)
	v_mul_f32_e32 v109, 0x3fb8aa3b, v108
	v_cmp_ngt_f32_e32 vcc_lo, 0xc2ce8ed0, v108
	v_fma_f32 v113, 0x3fb8aa3b, v108, -v109
	v_rndne_f32_e32 v114, v109
	s_delay_alu instid0(VALU_DEP_2) | instskip(NEXT) | instid1(VALU_DEP_2)
	v_fmac_f32_e32 v113, 0x32a5705f, v108
	v_sub_f32_e32 v109, v109, v114
	v_cvt_f16_f32_e32 v46, v46
	s_delay_alu instid0(VALU_DEP_2) | instskip(SKIP_1) | instid1(VALU_DEP_2)
	v_add_f32_e32 v109, v109, v113
	v_cvt_i32_f32_e32 v113, v114
	v_exp_f32_e32 v109, v109
	s_delay_alu instid0(TRANS32_DEP_1) | instskip(SKIP_1) | instid1(VALU_DEP_1)
	v_ldexp_f32 v109, v109, v113
	s_wait_alu 0xfffd
	v_cndmask_b32_e32 v109, 0, v109, vcc_lo
	v_cmp_nlt_f32_e32 vcc_lo, 0x42b17218, v108
	s_wait_alu 0xfffd
	s_delay_alu instid0(VALU_DEP_2) | instskip(SKIP_1) | instid1(VALU_DEP_2)
	v_cndmask_b32_e32 v108, 0x7f800000, v109, vcc_lo
	v_cmp_ngt_f32_e32 vcc_lo, 0xc2ce8ed0, v102
	v_add_f32_e32 v44, v108, v44
	v_cvt_f16_f32_e32 v113, v108
	v_mul_f32_e32 v108, 0x3fb8aa3b, v102
	s_delay_alu instid0(VALU_DEP_1) | instskip(SKIP_1) | instid1(VALU_DEP_2)
	v_fma_f32 v109, 0x3fb8aa3b, v102, -v108
	v_rndne_f32_e32 v114, v108
	v_fmac_f32_e32 v109, 0x32a5705f, v102
	s_delay_alu instid0(VALU_DEP_2) | instskip(NEXT) | instid1(VALU_DEP_1)
	v_sub_f32_e32 v108, v108, v114
	v_add_f32_e32 v108, v108, v109
	v_cvt_i32_f32_e32 v109, v114
	s_delay_alu instid0(VALU_DEP_2) | instskip(NEXT) | instid1(TRANS32_DEP_1)
	v_exp_f32_e32 v108, v108
	v_ldexp_f32 v108, v108, v109
	s_wait_alu 0xfffd
	s_delay_alu instid0(VALU_DEP_1) | instskip(SKIP_2) | instid1(VALU_DEP_2)
	v_cndmask_b32_e32 v108, 0, v108, vcc_lo
	v_cmp_nlt_f32_e32 vcc_lo, 0x42b17218, v102
	s_wait_alu 0xfffd
	v_cndmask_b32_e32 v108, 0x7f800000, v108, vcc_lo
	v_cmp_ngt_f32_e32 vcc_lo, 0xc2ce8ed0, v43
	s_delay_alu instid0(VALU_DEP_2) | instskip(SKIP_2) | instid1(VALU_DEP_1)
	v_add_f32_e32 v102, v108, v44
	v_cvt_f16_f32_e32 v44, v108
	v_mul_f32_e32 v108, 0x3fb8aa3b, v43
	v_fma_f32 v109, 0x3fb8aa3b, v43, -v108
	v_rndne_f32_e32 v114, v108
	s_delay_alu instid0(VALU_DEP_1) | instskip(NEXT) | instid1(VALU_DEP_1)
	v_dual_fmac_f32 v109, 0x32a5705f, v43 :: v_dual_sub_f32 v108, v108, v114
	v_add_f32_e32 v108, v108, v109
	v_cvt_i32_f32_e32 v109, v114
	s_delay_alu instid0(VALU_DEP_2) | instskip(NEXT) | instid1(TRANS32_DEP_1)
	v_exp_f32_e32 v108, v108
	v_ldexp_f32 v108, v108, v109
	s_wait_alu 0xfffd
	s_delay_alu instid0(VALU_DEP_1) | instskip(SKIP_2) | instid1(VALU_DEP_2)
	v_cndmask_b32_e32 v108, 0, v108, vcc_lo
	v_cmp_nlt_f32_e32 vcc_lo, 0x42b17218, v43
	s_wait_alu 0xfffd
	v_cndmask_b32_e32 v43, 0x7f800000, v108, vcc_lo
	s_delay_alu instid0(VALU_DEP_1) | instskip(SKIP_1) | instid1(VALU_DEP_1)
	v_fmac_f32_e32 v102, v42, v43
	v_cvt_f16_f32_e32 v42, v43
	v_and_b32_e32 v42, 0xffff, v42
	s_delay_alu instid0(VALU_DEP_1) | instskip(SKIP_1) | instid1(VALU_DEP_1)
	v_mul_u32_u24_e32 v108, 0x10001, v42
	v_sub_f32_e32 v42, v54, v3
	v_mul_f32_e32 v43, 0x3fb8aa3b, v42
	v_cmp_ngt_f32_e32 vcc_lo, 0xc2ce8ed0, v42
	s_delay_alu instid0(VALU_DEP_2) | instskip(SKIP_1) | instid1(VALU_DEP_1)
	v_fma_f32 v54, 0x3fb8aa3b, v42, -v43
	v_rndne_f32_e32 v109, v43
	v_dual_fmac_f32 v54, 0x32a5705f, v42 :: v_dual_sub_f32 v43, v43, v109
	s_delay_alu instid0(VALU_DEP_1) | instskip(SKIP_1) | instid1(VALU_DEP_2)
	v_add_f32_e32 v43, v43, v54
	v_cvt_i32_f32_e32 v54, v109
	v_exp_f32_e32 v43, v43
	s_delay_alu instid0(TRANS32_DEP_1) | instskip(SKIP_1) | instid1(VALU_DEP_1)
	v_ldexp_f32 v43, v43, v54
	s_wait_alu 0xfffd
	v_dual_mul_f32 v54, 0x3fb8aa3b, v53 :: v_dual_cndmask_b32 v43, 0, v43
	s_delay_alu instid0(VALU_DEP_1) | instskip(SKIP_2) | instid1(VALU_DEP_2)
	v_fma_f32 v109, 0x3fb8aa3b, v53, -v54
	v_rndne_f32_e32 v114, v54
	v_cmp_nlt_f32_e32 vcc_lo, 0x42b17218, v42
	v_dual_fmac_f32 v109, 0x32a5705f, v53 :: v_dual_sub_f32 v54, v54, v114
	s_wait_alu 0xfffd
	v_cndmask_b32_e32 v42, 0x7f800000, v43, vcc_lo
	v_cmp_ngt_f32_e32 vcc_lo, 0xc2ce8ed0, v53
	s_delay_alu instid0(VALU_DEP_3) | instskip(SKIP_1) | instid1(VALU_DEP_4)
	v_add_f32_e32 v54, v54, v109
	v_cvt_i32_f32_e32 v109, v114
	v_cvt_f16_f32_e32 v43, v42
	s_delay_alu instid0(VALU_DEP_3) | instskip(NEXT) | instid1(TRANS32_DEP_1)
	v_exp_f32_e32 v54, v54
	v_ldexp_f32 v54, v54, v109
	s_wait_alu 0xfffd
	s_delay_alu instid0(VALU_DEP_1) | instskip(SKIP_2) | instid1(VALU_DEP_2)
	v_cndmask_b32_e32 v54, 0, v54, vcc_lo
	v_cmp_nlt_f32_e32 vcc_lo, 0x42b17218, v53
	s_wait_alu 0xfffd
	v_cndmask_b32_e32 v53, 0x7f800000, v54, vcc_lo
	v_mul_f32_e32 v54, 0x3fb8aa3b, v52
	v_cmp_ngt_f32_e32 vcc_lo, 0xc2ce8ed0, v52
	s_delay_alu instid0(VALU_DEP_3) | instskip(NEXT) | instid1(VALU_DEP_3)
	v_add_f32_e32 v42, v42, v53
	v_fma_f32 v109, 0x3fb8aa3b, v52, -v54
	v_rndne_f32_e32 v114, v54
	v_cvt_f16_f32_e32 v53, v53
	s_delay_alu instid0(VALU_DEP_2) | instskip(NEXT) | instid1(VALU_DEP_1)
	v_dual_fmac_f32 v109, 0x32a5705f, v52 :: v_dual_sub_f32 v54, v54, v114
	v_add_f32_e32 v54, v54, v109
	v_cvt_i32_f32_e32 v109, v114
	s_delay_alu instid0(VALU_DEP_2) | instskip(NEXT) | instid1(TRANS32_DEP_1)
	v_exp_f32_e32 v54, v54
	v_ldexp_f32 v54, v54, v109
	s_wait_alu 0xfffd
	s_delay_alu instid0(VALU_DEP_1) | instskip(SKIP_2) | instid1(VALU_DEP_2)
	v_cndmask_b32_e32 v54, 0, v54, vcc_lo
	v_cmp_nlt_f32_e32 vcc_lo, 0x42b17218, v52
	s_wait_alu 0xfffd
	v_cndmask_b32_e32 v52, 0x7f800000, v54, vcc_lo
	v_mul_f32_e32 v54, 0x3fb8aa3b, v50
	v_cmp_ngt_f32_e32 vcc_lo, 0xc2ce8ed0, v50
	s_delay_alu instid0(VALU_DEP_3) | instskip(NEXT) | instid1(VALU_DEP_3)
	v_add_f32_e32 v42, v52, v42
	v_fma_f32 v109, 0x3fb8aa3b, v50, -v54
	v_rndne_f32_e32 v114, v54
	v_cvt_f16_f32_e32 v52, v52
	s_delay_alu instid0(VALU_DEP_3) | instskip(NEXT) | instid1(VALU_DEP_3)
	v_fmac_f32_e32 v109, 0x32a5705f, v50
	v_sub_f32_e32 v54, v54, v114
	s_delay_alu instid0(VALU_DEP_1) | instskip(SKIP_1) | instid1(VALU_DEP_2)
	v_add_f32_e32 v54, v54, v109
	v_cvt_i32_f32_e32 v109, v114
	v_exp_f32_e32 v54, v54
	s_delay_alu instid0(TRANS32_DEP_1) | instskip(SKIP_1) | instid1(VALU_DEP_1)
	v_ldexp_f32 v54, v54, v109
	s_wait_alu 0xfffd
	v_cndmask_b32_e32 v54, 0, v54, vcc_lo
	v_cmp_nlt_f32_e32 vcc_lo, 0x42b17218, v50
	s_wait_alu 0xfffd
	s_delay_alu instid0(VALU_DEP_2) | instskip(SKIP_2) | instid1(VALU_DEP_3)
	v_cndmask_b32_e32 v50, 0x7f800000, v54, vcc_lo
	v_mul_f32_e32 v54, 0x3fb8aa3b, v41
	v_cmp_ngt_f32_e32 vcc_lo, 0xc2ce8ed0, v41
	v_add_f32_e32 v42, v50, v42
	s_delay_alu instid0(VALU_DEP_3) | instskip(SKIP_2) | instid1(VALU_DEP_2)
	v_fma_f32 v109, 0x3fb8aa3b, v41, -v54
	v_rndne_f32_e32 v114, v54
	v_cvt_f16_f32_e32 v50, v50
	v_dual_fmac_f32 v109, 0x32a5705f, v41 :: v_dual_sub_f32 v54, v54, v114
	s_delay_alu instid0(VALU_DEP_1) | instskip(SKIP_1) | instid1(VALU_DEP_2)
	v_add_f32_e32 v54, v54, v109
	v_cvt_i32_f32_e32 v109, v114
	v_exp_f32_e32 v54, v54
	s_delay_alu instid0(TRANS32_DEP_1) | instskip(SKIP_1) | instid1(VALU_DEP_1)
	v_ldexp_f32 v54, v54, v109
	s_wait_alu 0xfffd
	v_cndmask_b32_e32 v54, 0, v54, vcc_lo
	v_cmp_nlt_f32_e32 vcc_lo, 0x42b17218, v41
	s_wait_alu 0xfffd
	s_delay_alu instid0(VALU_DEP_2) | instskip(SKIP_2) | instid1(VALU_DEP_2)
	v_dual_cndmask_b32 v41, 0x7f800000, v54 :: v_dual_mov_b32 v54, v68
	v_mov_b32_e32 v68, v42
	v_pack_b32_f16 v42, v49, v55
	v_fmac_f32_e32 v68, v54, v41
	v_cvt_f16_f32_e32 v41, v41
	s_delay_alu instid0(VALU_DEP_1) | instskip(NEXT) | instid1(VALU_DEP_1)
	v_and_b32_e32 v41, 0xffff, v41
	v_mul_u32_u24_e32 v41, 0x10001, v41
	s_delay_alu instid0(VALU_DEP_1)
	v_pk_mul_f16 v109, v40, v41
	v_pack_b32_f16 v41, v111, v43
	v_pack_b32_f16 v40, v51, v110
	;; [unrolled: 1-line block ×3, first 2 shown]
	ds_store_2addr_b64 v84, v[40:41], v[42:43] offset1:32
	v_pack_b32_f16 v41, v113, v52
	v_pack_b32_f16 v40, v48, v46
	;; [unrolled: 1-line block ×4, first 2 shown]
	ds_store_2addr_b64 v84, v[40:41], v[42:43] offset0:64 offset1:96
	s_wait_alu 0xfffe
	v_add_co_u32 v40, vcc_lo, s26, v24
	s_wait_alu 0xfffd
	v_add_co_ci_u32_e64 v41, null, s27, v25, vcc_lo
	s_delay_alu instid0(VALU_DEP_2) | instskip(SKIP_1) | instid1(VALU_DEP_2)
	v_add_co_u32 v54, vcc_lo, v40, v83
	s_wait_alu 0xfffd
	v_add_co_ci_u32_e64 v55, null, 0, v41, vcc_lo
	v_add_co_u32 v40, vcc_lo, s26, v26
	s_wait_alu 0xfffd
	v_add_co_ci_u32_e64 v41, null, s27, v27, vcc_lo
	global_load_b128 v[110:113], v[54:55], off
	v_add_co_u32 v52, vcc_lo, v40, v83
	s_wait_alu 0xfffd
	v_add_co_ci_u32_e64 v53, null, 0, v41, vcc_lo
	v_add_co_u32 v40, vcc_lo, s26, v28
	s_wait_alu 0xfffd
	v_add_co_ci_u32_e64 v41, null, s27, v29, vcc_lo
	global_load_b128 v[52:55], v[52:53], off
	v_add_co_u32 v50, vcc_lo, v40, v83
	s_wait_alu 0xfffd
	v_add_co_ci_u32_e64 v51, null, 0, v41, vcc_lo
	v_add_co_u32 v40, vcc_lo, s26, v30
	s_wait_alu 0xfffd
	v_add_co_ci_u32_e64 v41, null, s27, v31, vcc_lo
	s_delay_alu instid0(VALU_DEP_2) | instskip(SKIP_1) | instid1(VALU_DEP_2)
	v_add_co_u32 v48, vcc_lo, v40, v83
	s_wait_alu 0xfffd
	v_add_co_ci_u32_e64 v49, null, 0, v41, vcc_lo
	v_add_co_u32 v40, vcc_lo, s26, v32
	s_wait_alu 0xfffd
	v_add_co_ci_u32_e64 v41, null, s27, v33, vcc_lo
	s_delay_alu instid0(VALU_DEP_2) | instskip(SKIP_1) | instid1(VALU_DEP_2)
	;; [unrolled: 7-line block ×5, first 2 shown]
	v_add_co_u32 v40, vcc_lo, v40, v83
	s_wait_alu 0xfffd
	v_add_co_ci_u32_e64 v41, null, 0, v41, vcc_lo
	s_wait_loadcnt 0x1
	ds_store_b128 v74, v[110:113]
	s_wait_loadcnt 0x0
	ds_store_b128 v76, v[52:55]
	global_load_b128 v[50:53], v[50:51], off
	s_wait_loadcnt 0x0
	ds_store_b128 v77, v[50:53]
	global_load_b128 v[48:51], v[48:49], off
	;; [unrolled: 3-line block ×6, first 2 shown]
	s_wait_loadcnt 0x0
	ds_store_b128 v82, v[40:43]
	s_wait_dscnt 0x0
	s_barrier_signal -1
	s_barrier_wait -1
	global_inv scope:SCOPE_SE
	ds_load_2addr_b32 v[110:111], v59 offset1:32
	ds_load_b128 v[40:43], v75
	ds_load_b128 v[44:47], v75 offset:16
	ds_load_b128 v[48:51], v75 offset:32
	;; [unrolled: 1-line block ×3, first 2 shown]
	s_wait_dscnt 0x3
	v_lshrrev_b32_e32 v112, 16, v40
	v_and_b32_e32 v40, 0xffff, v40
	v_lshrrev_b32_e32 v113, 16, v41
	v_and_b32_e32 v41, 0xffff, v41
	s_delay_alu instid0(VALU_DEP_4) | instskip(NEXT) | instid1(VALU_DEP_4)
	v_mul_u32_u24_e32 v112, 0x10001, v112
	v_mul_u32_u24_e32 v40, 0x10001, v40
	s_delay_alu instid0(VALU_DEP_4) | instskip(NEXT) | instid1(VALU_DEP_4)
	v_mul_u32_u24_e32 v113, 0x10001, v113
	v_mul_u32_u24_e32 v41, 0x10001, v41
	s_delay_alu instid0(VALU_DEP_3) | instskip(NEXT) | instid1(VALU_DEP_2)
	v_pk_mul_f16 v40, v110, v40
	v_pk_mul_f16 v41, v110, v41
	s_delay_alu instid0(VALU_DEP_2)
	v_pk_fma_f16 v40, v105, v106, v40
	v_pk_mul_f16 v105, v110, v112
	v_lshrrev_b32_e32 v106, 16, v43
	v_and_b32_e32 v43, 0xffff, v43
	v_pk_fma_f16 v41, v103, v108, v41
	v_pk_fma_f16 v103, v110, v113, v109
	;; [unrolled: 1-line block ×3, first 2 shown]
	v_lshrrev_b32_e32 v105, 16, v42
	v_and_b32_e32 v42, 0xffff, v42
	v_mul_u32_u24_e32 v43, 0x10001, v43
	v_mul_u32_u24_e32 v106, 0x10001, v106
	s_delay_alu instid0(VALU_DEP_4) | instskip(NEXT) | instid1(VALU_DEP_4)
	v_mul_u32_u24_e32 v105, 0x10001, v105
	v_mul_u32_u24_e32 v42, 0x10001, v42
	s_delay_alu instid0(VALU_DEP_4) | instskip(NEXT) | instid1(VALU_DEP_4)
	v_pk_fma_f16 v43, v111, v43, v41
	v_pk_fma_f16 v103, v111, v106, v103
	s_wait_dscnt 0x2
	v_lshrrev_b32_e32 v106, 16, v45
	v_pk_fma_f16 v104, v111, v105, v104
	v_pk_fma_f16 v42, v111, v42, v40
	ds_load_2addr_b32 v[40:41], v59 offset0:64 offset1:96
	v_lshrrev_b32_e32 v105, 16, v44
	v_and_b32_e32 v44, 0xffff, v44
	v_and_b32_e32 v45, 0xffff, v45
	v_mul_u32_u24_e32 v106, 0x10001, v106
	s_delay_alu instid0(VALU_DEP_4) | instskip(NEXT) | instid1(VALU_DEP_4)
	v_mul_u32_u24_e32 v105, 0x10001, v105
	v_mul_u32_u24_e32 v44, 0x10001, v44
	s_delay_alu instid0(VALU_DEP_4) | instskip(SKIP_1) | instid1(VALU_DEP_2)
	v_mul_u32_u24_e32 v45, 0x10001, v45
	s_wait_dscnt 0x0
	v_pk_fma_f16 v42, v40, v44, v42
	v_pk_fma_f16 v44, v40, v105, v104
	s_delay_alu instid0(VALU_DEP_3)
	v_pk_fma_f16 v43, v40, v45, v43
	v_pk_fma_f16 v40, v40, v106, v103
	v_lshrrev_b32_e32 v45, 16, v46
	v_lshrrev_b32_e32 v103, 16, v47
	v_and_b32_e32 v46, 0xffff, v46
	v_and_b32_e32 v47, 0xffff, v47
	s_delay_alu instid0(VALU_DEP_4) | instskip(NEXT) | instid1(VALU_DEP_4)
	v_mul_u32_u24_e32 v45, 0x10001, v45
	v_mul_u32_u24_e32 v103, 0x10001, v103
	s_delay_alu instid0(VALU_DEP_4) | instskip(NEXT) | instid1(VALU_DEP_4)
	v_mul_u32_u24_e32 v46, 0x10001, v46
	v_mul_u32_u24_e32 v47, 0x10001, v47
	s_delay_alu instid0(VALU_DEP_4) | instskip(NEXT) | instid1(VALU_DEP_4)
	v_pk_fma_f16 v44, v41, v45, v44
	v_pk_fma_f16 v45, v41, v103, v40
	s_delay_alu instid0(VALU_DEP_4) | instskip(NEXT) | instid1(VALU_DEP_4)
	v_pk_fma_f16 v42, v41, v46, v42
	v_pk_fma_f16 v43, v41, v47, v43
	ds_load_2addr_b32 v[40:41], v59 offset0:128 offset1:160
	v_lshrrev_b32_e32 v46, 16, v48
	v_lshrrev_b32_e32 v47, 16, v49
	v_and_b32_e32 v48, 0xffff, v48
	v_and_b32_e32 v49, 0xffff, v49
	s_delay_alu instid0(VALU_DEP_4) | instskip(NEXT) | instid1(VALU_DEP_4)
	v_mul_u32_u24_e32 v46, 0x10001, v46
	v_mul_u32_u24_e32 v47, 0x10001, v47
	s_delay_alu instid0(VALU_DEP_4) | instskip(NEXT) | instid1(VALU_DEP_4)
	v_mul_u32_u24_e32 v48, 0x10001, v48
	v_mul_u32_u24_e32 v49, 0x10001, v49
	s_wait_dscnt 0x0
	s_delay_alu instid0(VALU_DEP_2) | instskip(SKIP_1) | instid1(VALU_DEP_3)
	v_pk_fma_f16 v42, v40, v48, v42
	v_pk_fma_f16 v44, v40, v46, v44
	;; [unrolled: 1-line block ×4, first 2 shown]
	v_lshrrev_b32_e32 v45, 16, v50
	v_lshrrev_b32_e32 v46, 16, v51
	v_and_b32_e32 v47, 0xffff, v50
	v_and_b32_e32 v48, 0xffff, v51
	;; [unrolled: 1-line block ×3, first 2 shown]
	v_mul_u32_u24_e32 v45, 0x10001, v45
	v_mul_u32_u24_e32 v46, 0x10001, v46
	;; [unrolled: 1-line block ×5, first 2 shown]
	v_pk_fma_f16 v44, v41, v45, v44
	v_pk_fma_f16 v45, v41, v46, v40
	;; [unrolled: 1-line block ×4, first 2 shown]
	ds_load_2addr_b32 v[40:41], v59 offset0:192 offset1:224
	v_lshrrev_b32_e32 v46, 16, v52
	v_lshrrev_b32_e32 v47, 16, v53
	v_and_b32_e32 v48, 0xffff, v52
	s_delay_alu instid0(VALU_DEP_3) | instskip(NEXT) | instid1(VALU_DEP_3)
	v_mul_u32_u24_e32 v46, 0x10001, v46
	v_mul_u32_u24_e32 v47, 0x10001, v47
	s_delay_alu instid0(VALU_DEP_3) | instskip(SKIP_1) | instid1(VALU_DEP_1)
	v_mul_u32_u24_e32 v48, 0x10001, v48
	s_wait_dscnt 0x0
	v_pk_fma_f16 v42, v40, v48, v42
	v_pk_fma_f16 v44, v40, v46, v44
	;; [unrolled: 1-line block ×4, first 2 shown]
	v_lshrrev_b32_e32 v45, 16, v54
	v_lshrrev_b32_e32 v46, 16, v55
	v_and_b32_e32 v47, 0xffff, v54
	v_and_b32_e32 v48, 0xffff, v55
	s_delay_alu instid0(VALU_DEP_4) | instskip(NEXT) | instid1(VALU_DEP_4)
	v_mul_u32_u24_e32 v45, 0x10001, v45
	v_mul_u32_u24_e32 v46, 0x10001, v46
	s_delay_alu instid0(VALU_DEP_4) | instskip(NEXT) | instid1(VALU_DEP_4)
	v_mul_u32_u24_e32 v47, 0x10001, v47
	v_mul_u32_u24_e32 v48, 0x10001, v48
	s_delay_alu instid0(VALU_DEP_4) | instskip(NEXT) | instid1(VALU_DEP_4)
	v_pk_fma_f16 v49, v41, v45, v44
	v_pk_fma_f16 v46, v41, v46, v40
	s_delay_alu instid0(VALU_DEP_4) | instskip(NEXT) | instid1(VALU_DEP_4)
	v_pk_fma_f16 v47, v41, v47, v42
	v_pk_fma_f16 v48, v41, v48, v43
	ds_load_2addr_b32 v[44:45], v85 offset1:32
	ds_load_b128 v[40:43], v75 offset:64
	s_wait_dscnt 0x0
	v_lshrrev_b32_e32 v50, 16, v40
	v_lshrrev_b32_e32 v51, 16, v41
	v_and_b32_e32 v40, 0xffff, v40
	v_and_b32_e32 v41, 0xffff, v41
	s_delay_alu instid0(VALU_DEP_4) | instskip(NEXT) | instid1(VALU_DEP_4)
	v_mul_u32_u24_e32 v50, 0x10001, v50
	v_mul_u32_u24_e32 v51, 0x10001, v51
	s_delay_alu instid0(VALU_DEP_4) | instskip(NEXT) | instid1(VALU_DEP_4)
	v_mul_u32_u24_e32 v40, 0x10001, v40
	v_mul_u32_u24_e32 v41, 0x10001, v41
	s_delay_alu instid0(VALU_DEP_2) | instskip(SKIP_1) | instid1(VALU_DEP_3)
	v_pk_fma_f16 v40, v44, v40, v47
	v_pk_fma_f16 v47, v44, v50, v49
	;; [unrolled: 1-line block ×4, first 2 shown]
	v_lshrrev_b32_e32 v46, 16, v42
	v_lshrrev_b32_e32 v48, 16, v43
	v_and_b32_e32 v42, 0xffff, v42
	v_and_b32_e32 v43, 0xffff, v43
	s_delay_alu instid0(VALU_DEP_4) | instskip(NEXT) | instid1(VALU_DEP_4)
	v_mul_u32_u24_e32 v46, 0x10001, v46
	v_mul_u32_u24_e32 v48, 0x10001, v48
	s_delay_alu instid0(VALU_DEP_4) | instskip(NEXT) | instid1(VALU_DEP_4)
	v_mul_u32_u24_e32 v42, 0x10001, v42
	v_mul_u32_u24_e32 v43, 0x10001, v43
	s_delay_alu instid0(VALU_DEP_4) | instskip(NEXT) | instid1(VALU_DEP_4)
	v_pk_fma_f16 v46, v45, v46, v47
	v_pk_fma_f16 v48, v45, v48, v44
	s_delay_alu instid0(VALU_DEP_4) | instskip(NEXT) | instid1(VALU_DEP_4)
	v_pk_fma_f16 v49, v45, v42, v40
	v_pk_fma_f16 v47, v45, v43, v41
	ds_load_2addr_b32 v[44:45], v85 offset0:64 offset1:96
	ds_load_b128 v[40:43], v75 offset:80
	s_wait_dscnt 0x0
	v_lshrrev_b32_e32 v50, 16, v40
	v_lshrrev_b32_e32 v51, 16, v41
	v_and_b32_e32 v40, 0xffff, v40
	v_and_b32_e32 v41, 0xffff, v41
	s_delay_alu instid0(VALU_DEP_4) | instskip(NEXT) | instid1(VALU_DEP_4)
	v_mul_u32_u24_e32 v50, 0x10001, v50
	v_mul_u32_u24_e32 v51, 0x10001, v51
	s_delay_alu instid0(VALU_DEP_4) | instskip(NEXT) | instid1(VALU_DEP_4)
	v_mul_u32_u24_e32 v40, 0x10001, v40
	v_mul_u32_u24_e32 v41, 0x10001, v41
	s_delay_alu instid0(VALU_DEP_4) | instskip(NEXT) | instid1(VALU_DEP_3)
	v_pk_fma_f16 v46, v44, v50, v46
	v_pk_fma_f16 v40, v44, v40, v49
	s_delay_alu instid0(VALU_DEP_3)
	v_pk_fma_f16 v41, v44, v41, v47
	v_pk_fma_f16 v44, v44, v51, v48
	v_lshrrev_b32_e32 v47, 16, v42
	v_lshrrev_b32_e32 v48, 16, v43
	v_and_b32_e32 v42, 0xffff, v42
	v_and_b32_e32 v43, 0xffff, v43
	s_delay_alu instid0(VALU_DEP_4) | instskip(NEXT) | instid1(VALU_DEP_4)
	v_mul_u32_u24_e32 v47, 0x10001, v47
	v_mul_u32_u24_e32 v48, 0x10001, v48
	s_delay_alu instid0(VALU_DEP_4) | instskip(NEXT) | instid1(VALU_DEP_4)
	v_mul_u32_u24_e32 v42, 0x10001, v42
	v_mul_u32_u24_e32 v43, 0x10001, v43
	s_delay_alu instid0(VALU_DEP_4) | instskip(NEXT) | instid1(VALU_DEP_4)
	v_pk_fma_f16 v46, v45, v47, v46
	v_pk_fma_f16 v48, v45, v48, v44
	s_delay_alu instid0(VALU_DEP_4) | instskip(NEXT) | instid1(VALU_DEP_4)
	v_pk_fma_f16 v49, v45, v42, v40
	v_pk_fma_f16 v47, v45, v43, v41
	ds_load_2addr_b32 v[44:45], v85 offset0:128 offset1:160
	ds_load_b128 v[40:43], v75 offset:96
	s_wait_dscnt 0x0
	v_lshrrev_b32_e32 v50, 16, v40
	v_lshrrev_b32_e32 v51, 16, v41
	v_and_b32_e32 v40, 0xffff, v40
	v_and_b32_e32 v41, 0xffff, v41
	s_delay_alu instid0(VALU_DEP_4) | instskip(NEXT) | instid1(VALU_DEP_4)
	v_mul_u32_u24_e32 v50, 0x10001, v50
	v_mul_u32_u24_e32 v51, 0x10001, v51
	s_delay_alu instid0(VALU_DEP_4) | instskip(NEXT) | instid1(VALU_DEP_4)
	v_mul_u32_u24_e32 v40, 0x10001, v40
	v_mul_u32_u24_e32 v41, 0x10001, v41
	s_delay_alu instid0(VALU_DEP_4) | instskip(NEXT) | instid1(VALU_DEP_3)
	v_pk_fma_f16 v46, v44, v50, v46
	v_pk_fma_f16 v40, v44, v40, v49
	s_delay_alu instid0(VALU_DEP_3)
	v_pk_fma_f16 v41, v44, v41, v47
	v_pk_fma_f16 v44, v44, v51, v48
	;; [unrolled: 35-line block ×3, first 2 shown]
	v_lshrrev_b32_e32 v47, 16, v42
	v_lshrrev_b32_e32 v48, 16, v43
	v_and_b32_e32 v42, 0xffff, v42
	v_and_b32_e32 v43, 0xffff, v43
	s_delay_alu instid0(VALU_DEP_4) | instskip(NEXT) | instid1(VALU_DEP_4)
	v_mul_u32_u24_e32 v47, 0x10001, v47
	v_mul_u32_u24_e32 v48, 0x10001, v48
	s_delay_alu instid0(VALU_DEP_4) | instskip(NEXT) | instid1(VALU_DEP_4)
	v_mul_u32_u24_e32 v42, 0x10001, v42
	v_mul_u32_u24_e32 v43, 0x10001, v43
	s_delay_alu instid0(VALU_DEP_4) | instskip(NEXT) | instid1(VALU_DEP_4)
	v_pk_fma_f16 v46, v45, v47, v46
	v_pk_fma_f16 v48, v45, v48, v44
	s_delay_alu instid0(VALU_DEP_4) | instskip(NEXT) | instid1(VALU_DEP_4)
	v_pk_fma_f16 v49, v45, v42, v40
	v_pk_fma_f16 v47, v45, v43, v41
	ds_load_2addr_b32 v[44:45], v86 offset1:32
	ds_load_b128 v[40:43], v75 offset:128
	s_wait_dscnt 0x0
	v_lshrrev_b32_e32 v50, 16, v40
	v_lshrrev_b32_e32 v51, 16, v41
	v_and_b32_e32 v40, 0xffff, v40
	v_and_b32_e32 v41, 0xffff, v41
	s_delay_alu instid0(VALU_DEP_4) | instskip(NEXT) | instid1(VALU_DEP_4)
	v_mul_u32_u24_e32 v50, 0x10001, v50
	v_mul_u32_u24_e32 v51, 0x10001, v51
	s_delay_alu instid0(VALU_DEP_4) | instskip(NEXT) | instid1(VALU_DEP_4)
	v_mul_u32_u24_e32 v40, 0x10001, v40
	v_mul_u32_u24_e32 v41, 0x10001, v41
	s_delay_alu instid0(VALU_DEP_4) | instskip(NEXT) | instid1(VALU_DEP_3)
	v_pk_fma_f16 v46, v44, v50, v46
	v_pk_fma_f16 v40, v44, v40, v49
	s_delay_alu instid0(VALU_DEP_3)
	v_pk_fma_f16 v41, v44, v41, v47
	v_pk_fma_f16 v44, v44, v51, v48
	v_lshrrev_b32_e32 v47, 16, v42
	v_lshrrev_b32_e32 v48, 16, v43
	v_and_b32_e32 v42, 0xffff, v42
	v_and_b32_e32 v43, 0xffff, v43
	s_delay_alu instid0(VALU_DEP_4) | instskip(NEXT) | instid1(VALU_DEP_4)
	v_mul_u32_u24_e32 v47, 0x10001, v47
	v_mul_u32_u24_e32 v48, 0x10001, v48
	s_delay_alu instid0(VALU_DEP_4) | instskip(NEXT) | instid1(VALU_DEP_4)
	v_mul_u32_u24_e32 v42, 0x10001, v42
	v_mul_u32_u24_e32 v43, 0x10001, v43
	s_delay_alu instid0(VALU_DEP_4) | instskip(NEXT) | instid1(VALU_DEP_4)
	v_pk_fma_f16 v46, v45, v47, v46
	v_pk_fma_f16 v48, v45, v48, v44
	s_delay_alu instid0(VALU_DEP_4) | instskip(NEXT) | instid1(VALU_DEP_4)
	v_pk_fma_f16 v49, v45, v42, v40
	v_pk_fma_f16 v47, v45, v43, v41
	ds_load_2addr_b32 v[44:45], v86 offset0:64 offset1:96
	ds_load_b128 v[40:43], v75 offset:144
	s_wait_dscnt 0x0
	v_lshrrev_b32_e32 v50, 16, v40
	v_lshrrev_b32_e32 v51, 16, v41
	v_and_b32_e32 v40, 0xffff, v40
	v_and_b32_e32 v41, 0xffff, v41
	s_delay_alu instid0(VALU_DEP_4) | instskip(NEXT) | instid1(VALU_DEP_4)
	v_mul_u32_u24_e32 v50, 0x10001, v50
	v_mul_u32_u24_e32 v51, 0x10001, v51
	s_delay_alu instid0(VALU_DEP_4) | instskip(NEXT) | instid1(VALU_DEP_4)
	v_mul_u32_u24_e32 v40, 0x10001, v40
	v_mul_u32_u24_e32 v41, 0x10001, v41
	s_delay_alu instid0(VALU_DEP_4) | instskip(NEXT) | instid1(VALU_DEP_3)
	v_pk_fma_f16 v46, v44, v50, v46
	v_pk_fma_f16 v40, v44, v40, v49
	s_delay_alu instid0(VALU_DEP_3)
	v_pk_fma_f16 v41, v44, v41, v47
	v_pk_fma_f16 v44, v44, v51, v48
	v_lshrrev_b32_e32 v47, 16, v42
	v_lshrrev_b32_e32 v48, 16, v43
	v_and_b32_e32 v42, 0xffff, v42
	v_and_b32_e32 v43, 0xffff, v43
	s_delay_alu instid0(VALU_DEP_4) | instskip(NEXT) | instid1(VALU_DEP_4)
	v_mul_u32_u24_e32 v47, 0x10001, v47
	v_mul_u32_u24_e32 v48, 0x10001, v48
	s_delay_alu instid0(VALU_DEP_4) | instskip(NEXT) | instid1(VALU_DEP_4)
	v_mul_u32_u24_e32 v42, 0x10001, v42
	v_mul_u32_u24_e32 v43, 0x10001, v43
	s_delay_alu instid0(VALU_DEP_4) | instskip(NEXT) | instid1(VALU_DEP_4)
	v_pk_fma_f16 v46, v45, v47, v46
	v_pk_fma_f16 v48, v45, v48, v44
	s_delay_alu instid0(VALU_DEP_4) | instskip(NEXT) | instid1(VALU_DEP_4)
	v_pk_fma_f16 v49, v45, v42, v40
	v_pk_fma_f16 v47, v45, v43, v41
	ds_load_2addr_b32 v[44:45], v86 offset0:128 offset1:160
	ds_load_b128 v[40:43], v75 offset:160
	s_wait_dscnt 0x0
	v_lshrrev_b32_e32 v50, 16, v40
	v_lshrrev_b32_e32 v51, 16, v41
	v_and_b32_e32 v40, 0xffff, v40
	v_and_b32_e32 v41, 0xffff, v41
	s_delay_alu instid0(VALU_DEP_4) | instskip(NEXT) | instid1(VALU_DEP_4)
	v_mul_u32_u24_e32 v50, 0x10001, v50
	v_mul_u32_u24_e32 v51, 0x10001, v51
	s_delay_alu instid0(VALU_DEP_4) | instskip(NEXT) | instid1(VALU_DEP_4)
	v_mul_u32_u24_e32 v40, 0x10001, v40
	v_mul_u32_u24_e32 v41, 0x10001, v41
	s_delay_alu instid0(VALU_DEP_4) | instskip(NEXT) | instid1(VALU_DEP_3)
	v_pk_fma_f16 v46, v44, v50, v46
	v_pk_fma_f16 v40, v44, v40, v49
	s_delay_alu instid0(VALU_DEP_3)
	v_pk_fma_f16 v41, v44, v41, v47
	v_pk_fma_f16 v44, v44, v51, v48
	v_lshrrev_b32_e32 v47, 16, v42
	v_lshrrev_b32_e32 v48, 16, v43
	v_and_b32_e32 v42, 0xffff, v42
	v_and_b32_e32 v43, 0xffff, v43
	s_delay_alu instid0(VALU_DEP_4) | instskip(NEXT) | instid1(VALU_DEP_4)
	v_mul_u32_u24_e32 v47, 0x10001, v47
	v_mul_u32_u24_e32 v48, 0x10001, v48
	s_delay_alu instid0(VALU_DEP_4) | instskip(NEXT) | instid1(VALU_DEP_4)
	v_mul_u32_u24_e32 v42, 0x10001, v42
	v_mul_u32_u24_e32 v43, 0x10001, v43
	s_delay_alu instid0(VALU_DEP_4) | instskip(NEXT) | instid1(VALU_DEP_4)
	v_pk_fma_f16 v46, v45, v47, v46
	v_pk_fma_f16 v48, v45, v48, v44
	s_delay_alu instid0(VALU_DEP_4) | instskip(NEXT) | instid1(VALU_DEP_4)
	v_pk_fma_f16 v49, v45, v42, v40
	v_pk_fma_f16 v47, v45, v43, v41
	ds_load_2addr_b32 v[44:45], v86 offset0:192 offset1:224
	ds_load_b128 v[40:43], v75 offset:176
	s_wait_dscnt 0x0
	v_lshrrev_b32_e32 v50, 16, v40
	v_lshrrev_b32_e32 v51, 16, v41
	v_and_b32_e32 v40, 0xffff, v40
	v_and_b32_e32 v41, 0xffff, v41
	s_delay_alu instid0(VALU_DEP_4) | instskip(NEXT) | instid1(VALU_DEP_4)
	v_mul_u32_u24_e32 v50, 0x10001, v50
	v_mul_u32_u24_e32 v51, 0x10001, v51
	s_delay_alu instid0(VALU_DEP_4) | instskip(NEXT) | instid1(VALU_DEP_4)
	v_mul_u32_u24_e32 v40, 0x10001, v40
	v_mul_u32_u24_e32 v41, 0x10001, v41
	s_delay_alu instid0(VALU_DEP_4) | instskip(NEXT) | instid1(VALU_DEP_3)
	v_pk_fma_f16 v46, v44, v50, v46
	v_pk_fma_f16 v40, v44, v40, v49
	s_delay_alu instid0(VALU_DEP_3)
	v_pk_fma_f16 v41, v44, v41, v47
	v_pk_fma_f16 v44, v44, v51, v48
	v_lshrrev_b32_e32 v47, 16, v42
	v_lshrrev_b32_e32 v48, 16, v43
	v_and_b32_e32 v42, 0xffff, v42
	v_and_b32_e32 v43, 0xffff, v43
	s_delay_alu instid0(VALU_DEP_4) | instskip(NEXT) | instid1(VALU_DEP_4)
	v_mul_u32_u24_e32 v47, 0x10001, v47
	v_mul_u32_u24_e32 v48, 0x10001, v48
	s_delay_alu instid0(VALU_DEP_4) | instskip(NEXT) | instid1(VALU_DEP_4)
	v_mul_u32_u24_e32 v42, 0x10001, v42
	v_mul_u32_u24_e32 v43, 0x10001, v43
	s_delay_alu instid0(VALU_DEP_4) | instskip(NEXT) | instid1(VALU_DEP_4)
	v_pk_fma_f16 v46, v45, v47, v46
	v_pk_fma_f16 v48, v45, v48, v44
	s_delay_alu instid0(VALU_DEP_4) | instskip(NEXT) | instid1(VALU_DEP_4)
	v_pk_fma_f16 v49, v45, v42, v40
	v_pk_fma_f16 v47, v45, v43, v41
	ds_load_2addr_b32 v[44:45], v87 offset1:32
	ds_load_b128 v[40:43], v75 offset:192
	s_wait_dscnt 0x0
	v_lshrrev_b32_e32 v50, 16, v40
	v_lshrrev_b32_e32 v51, 16, v41
	v_and_b32_e32 v40, 0xffff, v40
	v_and_b32_e32 v41, 0xffff, v41
	s_delay_alu instid0(VALU_DEP_4) | instskip(NEXT) | instid1(VALU_DEP_4)
	v_mul_u32_u24_e32 v50, 0x10001, v50
	v_mul_u32_u24_e32 v51, 0x10001, v51
	s_delay_alu instid0(VALU_DEP_4) | instskip(NEXT) | instid1(VALU_DEP_4)
	v_mul_u32_u24_e32 v40, 0x10001, v40
	v_mul_u32_u24_e32 v41, 0x10001, v41
	s_delay_alu instid0(VALU_DEP_4) | instskip(NEXT) | instid1(VALU_DEP_3)
	v_pk_fma_f16 v46, v44, v50, v46
	v_pk_fma_f16 v40, v44, v40, v49
	s_delay_alu instid0(VALU_DEP_3)
	v_pk_fma_f16 v41, v44, v41, v47
	v_pk_fma_f16 v44, v44, v51, v48
	v_lshrrev_b32_e32 v47, 16, v42
	v_lshrrev_b32_e32 v48, 16, v43
	v_and_b32_e32 v42, 0xffff, v42
	v_and_b32_e32 v43, 0xffff, v43
	s_delay_alu instid0(VALU_DEP_4) | instskip(NEXT) | instid1(VALU_DEP_4)
	v_mul_u32_u24_e32 v47, 0x10001, v47
	v_mul_u32_u24_e32 v48, 0x10001, v48
	s_delay_alu instid0(VALU_DEP_4) | instskip(NEXT) | instid1(VALU_DEP_4)
	v_mul_u32_u24_e32 v42, 0x10001, v42
	v_mul_u32_u24_e32 v43, 0x10001, v43
	s_delay_alu instid0(VALU_DEP_4) | instskip(NEXT) | instid1(VALU_DEP_4)
	v_pk_fma_f16 v46, v45, v47, v46
	v_pk_fma_f16 v48, v45, v48, v44
	s_delay_alu instid0(VALU_DEP_4) | instskip(NEXT) | instid1(VALU_DEP_4)
	v_pk_fma_f16 v49, v45, v42, v40
	v_pk_fma_f16 v47, v45, v43, v41
	ds_load_2addr_b32 v[44:45], v87 offset0:64 offset1:96
	ds_load_b128 v[40:43], v75 offset:208
	s_wait_dscnt 0x0
	v_lshrrev_b32_e32 v50, 16, v40
	v_lshrrev_b32_e32 v51, 16, v41
	v_and_b32_e32 v40, 0xffff, v40
	v_and_b32_e32 v41, 0xffff, v41
	s_delay_alu instid0(VALU_DEP_4) | instskip(NEXT) | instid1(VALU_DEP_4)
	v_mul_u32_u24_e32 v50, 0x10001, v50
	v_mul_u32_u24_e32 v51, 0x10001, v51
	s_delay_alu instid0(VALU_DEP_4) | instskip(NEXT) | instid1(VALU_DEP_4)
	v_mul_u32_u24_e32 v40, 0x10001, v40
	v_mul_u32_u24_e32 v41, 0x10001, v41
	s_delay_alu instid0(VALU_DEP_4) | instskip(NEXT) | instid1(VALU_DEP_3)
	v_pk_fma_f16 v46, v44, v50, v46
	v_pk_fma_f16 v40, v44, v40, v49
	s_delay_alu instid0(VALU_DEP_3)
	v_pk_fma_f16 v41, v44, v41, v47
	v_pk_fma_f16 v44, v44, v51, v48
	v_lshrrev_b32_e32 v47, 16, v42
	v_lshrrev_b32_e32 v48, 16, v43
	v_and_b32_e32 v42, 0xffff, v42
	v_and_b32_e32 v43, 0xffff, v43
	s_delay_alu instid0(VALU_DEP_4) | instskip(NEXT) | instid1(VALU_DEP_4)
	v_mul_u32_u24_e32 v47, 0x10001, v47
	v_mul_u32_u24_e32 v48, 0x10001, v48
	s_delay_alu instid0(VALU_DEP_4) | instskip(NEXT) | instid1(VALU_DEP_4)
	v_mul_u32_u24_e32 v42, 0x10001, v42
	v_mul_u32_u24_e32 v43, 0x10001, v43
	s_delay_alu instid0(VALU_DEP_4) | instskip(NEXT) | instid1(VALU_DEP_4)
	v_pk_fma_f16 v46, v45, v47, v46
	v_pk_fma_f16 v48, v45, v48, v44
	s_delay_alu instid0(VALU_DEP_4) | instskip(NEXT) | instid1(VALU_DEP_4)
	v_pk_fma_f16 v49, v45, v42, v40
	v_pk_fma_f16 v47, v45, v43, v41
	ds_load_2addr_b32 v[44:45], v87 offset0:128 offset1:160
	;; [unrolled: 35-line block ×3, first 2 shown]
	ds_load_b128 v[40:43], v75 offset:240
	s_wait_dscnt 0x0
	v_lshrrev_b32_e32 v50, 16, v40
	v_lshrrev_b32_e32 v51, 16, v41
	v_and_b32_e32 v40, 0xffff, v40
	v_and_b32_e32 v41, 0xffff, v41
	s_delay_alu instid0(VALU_DEP_4) | instskip(NEXT) | instid1(VALU_DEP_4)
	v_mul_u32_u24_e32 v50, 0x10001, v50
	v_mul_u32_u24_e32 v51, 0x10001, v51
	s_delay_alu instid0(VALU_DEP_4) | instskip(NEXT) | instid1(VALU_DEP_4)
	v_mul_u32_u24_e32 v40, 0x10001, v40
	v_mul_u32_u24_e32 v41, 0x10001, v41
	s_delay_alu instid0(VALU_DEP_4) | instskip(NEXT) | instid1(VALU_DEP_3)
	v_pk_fma_f16 v46, v44, v50, v46
	v_pk_fma_f16 v40, v44, v40, v49
	s_delay_alu instid0(VALU_DEP_3)
	v_pk_fma_f16 v41, v44, v41, v47
	v_pk_fma_f16 v44, v44, v51, v48
	v_lshrrev_b32_e32 v47, 16, v42
	v_lshrrev_b32_e32 v48, 16, v43
	v_and_b32_e32 v42, 0xffff, v42
	v_and_b32_e32 v43, 0xffff, v43
	s_delay_alu instid0(VALU_DEP_4) | instskip(NEXT) | instid1(VALU_DEP_4)
	v_mul_u32_u24_e32 v47, 0x10001, v47
	v_mul_u32_u24_e32 v48, 0x10001, v48
	s_delay_alu instid0(VALU_DEP_4) | instskip(NEXT) | instid1(VALU_DEP_4)
	v_mul_u32_u24_e32 v42, 0x10001, v42
	v_mul_u32_u24_e32 v43, 0x10001, v43
	s_delay_alu instid0(VALU_DEP_4) | instskip(NEXT) | instid1(VALU_DEP_4)
	v_pk_fma_f16 v46, v45, v47, v46
	v_pk_fma_f16 v48, v45, v48, v44
	s_delay_alu instid0(VALU_DEP_4) | instskip(NEXT) | instid1(VALU_DEP_4)
	v_pk_fma_f16 v49, v45, v42, v40
	v_pk_fma_f16 v47, v45, v43, v41
	ds_load_2addr_b32 v[44:45], v88 offset1:32
	ds_load_b128 v[40:43], v75 offset:256
	s_wait_dscnt 0x0
	v_lshrrev_b32_e32 v50, 16, v40
	v_lshrrev_b32_e32 v51, 16, v41
	v_and_b32_e32 v40, 0xffff, v40
	v_and_b32_e32 v41, 0xffff, v41
	s_delay_alu instid0(VALU_DEP_4) | instskip(NEXT) | instid1(VALU_DEP_4)
	v_mul_u32_u24_e32 v50, 0x10001, v50
	v_mul_u32_u24_e32 v51, 0x10001, v51
	s_delay_alu instid0(VALU_DEP_4) | instskip(NEXT) | instid1(VALU_DEP_4)
	v_mul_u32_u24_e32 v40, 0x10001, v40
	v_mul_u32_u24_e32 v41, 0x10001, v41
	s_delay_alu instid0(VALU_DEP_4) | instskip(NEXT) | instid1(VALU_DEP_3)
	v_pk_fma_f16 v46, v44, v50, v46
	v_pk_fma_f16 v40, v44, v40, v49
	s_delay_alu instid0(VALU_DEP_3)
	v_pk_fma_f16 v41, v44, v41, v47
	v_pk_fma_f16 v44, v44, v51, v48
	v_lshrrev_b32_e32 v47, 16, v42
	v_lshrrev_b32_e32 v48, 16, v43
	v_and_b32_e32 v42, 0xffff, v42
	v_and_b32_e32 v43, 0xffff, v43
	s_delay_alu instid0(VALU_DEP_4) | instskip(NEXT) | instid1(VALU_DEP_4)
	v_mul_u32_u24_e32 v47, 0x10001, v47
	v_mul_u32_u24_e32 v48, 0x10001, v48
	s_delay_alu instid0(VALU_DEP_4) | instskip(NEXT) | instid1(VALU_DEP_4)
	v_mul_u32_u24_e32 v42, 0x10001, v42
	v_mul_u32_u24_e32 v43, 0x10001, v43
	s_delay_alu instid0(VALU_DEP_4) | instskip(NEXT) | instid1(VALU_DEP_4)
	v_pk_fma_f16 v46, v45, v47, v46
	v_pk_fma_f16 v48, v45, v48, v44
	s_delay_alu instid0(VALU_DEP_4) | instskip(NEXT) | instid1(VALU_DEP_4)
	v_pk_fma_f16 v49, v45, v42, v40
	v_pk_fma_f16 v47, v45, v43, v41
	ds_load_2addr_b32 v[44:45], v88 offset0:64 offset1:96
	ds_load_b128 v[40:43], v75 offset:272
	s_wait_dscnt 0x0
	v_lshrrev_b32_e32 v50, 16, v40
	v_lshrrev_b32_e32 v51, 16, v41
	v_and_b32_e32 v40, 0xffff, v40
	v_and_b32_e32 v41, 0xffff, v41
	s_delay_alu instid0(VALU_DEP_4) | instskip(NEXT) | instid1(VALU_DEP_4)
	v_mul_u32_u24_e32 v50, 0x10001, v50
	v_mul_u32_u24_e32 v51, 0x10001, v51
	s_delay_alu instid0(VALU_DEP_4) | instskip(NEXT) | instid1(VALU_DEP_4)
	v_mul_u32_u24_e32 v40, 0x10001, v40
	v_mul_u32_u24_e32 v41, 0x10001, v41
	s_delay_alu instid0(VALU_DEP_4) | instskip(NEXT) | instid1(VALU_DEP_3)
	v_pk_fma_f16 v46, v44, v50, v46
	v_pk_fma_f16 v40, v44, v40, v49
	s_delay_alu instid0(VALU_DEP_3)
	v_pk_fma_f16 v41, v44, v41, v47
	v_pk_fma_f16 v44, v44, v51, v48
	v_lshrrev_b32_e32 v47, 16, v42
	v_lshrrev_b32_e32 v48, 16, v43
	v_and_b32_e32 v42, 0xffff, v42
	v_and_b32_e32 v43, 0xffff, v43
	s_delay_alu instid0(VALU_DEP_4) | instskip(NEXT) | instid1(VALU_DEP_4)
	v_mul_u32_u24_e32 v47, 0x10001, v47
	v_mul_u32_u24_e32 v48, 0x10001, v48
	s_delay_alu instid0(VALU_DEP_4) | instskip(NEXT) | instid1(VALU_DEP_4)
	v_mul_u32_u24_e32 v42, 0x10001, v42
	v_mul_u32_u24_e32 v43, 0x10001, v43
	s_delay_alu instid0(VALU_DEP_4) | instskip(NEXT) | instid1(VALU_DEP_4)
	v_pk_fma_f16 v46, v45, v47, v46
	v_pk_fma_f16 v48, v45, v48, v44
	s_delay_alu instid0(VALU_DEP_4) | instskip(NEXT) | instid1(VALU_DEP_4)
	v_pk_fma_f16 v49, v45, v42, v40
	v_pk_fma_f16 v47, v45, v43, v41
	ds_load_2addr_b32 v[44:45], v88 offset0:128 offset1:160
	;; [unrolled: 35-line block ×3, first 2 shown]
	ds_load_b128 v[40:43], v75 offset:304
	s_wait_dscnt 0x0
	v_lshrrev_b32_e32 v50, 16, v40
	v_lshrrev_b32_e32 v51, 16, v41
	v_and_b32_e32 v40, 0xffff, v40
	v_and_b32_e32 v41, 0xffff, v41
	s_delay_alu instid0(VALU_DEP_4) | instskip(NEXT) | instid1(VALU_DEP_4)
	v_mul_u32_u24_e32 v50, 0x10001, v50
	v_mul_u32_u24_e32 v51, 0x10001, v51
	s_delay_alu instid0(VALU_DEP_4) | instskip(NEXT) | instid1(VALU_DEP_4)
	v_mul_u32_u24_e32 v40, 0x10001, v40
	v_mul_u32_u24_e32 v41, 0x10001, v41
	s_delay_alu instid0(VALU_DEP_4) | instskip(NEXT) | instid1(VALU_DEP_3)
	v_pk_fma_f16 v46, v44, v50, v46
	v_pk_fma_f16 v40, v44, v40, v49
	s_delay_alu instid0(VALU_DEP_3)
	v_pk_fma_f16 v41, v44, v41, v47
	v_pk_fma_f16 v44, v44, v51, v48
	v_lshrrev_b32_e32 v47, 16, v42
	v_lshrrev_b32_e32 v48, 16, v43
	v_and_b32_e32 v42, 0xffff, v42
	v_and_b32_e32 v43, 0xffff, v43
	s_delay_alu instid0(VALU_DEP_4) | instskip(NEXT) | instid1(VALU_DEP_4)
	v_mul_u32_u24_e32 v47, 0x10001, v47
	v_mul_u32_u24_e32 v48, 0x10001, v48
	s_delay_alu instid0(VALU_DEP_4) | instskip(NEXT) | instid1(VALU_DEP_4)
	v_mul_u32_u24_e32 v42, 0x10001, v42
	v_mul_u32_u24_e32 v43, 0x10001, v43
	s_delay_alu instid0(VALU_DEP_4) | instskip(NEXT) | instid1(VALU_DEP_4)
	v_pk_fma_f16 v46, v45, v47, v46
	v_pk_fma_f16 v48, v45, v48, v44
	s_delay_alu instid0(VALU_DEP_4) | instskip(NEXT) | instid1(VALU_DEP_4)
	v_pk_fma_f16 v49, v45, v42, v40
	v_pk_fma_f16 v47, v45, v43, v41
	ds_load_2addr_b32 v[44:45], v89 offset1:32
	ds_load_b128 v[40:43], v75 offset:320
	s_wait_dscnt 0x0
	v_lshrrev_b32_e32 v50, 16, v40
	v_lshrrev_b32_e32 v51, 16, v41
	v_and_b32_e32 v40, 0xffff, v40
	v_and_b32_e32 v41, 0xffff, v41
	s_delay_alu instid0(VALU_DEP_4) | instskip(NEXT) | instid1(VALU_DEP_4)
	v_mul_u32_u24_e32 v50, 0x10001, v50
	v_mul_u32_u24_e32 v51, 0x10001, v51
	s_delay_alu instid0(VALU_DEP_4) | instskip(NEXT) | instid1(VALU_DEP_4)
	v_mul_u32_u24_e32 v40, 0x10001, v40
	v_mul_u32_u24_e32 v41, 0x10001, v41
	s_delay_alu instid0(VALU_DEP_4) | instskip(NEXT) | instid1(VALU_DEP_3)
	v_pk_fma_f16 v46, v44, v50, v46
	v_pk_fma_f16 v40, v44, v40, v49
	s_delay_alu instid0(VALU_DEP_3)
	v_pk_fma_f16 v41, v44, v41, v47
	v_pk_fma_f16 v44, v44, v51, v48
	v_lshrrev_b32_e32 v47, 16, v42
	v_lshrrev_b32_e32 v48, 16, v43
	v_and_b32_e32 v42, 0xffff, v42
	v_and_b32_e32 v43, 0xffff, v43
	s_delay_alu instid0(VALU_DEP_4) | instskip(NEXT) | instid1(VALU_DEP_4)
	v_mul_u32_u24_e32 v47, 0x10001, v47
	v_mul_u32_u24_e32 v48, 0x10001, v48
	s_delay_alu instid0(VALU_DEP_4) | instskip(NEXT) | instid1(VALU_DEP_4)
	v_mul_u32_u24_e32 v42, 0x10001, v42
	v_mul_u32_u24_e32 v43, 0x10001, v43
	s_delay_alu instid0(VALU_DEP_4) | instskip(NEXT) | instid1(VALU_DEP_4)
	v_pk_fma_f16 v46, v45, v47, v46
	v_pk_fma_f16 v48, v45, v48, v44
	s_delay_alu instid0(VALU_DEP_4) | instskip(NEXT) | instid1(VALU_DEP_4)
	v_pk_fma_f16 v49, v45, v42, v40
	v_pk_fma_f16 v47, v45, v43, v41
	ds_load_2addr_b32 v[44:45], v89 offset0:64 offset1:96
	ds_load_b128 v[40:43], v75 offset:336
	s_wait_dscnt 0x0
	v_lshrrev_b32_e32 v50, 16, v40
	v_lshrrev_b32_e32 v51, 16, v41
	v_and_b32_e32 v40, 0xffff, v40
	v_and_b32_e32 v41, 0xffff, v41
	s_delay_alu instid0(VALU_DEP_4) | instskip(NEXT) | instid1(VALU_DEP_4)
	v_mul_u32_u24_e32 v50, 0x10001, v50
	v_mul_u32_u24_e32 v51, 0x10001, v51
	s_delay_alu instid0(VALU_DEP_4) | instskip(NEXT) | instid1(VALU_DEP_4)
	v_mul_u32_u24_e32 v40, 0x10001, v40
	v_mul_u32_u24_e32 v41, 0x10001, v41
	s_delay_alu instid0(VALU_DEP_4) | instskip(NEXT) | instid1(VALU_DEP_3)
	v_pk_fma_f16 v46, v44, v50, v46
	v_pk_fma_f16 v40, v44, v40, v49
	s_delay_alu instid0(VALU_DEP_3)
	v_pk_fma_f16 v41, v44, v41, v47
	v_pk_fma_f16 v44, v44, v51, v48
	v_lshrrev_b32_e32 v47, 16, v42
	v_lshrrev_b32_e32 v48, 16, v43
	v_and_b32_e32 v42, 0xffff, v42
	v_and_b32_e32 v43, 0xffff, v43
	s_delay_alu instid0(VALU_DEP_4) | instskip(NEXT) | instid1(VALU_DEP_4)
	v_mul_u32_u24_e32 v47, 0x10001, v47
	v_mul_u32_u24_e32 v48, 0x10001, v48
	s_delay_alu instid0(VALU_DEP_4) | instskip(NEXT) | instid1(VALU_DEP_4)
	v_mul_u32_u24_e32 v42, 0x10001, v42
	v_mul_u32_u24_e32 v43, 0x10001, v43
	s_delay_alu instid0(VALU_DEP_4) | instskip(NEXT) | instid1(VALU_DEP_4)
	v_pk_fma_f16 v46, v45, v47, v46
	v_pk_fma_f16 v48, v45, v48, v44
	s_delay_alu instid0(VALU_DEP_4) | instskip(NEXT) | instid1(VALU_DEP_4)
	v_pk_fma_f16 v49, v45, v42, v40
	v_pk_fma_f16 v47, v45, v43, v41
	ds_load_2addr_b32 v[44:45], v89 offset0:128 offset1:160
	;; [unrolled: 35-line block ×3, first 2 shown]
	ds_load_b128 v[40:43], v75 offset:368
	s_wait_dscnt 0x0
	v_lshrrev_b32_e32 v50, 16, v40
	v_lshrrev_b32_e32 v51, 16, v41
	v_and_b32_e32 v40, 0xffff, v40
	v_and_b32_e32 v41, 0xffff, v41
	s_delay_alu instid0(VALU_DEP_4) | instskip(NEXT) | instid1(VALU_DEP_4)
	v_mul_u32_u24_e32 v50, 0x10001, v50
	v_mul_u32_u24_e32 v51, 0x10001, v51
	s_delay_alu instid0(VALU_DEP_4) | instskip(NEXT) | instid1(VALU_DEP_4)
	v_mul_u32_u24_e32 v40, 0x10001, v40
	v_mul_u32_u24_e32 v41, 0x10001, v41
	s_delay_alu instid0(VALU_DEP_4) | instskip(NEXT) | instid1(VALU_DEP_3)
	v_pk_fma_f16 v46, v44, v50, v46
	v_pk_fma_f16 v40, v44, v40, v49
	s_delay_alu instid0(VALU_DEP_3)
	v_pk_fma_f16 v41, v44, v41, v47
	v_pk_fma_f16 v44, v44, v51, v48
	v_lshrrev_b32_e32 v47, 16, v42
	v_lshrrev_b32_e32 v48, 16, v43
	v_and_b32_e32 v42, 0xffff, v42
	v_and_b32_e32 v43, 0xffff, v43
	s_delay_alu instid0(VALU_DEP_4) | instskip(NEXT) | instid1(VALU_DEP_4)
	v_mul_u32_u24_e32 v47, 0x10001, v47
	v_mul_u32_u24_e32 v48, 0x10001, v48
	s_delay_alu instid0(VALU_DEP_4) | instskip(NEXT) | instid1(VALU_DEP_4)
	v_mul_u32_u24_e32 v42, 0x10001, v42
	v_mul_u32_u24_e32 v43, 0x10001, v43
	s_delay_alu instid0(VALU_DEP_4) | instskip(NEXT) | instid1(VALU_DEP_4)
	v_pk_fma_f16 v46, v45, v47, v46
	v_pk_fma_f16 v48, v45, v48, v44
	s_delay_alu instid0(VALU_DEP_4) | instskip(NEXT) | instid1(VALU_DEP_4)
	v_pk_fma_f16 v49, v45, v42, v40
	v_pk_fma_f16 v47, v45, v43, v41
	ds_load_2addr_b32 v[44:45], v90 offset1:32
	ds_load_b128 v[40:43], v75 offset:384
	s_wait_dscnt 0x0
	v_lshrrev_b32_e32 v50, 16, v40
	v_lshrrev_b32_e32 v51, 16, v41
	v_and_b32_e32 v40, 0xffff, v40
	v_and_b32_e32 v41, 0xffff, v41
	s_delay_alu instid0(VALU_DEP_4) | instskip(NEXT) | instid1(VALU_DEP_4)
	v_mul_u32_u24_e32 v50, 0x10001, v50
	v_mul_u32_u24_e32 v51, 0x10001, v51
	s_delay_alu instid0(VALU_DEP_4) | instskip(NEXT) | instid1(VALU_DEP_4)
	v_mul_u32_u24_e32 v40, 0x10001, v40
	v_mul_u32_u24_e32 v41, 0x10001, v41
	s_delay_alu instid0(VALU_DEP_4) | instskip(NEXT) | instid1(VALU_DEP_3)
	v_pk_fma_f16 v46, v44, v50, v46
	v_pk_fma_f16 v40, v44, v40, v49
	s_delay_alu instid0(VALU_DEP_3)
	v_pk_fma_f16 v41, v44, v41, v47
	v_pk_fma_f16 v44, v44, v51, v48
	v_lshrrev_b32_e32 v47, 16, v42
	v_lshrrev_b32_e32 v48, 16, v43
	v_and_b32_e32 v42, 0xffff, v42
	v_and_b32_e32 v43, 0xffff, v43
	s_delay_alu instid0(VALU_DEP_4) | instskip(NEXT) | instid1(VALU_DEP_4)
	v_mul_u32_u24_e32 v47, 0x10001, v47
	v_mul_u32_u24_e32 v48, 0x10001, v48
	s_delay_alu instid0(VALU_DEP_4) | instskip(NEXT) | instid1(VALU_DEP_4)
	v_mul_u32_u24_e32 v42, 0x10001, v42
	v_mul_u32_u24_e32 v43, 0x10001, v43
	s_delay_alu instid0(VALU_DEP_4) | instskip(NEXT) | instid1(VALU_DEP_4)
	v_pk_fma_f16 v46, v45, v47, v46
	v_pk_fma_f16 v48, v45, v48, v44
	s_delay_alu instid0(VALU_DEP_4) | instskip(NEXT) | instid1(VALU_DEP_4)
	v_pk_fma_f16 v49, v45, v42, v40
	v_pk_fma_f16 v47, v45, v43, v41
	ds_load_2addr_b32 v[44:45], v90 offset0:64 offset1:96
	ds_load_b128 v[40:43], v75 offset:400
	s_wait_dscnt 0x0
	v_lshrrev_b32_e32 v50, 16, v40
	v_lshrrev_b32_e32 v51, 16, v41
	v_and_b32_e32 v40, 0xffff, v40
	v_and_b32_e32 v41, 0xffff, v41
	s_delay_alu instid0(VALU_DEP_4) | instskip(NEXT) | instid1(VALU_DEP_4)
	v_mul_u32_u24_e32 v50, 0x10001, v50
	v_mul_u32_u24_e32 v51, 0x10001, v51
	s_delay_alu instid0(VALU_DEP_4) | instskip(NEXT) | instid1(VALU_DEP_4)
	v_mul_u32_u24_e32 v40, 0x10001, v40
	v_mul_u32_u24_e32 v41, 0x10001, v41
	s_delay_alu instid0(VALU_DEP_4) | instskip(NEXT) | instid1(VALU_DEP_3)
	v_pk_fma_f16 v46, v44, v50, v46
	v_pk_fma_f16 v40, v44, v40, v49
	s_delay_alu instid0(VALU_DEP_3)
	v_pk_fma_f16 v41, v44, v41, v47
	v_pk_fma_f16 v44, v44, v51, v48
	v_lshrrev_b32_e32 v47, 16, v42
	v_lshrrev_b32_e32 v48, 16, v43
	v_and_b32_e32 v42, 0xffff, v42
	v_and_b32_e32 v43, 0xffff, v43
	s_delay_alu instid0(VALU_DEP_4) | instskip(NEXT) | instid1(VALU_DEP_4)
	v_mul_u32_u24_e32 v47, 0x10001, v47
	v_mul_u32_u24_e32 v48, 0x10001, v48
	s_delay_alu instid0(VALU_DEP_4) | instskip(NEXT) | instid1(VALU_DEP_4)
	v_mul_u32_u24_e32 v42, 0x10001, v42
	v_mul_u32_u24_e32 v43, 0x10001, v43
	s_delay_alu instid0(VALU_DEP_4) | instskip(NEXT) | instid1(VALU_DEP_4)
	v_pk_fma_f16 v46, v45, v47, v46
	v_pk_fma_f16 v48, v45, v48, v44
	s_delay_alu instid0(VALU_DEP_4) | instskip(NEXT) | instid1(VALU_DEP_4)
	v_pk_fma_f16 v49, v45, v42, v40
	v_pk_fma_f16 v47, v45, v43, v41
	ds_load_2addr_b32 v[44:45], v90 offset0:128 offset1:160
	;; [unrolled: 35-line block ×3, first 2 shown]
	ds_load_b128 v[40:43], v75 offset:432
	s_wait_dscnt 0x0
	v_lshrrev_b32_e32 v50, 16, v40
	v_lshrrev_b32_e32 v51, 16, v41
	v_and_b32_e32 v40, 0xffff, v40
	v_and_b32_e32 v41, 0xffff, v41
	s_delay_alu instid0(VALU_DEP_4) | instskip(NEXT) | instid1(VALU_DEP_4)
	v_mul_u32_u24_e32 v50, 0x10001, v50
	v_mul_u32_u24_e32 v51, 0x10001, v51
	s_delay_alu instid0(VALU_DEP_4) | instskip(NEXT) | instid1(VALU_DEP_4)
	v_mul_u32_u24_e32 v40, 0x10001, v40
	v_mul_u32_u24_e32 v41, 0x10001, v41
	s_delay_alu instid0(VALU_DEP_4) | instskip(NEXT) | instid1(VALU_DEP_3)
	v_pk_fma_f16 v46, v44, v50, v46
	v_pk_fma_f16 v40, v44, v40, v49
	s_delay_alu instid0(VALU_DEP_3)
	v_pk_fma_f16 v41, v44, v41, v47
	v_pk_fma_f16 v44, v44, v51, v48
	v_lshrrev_b32_e32 v47, 16, v42
	v_lshrrev_b32_e32 v48, 16, v43
	v_and_b32_e32 v42, 0xffff, v42
	v_and_b32_e32 v43, 0xffff, v43
	s_delay_alu instid0(VALU_DEP_4) | instskip(NEXT) | instid1(VALU_DEP_4)
	v_mul_u32_u24_e32 v47, 0x10001, v47
	v_mul_u32_u24_e32 v48, 0x10001, v48
	s_delay_alu instid0(VALU_DEP_4) | instskip(NEXT) | instid1(VALU_DEP_4)
	v_mul_u32_u24_e32 v42, 0x10001, v42
	v_mul_u32_u24_e32 v43, 0x10001, v43
	s_delay_alu instid0(VALU_DEP_4) | instskip(NEXT) | instid1(VALU_DEP_4)
	v_pk_fma_f16 v46, v45, v47, v46
	v_pk_fma_f16 v48, v45, v48, v44
	s_delay_alu instid0(VALU_DEP_4) | instskip(NEXT) | instid1(VALU_DEP_4)
	v_pk_fma_f16 v49, v45, v42, v40
	v_pk_fma_f16 v47, v45, v43, v41
	ds_load_2addr_b32 v[44:45], v91 offset1:32
	ds_load_b128 v[40:43], v75 offset:448
	s_wait_dscnt 0x0
	v_lshrrev_b32_e32 v50, 16, v40
	v_lshrrev_b32_e32 v51, 16, v41
	v_and_b32_e32 v40, 0xffff, v40
	v_and_b32_e32 v41, 0xffff, v41
	s_delay_alu instid0(VALU_DEP_4) | instskip(NEXT) | instid1(VALU_DEP_4)
	v_mul_u32_u24_e32 v50, 0x10001, v50
	v_mul_u32_u24_e32 v51, 0x10001, v51
	s_delay_alu instid0(VALU_DEP_4) | instskip(NEXT) | instid1(VALU_DEP_4)
	v_mul_u32_u24_e32 v40, 0x10001, v40
	v_mul_u32_u24_e32 v41, 0x10001, v41
	s_delay_alu instid0(VALU_DEP_4) | instskip(NEXT) | instid1(VALU_DEP_3)
	v_pk_fma_f16 v46, v44, v50, v46
	v_pk_fma_f16 v40, v44, v40, v49
	s_delay_alu instid0(VALU_DEP_3)
	v_pk_fma_f16 v41, v44, v41, v47
	v_pk_fma_f16 v44, v44, v51, v48
	v_lshrrev_b32_e32 v47, 16, v42
	v_lshrrev_b32_e32 v48, 16, v43
	v_and_b32_e32 v42, 0xffff, v42
	v_and_b32_e32 v43, 0xffff, v43
	s_delay_alu instid0(VALU_DEP_4) | instskip(NEXT) | instid1(VALU_DEP_4)
	v_mul_u32_u24_e32 v47, 0x10001, v47
	v_mul_u32_u24_e32 v48, 0x10001, v48
	s_delay_alu instid0(VALU_DEP_4) | instskip(NEXT) | instid1(VALU_DEP_4)
	v_mul_u32_u24_e32 v42, 0x10001, v42
	v_mul_u32_u24_e32 v43, 0x10001, v43
	s_delay_alu instid0(VALU_DEP_4) | instskip(NEXT) | instid1(VALU_DEP_4)
	v_pk_fma_f16 v46, v45, v47, v46
	v_pk_fma_f16 v48, v45, v48, v44
	s_delay_alu instid0(VALU_DEP_4) | instskip(NEXT) | instid1(VALU_DEP_4)
	v_pk_fma_f16 v49, v45, v42, v40
	v_pk_fma_f16 v47, v45, v43, v41
	ds_load_2addr_b32 v[44:45], v91 offset0:64 offset1:96
	ds_load_b128 v[40:43], v75 offset:464
	s_wait_dscnt 0x0
	v_lshrrev_b32_e32 v50, 16, v40
	v_lshrrev_b32_e32 v51, 16, v41
	v_and_b32_e32 v40, 0xffff, v40
	v_and_b32_e32 v41, 0xffff, v41
	s_delay_alu instid0(VALU_DEP_4) | instskip(NEXT) | instid1(VALU_DEP_4)
	v_mul_u32_u24_e32 v50, 0x10001, v50
	v_mul_u32_u24_e32 v51, 0x10001, v51
	s_delay_alu instid0(VALU_DEP_4) | instskip(NEXT) | instid1(VALU_DEP_4)
	v_mul_u32_u24_e32 v40, 0x10001, v40
	v_mul_u32_u24_e32 v41, 0x10001, v41
	s_delay_alu instid0(VALU_DEP_4) | instskip(NEXT) | instid1(VALU_DEP_3)
	v_pk_fma_f16 v46, v44, v50, v46
	v_pk_fma_f16 v40, v44, v40, v49
	s_delay_alu instid0(VALU_DEP_3)
	v_pk_fma_f16 v41, v44, v41, v47
	v_pk_fma_f16 v44, v44, v51, v48
	v_lshrrev_b32_e32 v47, 16, v42
	v_lshrrev_b32_e32 v48, 16, v43
	v_and_b32_e32 v42, 0xffff, v42
	v_and_b32_e32 v43, 0xffff, v43
	s_delay_alu instid0(VALU_DEP_4) | instskip(NEXT) | instid1(VALU_DEP_4)
	v_mul_u32_u24_e32 v47, 0x10001, v47
	v_mul_u32_u24_e32 v48, 0x10001, v48
	s_delay_alu instid0(VALU_DEP_4) | instskip(NEXT) | instid1(VALU_DEP_4)
	v_mul_u32_u24_e32 v42, 0x10001, v42
	v_mul_u32_u24_e32 v43, 0x10001, v43
	s_delay_alu instid0(VALU_DEP_4) | instskip(NEXT) | instid1(VALU_DEP_4)
	v_pk_fma_f16 v46, v45, v47, v46
	v_pk_fma_f16 v48, v45, v48, v44
	s_delay_alu instid0(VALU_DEP_4) | instskip(NEXT) | instid1(VALU_DEP_4)
	v_pk_fma_f16 v49, v45, v42, v40
	v_pk_fma_f16 v47, v45, v43, v41
	ds_load_2addr_b32 v[44:45], v91 offset0:128 offset1:160
	;; [unrolled: 35-line block ×3, first 2 shown]
	ds_load_b128 v[40:43], v75 offset:496
	s_wait_dscnt 0x0
	v_lshrrev_b32_e32 v50, 16, v40
	v_lshrrev_b32_e32 v51, 16, v41
	v_and_b32_e32 v40, 0xffff, v40
	v_and_b32_e32 v41, 0xffff, v41
	s_delay_alu instid0(VALU_DEP_4) | instskip(NEXT) | instid1(VALU_DEP_4)
	v_mul_u32_u24_e32 v50, 0x10001, v50
	v_mul_u32_u24_e32 v51, 0x10001, v51
	s_delay_alu instid0(VALU_DEP_4) | instskip(NEXT) | instid1(VALU_DEP_4)
	v_mul_u32_u24_e32 v40, 0x10001, v40
	v_mul_u32_u24_e32 v41, 0x10001, v41
	s_delay_alu instid0(VALU_DEP_4) | instskip(NEXT) | instid1(VALU_DEP_3)
	v_pk_fma_f16 v46, v44, v50, v46
	v_pk_fma_f16 v40, v44, v40, v49
	s_delay_alu instid0(VALU_DEP_3)
	v_pk_fma_f16 v41, v44, v41, v47
	v_pk_fma_f16 v44, v44, v51, v48
	v_lshrrev_b32_e32 v47, 16, v42
	v_lshrrev_b32_e32 v48, 16, v43
	v_and_b32_e32 v42, 0xffff, v42
	v_and_b32_e32 v43, 0xffff, v43
	s_delay_alu instid0(VALU_DEP_4) | instskip(NEXT) | instid1(VALU_DEP_4)
	v_mul_u32_u24_e32 v47, 0x10001, v47
	v_mul_u32_u24_e32 v48, 0x10001, v48
	s_delay_alu instid0(VALU_DEP_4) | instskip(NEXT) | instid1(VALU_DEP_4)
	v_mul_u32_u24_e32 v42, 0x10001, v42
	v_mul_u32_u24_e32 v43, 0x10001, v43
	s_delay_alu instid0(VALU_DEP_4) | instskip(NEXT) | instid1(VALU_DEP_4)
	v_pk_fma_f16 v46, v45, v47, v46
	v_pk_fma_f16 v48, v45, v48, v44
	s_delay_alu instid0(VALU_DEP_4) | instskip(NEXT) | instid1(VALU_DEP_4)
	v_pk_fma_f16 v49, v45, v42, v40
	v_pk_fma_f16 v47, v45, v43, v41
	ds_load_2addr_b32 v[44:45], v92 offset1:32
	ds_load_b128 v[40:43], v75 offset:512
	s_wait_dscnt 0x0
	v_lshrrev_b32_e32 v50, 16, v40
	v_lshrrev_b32_e32 v51, 16, v41
	v_and_b32_e32 v40, 0xffff, v40
	v_and_b32_e32 v41, 0xffff, v41
	s_delay_alu instid0(VALU_DEP_4) | instskip(NEXT) | instid1(VALU_DEP_4)
	v_mul_u32_u24_e32 v50, 0x10001, v50
	v_mul_u32_u24_e32 v51, 0x10001, v51
	s_delay_alu instid0(VALU_DEP_4) | instskip(NEXT) | instid1(VALU_DEP_4)
	v_mul_u32_u24_e32 v40, 0x10001, v40
	v_mul_u32_u24_e32 v41, 0x10001, v41
	s_delay_alu instid0(VALU_DEP_4) | instskip(NEXT) | instid1(VALU_DEP_3)
	v_pk_fma_f16 v46, v44, v50, v46
	v_pk_fma_f16 v40, v44, v40, v49
	s_delay_alu instid0(VALU_DEP_3)
	v_pk_fma_f16 v41, v44, v41, v47
	v_pk_fma_f16 v44, v44, v51, v48
	v_lshrrev_b32_e32 v47, 16, v42
	v_lshrrev_b32_e32 v48, 16, v43
	v_and_b32_e32 v42, 0xffff, v42
	v_and_b32_e32 v43, 0xffff, v43
	s_delay_alu instid0(VALU_DEP_4) | instskip(NEXT) | instid1(VALU_DEP_4)
	v_mul_u32_u24_e32 v47, 0x10001, v47
	v_mul_u32_u24_e32 v48, 0x10001, v48
	s_delay_alu instid0(VALU_DEP_4) | instskip(NEXT) | instid1(VALU_DEP_4)
	v_mul_u32_u24_e32 v42, 0x10001, v42
	v_mul_u32_u24_e32 v43, 0x10001, v43
	s_delay_alu instid0(VALU_DEP_4) | instskip(NEXT) | instid1(VALU_DEP_4)
	v_pk_fma_f16 v46, v45, v47, v46
	v_pk_fma_f16 v48, v45, v48, v44
	s_delay_alu instid0(VALU_DEP_4) | instskip(NEXT) | instid1(VALU_DEP_4)
	v_pk_fma_f16 v49, v45, v42, v40
	v_pk_fma_f16 v47, v45, v43, v41
	ds_load_2addr_b32 v[44:45], v92 offset0:64 offset1:96
	ds_load_b128 v[40:43], v75 offset:528
	s_wait_dscnt 0x0
	v_lshrrev_b32_e32 v50, 16, v40
	v_lshrrev_b32_e32 v51, 16, v41
	v_and_b32_e32 v40, 0xffff, v40
	v_and_b32_e32 v41, 0xffff, v41
	s_delay_alu instid0(VALU_DEP_4) | instskip(NEXT) | instid1(VALU_DEP_4)
	v_mul_u32_u24_e32 v50, 0x10001, v50
	v_mul_u32_u24_e32 v51, 0x10001, v51
	s_delay_alu instid0(VALU_DEP_4) | instskip(NEXT) | instid1(VALU_DEP_4)
	v_mul_u32_u24_e32 v40, 0x10001, v40
	v_mul_u32_u24_e32 v41, 0x10001, v41
	s_delay_alu instid0(VALU_DEP_4) | instskip(NEXT) | instid1(VALU_DEP_3)
	v_pk_fma_f16 v46, v44, v50, v46
	v_pk_fma_f16 v40, v44, v40, v49
	s_delay_alu instid0(VALU_DEP_3)
	v_pk_fma_f16 v41, v44, v41, v47
	v_pk_fma_f16 v44, v44, v51, v48
	v_lshrrev_b32_e32 v47, 16, v42
	v_lshrrev_b32_e32 v48, 16, v43
	v_and_b32_e32 v42, 0xffff, v42
	v_and_b32_e32 v43, 0xffff, v43
	s_delay_alu instid0(VALU_DEP_4) | instskip(NEXT) | instid1(VALU_DEP_4)
	v_mul_u32_u24_e32 v47, 0x10001, v47
	v_mul_u32_u24_e32 v48, 0x10001, v48
	s_delay_alu instid0(VALU_DEP_4) | instskip(NEXT) | instid1(VALU_DEP_4)
	v_mul_u32_u24_e32 v42, 0x10001, v42
	v_mul_u32_u24_e32 v43, 0x10001, v43
	s_delay_alu instid0(VALU_DEP_4) | instskip(NEXT) | instid1(VALU_DEP_4)
	v_pk_fma_f16 v46, v45, v47, v46
	v_pk_fma_f16 v48, v45, v48, v44
	s_delay_alu instid0(VALU_DEP_4) | instskip(NEXT) | instid1(VALU_DEP_4)
	v_pk_fma_f16 v49, v45, v42, v40
	v_pk_fma_f16 v47, v45, v43, v41
	ds_load_2addr_b32 v[44:45], v92 offset0:128 offset1:160
	;; [unrolled: 35-line block ×3, first 2 shown]
	ds_load_b128 v[40:43], v75 offset:560
	s_wait_dscnt 0x0
	v_lshrrev_b32_e32 v50, 16, v40
	v_lshrrev_b32_e32 v51, 16, v41
	v_and_b32_e32 v40, 0xffff, v40
	v_and_b32_e32 v41, 0xffff, v41
	s_delay_alu instid0(VALU_DEP_4) | instskip(NEXT) | instid1(VALU_DEP_4)
	v_mul_u32_u24_e32 v50, 0x10001, v50
	v_mul_u32_u24_e32 v51, 0x10001, v51
	s_delay_alu instid0(VALU_DEP_4) | instskip(NEXT) | instid1(VALU_DEP_4)
	v_mul_u32_u24_e32 v40, 0x10001, v40
	v_mul_u32_u24_e32 v41, 0x10001, v41
	s_delay_alu instid0(VALU_DEP_4) | instskip(NEXT) | instid1(VALU_DEP_3)
	v_pk_fma_f16 v46, v44, v50, v46
	v_pk_fma_f16 v40, v44, v40, v49
	s_delay_alu instid0(VALU_DEP_3)
	v_pk_fma_f16 v41, v44, v41, v47
	v_pk_fma_f16 v44, v44, v51, v48
	v_lshrrev_b32_e32 v47, 16, v42
	v_lshrrev_b32_e32 v48, 16, v43
	v_and_b32_e32 v42, 0xffff, v42
	v_and_b32_e32 v43, 0xffff, v43
	s_delay_alu instid0(VALU_DEP_4) | instskip(NEXT) | instid1(VALU_DEP_4)
	v_mul_u32_u24_e32 v47, 0x10001, v47
	v_mul_u32_u24_e32 v48, 0x10001, v48
	s_delay_alu instid0(VALU_DEP_4) | instskip(NEXT) | instid1(VALU_DEP_4)
	v_mul_u32_u24_e32 v42, 0x10001, v42
	v_mul_u32_u24_e32 v43, 0x10001, v43
	s_delay_alu instid0(VALU_DEP_4) | instskip(NEXT) | instid1(VALU_DEP_4)
	v_pk_fma_f16 v46, v45, v47, v46
	v_pk_fma_f16 v48, v45, v48, v44
	s_delay_alu instid0(VALU_DEP_4) | instskip(NEXT) | instid1(VALU_DEP_4)
	v_pk_fma_f16 v49, v45, v42, v40
	v_pk_fma_f16 v47, v45, v43, v41
	ds_load_2addr_b32 v[44:45], v93 offset1:32
	ds_load_b128 v[40:43], v75 offset:576
	s_wait_dscnt 0x0
	v_lshrrev_b32_e32 v50, 16, v40
	v_lshrrev_b32_e32 v51, 16, v41
	v_and_b32_e32 v40, 0xffff, v40
	v_and_b32_e32 v41, 0xffff, v41
	s_delay_alu instid0(VALU_DEP_4) | instskip(NEXT) | instid1(VALU_DEP_4)
	v_mul_u32_u24_e32 v50, 0x10001, v50
	v_mul_u32_u24_e32 v51, 0x10001, v51
	s_delay_alu instid0(VALU_DEP_4) | instskip(NEXT) | instid1(VALU_DEP_4)
	v_mul_u32_u24_e32 v40, 0x10001, v40
	v_mul_u32_u24_e32 v41, 0x10001, v41
	s_delay_alu instid0(VALU_DEP_4) | instskip(NEXT) | instid1(VALU_DEP_3)
	v_pk_fma_f16 v46, v44, v50, v46
	v_pk_fma_f16 v40, v44, v40, v49
	s_delay_alu instid0(VALU_DEP_3)
	v_pk_fma_f16 v41, v44, v41, v47
	v_pk_fma_f16 v44, v44, v51, v48
	v_lshrrev_b32_e32 v47, 16, v42
	v_lshrrev_b32_e32 v48, 16, v43
	v_and_b32_e32 v42, 0xffff, v42
	v_and_b32_e32 v43, 0xffff, v43
	s_delay_alu instid0(VALU_DEP_4) | instskip(NEXT) | instid1(VALU_DEP_4)
	v_mul_u32_u24_e32 v47, 0x10001, v47
	v_mul_u32_u24_e32 v48, 0x10001, v48
	s_delay_alu instid0(VALU_DEP_4) | instskip(NEXT) | instid1(VALU_DEP_4)
	v_mul_u32_u24_e32 v42, 0x10001, v42
	v_mul_u32_u24_e32 v43, 0x10001, v43
	s_delay_alu instid0(VALU_DEP_4) | instskip(NEXT) | instid1(VALU_DEP_4)
	v_pk_fma_f16 v46, v45, v47, v46
	v_pk_fma_f16 v48, v45, v48, v44
	s_delay_alu instid0(VALU_DEP_4) | instskip(NEXT) | instid1(VALU_DEP_4)
	v_pk_fma_f16 v49, v45, v42, v40
	v_pk_fma_f16 v47, v45, v43, v41
	ds_load_2addr_b32 v[44:45], v93 offset0:64 offset1:96
	ds_load_b128 v[40:43], v75 offset:592
	s_wait_dscnt 0x0
	v_lshrrev_b32_e32 v50, 16, v40
	v_lshrrev_b32_e32 v51, 16, v41
	v_and_b32_e32 v40, 0xffff, v40
	v_and_b32_e32 v41, 0xffff, v41
	s_delay_alu instid0(VALU_DEP_4) | instskip(NEXT) | instid1(VALU_DEP_4)
	v_mul_u32_u24_e32 v50, 0x10001, v50
	v_mul_u32_u24_e32 v51, 0x10001, v51
	s_delay_alu instid0(VALU_DEP_4) | instskip(NEXT) | instid1(VALU_DEP_4)
	v_mul_u32_u24_e32 v40, 0x10001, v40
	v_mul_u32_u24_e32 v41, 0x10001, v41
	s_delay_alu instid0(VALU_DEP_4) | instskip(NEXT) | instid1(VALU_DEP_3)
	v_pk_fma_f16 v46, v44, v50, v46
	v_pk_fma_f16 v40, v44, v40, v49
	s_delay_alu instid0(VALU_DEP_3)
	v_pk_fma_f16 v41, v44, v41, v47
	v_pk_fma_f16 v44, v44, v51, v48
	v_lshrrev_b32_e32 v47, 16, v42
	v_lshrrev_b32_e32 v48, 16, v43
	v_and_b32_e32 v42, 0xffff, v42
	v_and_b32_e32 v43, 0xffff, v43
	s_delay_alu instid0(VALU_DEP_4) | instskip(NEXT) | instid1(VALU_DEP_4)
	v_mul_u32_u24_e32 v47, 0x10001, v47
	v_mul_u32_u24_e32 v48, 0x10001, v48
	s_delay_alu instid0(VALU_DEP_4) | instskip(NEXT) | instid1(VALU_DEP_4)
	v_mul_u32_u24_e32 v42, 0x10001, v42
	v_mul_u32_u24_e32 v43, 0x10001, v43
	s_delay_alu instid0(VALU_DEP_4) | instskip(NEXT) | instid1(VALU_DEP_4)
	v_pk_fma_f16 v46, v45, v47, v46
	v_pk_fma_f16 v48, v45, v48, v44
	s_delay_alu instid0(VALU_DEP_4) | instskip(NEXT) | instid1(VALU_DEP_4)
	v_pk_fma_f16 v49, v45, v42, v40
	v_pk_fma_f16 v47, v45, v43, v41
	ds_load_2addr_b32 v[44:45], v93 offset0:128 offset1:160
	;; [unrolled: 35-line block ×3, first 2 shown]
	ds_load_b128 v[40:43], v75 offset:624
	s_wait_dscnt 0x0
	v_lshrrev_b32_e32 v50, 16, v40
	v_lshrrev_b32_e32 v51, 16, v41
	v_and_b32_e32 v40, 0xffff, v40
	v_and_b32_e32 v41, 0xffff, v41
	s_delay_alu instid0(VALU_DEP_4) | instskip(NEXT) | instid1(VALU_DEP_4)
	v_mul_u32_u24_e32 v50, 0x10001, v50
	v_mul_u32_u24_e32 v51, 0x10001, v51
	s_delay_alu instid0(VALU_DEP_4) | instskip(NEXT) | instid1(VALU_DEP_4)
	v_mul_u32_u24_e32 v40, 0x10001, v40
	v_mul_u32_u24_e32 v41, 0x10001, v41
	s_delay_alu instid0(VALU_DEP_4) | instskip(NEXT) | instid1(VALU_DEP_3)
	v_pk_fma_f16 v46, v44, v50, v46
	v_pk_fma_f16 v40, v44, v40, v49
	s_delay_alu instid0(VALU_DEP_3)
	v_pk_fma_f16 v41, v44, v41, v47
	v_pk_fma_f16 v44, v44, v51, v48
	v_lshrrev_b32_e32 v47, 16, v42
	v_lshrrev_b32_e32 v48, 16, v43
	v_and_b32_e32 v42, 0xffff, v42
	v_and_b32_e32 v43, 0xffff, v43
	s_delay_alu instid0(VALU_DEP_4) | instskip(NEXT) | instid1(VALU_DEP_4)
	v_mul_u32_u24_e32 v47, 0x10001, v47
	v_mul_u32_u24_e32 v48, 0x10001, v48
	s_delay_alu instid0(VALU_DEP_4) | instskip(NEXT) | instid1(VALU_DEP_4)
	v_mul_u32_u24_e32 v42, 0x10001, v42
	v_mul_u32_u24_e32 v43, 0x10001, v43
	s_delay_alu instid0(VALU_DEP_4) | instskip(NEXT) | instid1(VALU_DEP_4)
	v_pk_fma_f16 v46, v45, v47, v46
	v_pk_fma_f16 v48, v45, v48, v44
	s_delay_alu instid0(VALU_DEP_4) | instskip(NEXT) | instid1(VALU_DEP_4)
	v_pk_fma_f16 v49, v45, v42, v40
	v_pk_fma_f16 v47, v45, v43, v41
	ds_load_2addr_b32 v[44:45], v94 offset1:32
	ds_load_b128 v[40:43], v75 offset:640
	s_wait_dscnt 0x0
	v_lshrrev_b32_e32 v50, 16, v40
	v_lshrrev_b32_e32 v51, 16, v41
	v_and_b32_e32 v40, 0xffff, v40
	v_and_b32_e32 v41, 0xffff, v41
	s_delay_alu instid0(VALU_DEP_4) | instskip(NEXT) | instid1(VALU_DEP_4)
	v_mul_u32_u24_e32 v50, 0x10001, v50
	v_mul_u32_u24_e32 v51, 0x10001, v51
	s_delay_alu instid0(VALU_DEP_4) | instskip(NEXT) | instid1(VALU_DEP_4)
	v_mul_u32_u24_e32 v40, 0x10001, v40
	v_mul_u32_u24_e32 v41, 0x10001, v41
	s_delay_alu instid0(VALU_DEP_4) | instskip(NEXT) | instid1(VALU_DEP_3)
	v_pk_fma_f16 v46, v44, v50, v46
	v_pk_fma_f16 v40, v44, v40, v49
	s_delay_alu instid0(VALU_DEP_3)
	v_pk_fma_f16 v41, v44, v41, v47
	v_pk_fma_f16 v44, v44, v51, v48
	v_lshrrev_b32_e32 v47, 16, v42
	v_lshrrev_b32_e32 v48, 16, v43
	v_and_b32_e32 v42, 0xffff, v42
	v_and_b32_e32 v43, 0xffff, v43
	s_delay_alu instid0(VALU_DEP_4) | instskip(NEXT) | instid1(VALU_DEP_4)
	v_mul_u32_u24_e32 v47, 0x10001, v47
	v_mul_u32_u24_e32 v48, 0x10001, v48
	s_delay_alu instid0(VALU_DEP_4) | instskip(NEXT) | instid1(VALU_DEP_4)
	v_mul_u32_u24_e32 v42, 0x10001, v42
	v_mul_u32_u24_e32 v43, 0x10001, v43
	s_delay_alu instid0(VALU_DEP_4) | instskip(NEXT) | instid1(VALU_DEP_4)
	v_pk_fma_f16 v46, v45, v47, v46
	v_pk_fma_f16 v48, v45, v48, v44
	s_delay_alu instid0(VALU_DEP_4) | instskip(NEXT) | instid1(VALU_DEP_4)
	v_pk_fma_f16 v49, v45, v42, v40
	v_pk_fma_f16 v47, v45, v43, v41
	ds_load_2addr_b32 v[44:45], v94 offset0:64 offset1:96
	ds_load_b128 v[40:43], v75 offset:656
	s_wait_dscnt 0x0
	v_lshrrev_b32_e32 v50, 16, v40
	v_lshrrev_b32_e32 v51, 16, v41
	v_and_b32_e32 v40, 0xffff, v40
	v_and_b32_e32 v41, 0xffff, v41
	s_delay_alu instid0(VALU_DEP_4) | instskip(NEXT) | instid1(VALU_DEP_4)
	v_mul_u32_u24_e32 v50, 0x10001, v50
	v_mul_u32_u24_e32 v51, 0x10001, v51
	s_delay_alu instid0(VALU_DEP_4) | instskip(NEXT) | instid1(VALU_DEP_4)
	v_mul_u32_u24_e32 v40, 0x10001, v40
	v_mul_u32_u24_e32 v41, 0x10001, v41
	s_delay_alu instid0(VALU_DEP_4) | instskip(NEXT) | instid1(VALU_DEP_3)
	v_pk_fma_f16 v46, v44, v50, v46
	v_pk_fma_f16 v40, v44, v40, v49
	s_delay_alu instid0(VALU_DEP_3)
	v_pk_fma_f16 v41, v44, v41, v47
	v_pk_fma_f16 v44, v44, v51, v48
	v_lshrrev_b32_e32 v47, 16, v42
	v_lshrrev_b32_e32 v48, 16, v43
	v_and_b32_e32 v42, 0xffff, v42
	v_and_b32_e32 v43, 0xffff, v43
	s_delay_alu instid0(VALU_DEP_4) | instskip(NEXT) | instid1(VALU_DEP_4)
	v_mul_u32_u24_e32 v47, 0x10001, v47
	v_mul_u32_u24_e32 v48, 0x10001, v48
	s_delay_alu instid0(VALU_DEP_4) | instskip(NEXT) | instid1(VALU_DEP_4)
	v_mul_u32_u24_e32 v42, 0x10001, v42
	v_mul_u32_u24_e32 v43, 0x10001, v43
	s_delay_alu instid0(VALU_DEP_4) | instskip(NEXT) | instid1(VALU_DEP_4)
	v_pk_fma_f16 v46, v45, v47, v46
	v_pk_fma_f16 v48, v45, v48, v44
	s_delay_alu instid0(VALU_DEP_4) | instskip(NEXT) | instid1(VALU_DEP_4)
	v_pk_fma_f16 v49, v45, v42, v40
	v_pk_fma_f16 v47, v45, v43, v41
	ds_load_2addr_b32 v[44:45], v94 offset0:128 offset1:160
	;; [unrolled: 35-line block ×3, first 2 shown]
	ds_load_b128 v[40:43], v75 offset:688
	s_wait_dscnt 0x0
	v_lshrrev_b32_e32 v50, 16, v40
	v_lshrrev_b32_e32 v51, 16, v41
	v_and_b32_e32 v40, 0xffff, v40
	v_and_b32_e32 v41, 0xffff, v41
	s_delay_alu instid0(VALU_DEP_4) | instskip(NEXT) | instid1(VALU_DEP_4)
	v_mul_u32_u24_e32 v50, 0x10001, v50
	v_mul_u32_u24_e32 v51, 0x10001, v51
	s_delay_alu instid0(VALU_DEP_4) | instskip(NEXT) | instid1(VALU_DEP_4)
	v_mul_u32_u24_e32 v40, 0x10001, v40
	v_mul_u32_u24_e32 v41, 0x10001, v41
	s_delay_alu instid0(VALU_DEP_4) | instskip(NEXT) | instid1(VALU_DEP_3)
	v_pk_fma_f16 v46, v44, v50, v46
	v_pk_fma_f16 v40, v44, v40, v49
	s_delay_alu instid0(VALU_DEP_3)
	v_pk_fma_f16 v41, v44, v41, v47
	v_pk_fma_f16 v44, v44, v51, v48
	v_lshrrev_b32_e32 v47, 16, v42
	v_lshrrev_b32_e32 v48, 16, v43
	v_and_b32_e32 v42, 0xffff, v42
	v_and_b32_e32 v43, 0xffff, v43
	s_delay_alu instid0(VALU_DEP_4) | instskip(NEXT) | instid1(VALU_DEP_4)
	v_mul_u32_u24_e32 v47, 0x10001, v47
	v_mul_u32_u24_e32 v48, 0x10001, v48
	s_delay_alu instid0(VALU_DEP_4) | instskip(NEXT) | instid1(VALU_DEP_4)
	v_mul_u32_u24_e32 v42, 0x10001, v42
	v_mul_u32_u24_e32 v43, 0x10001, v43
	s_delay_alu instid0(VALU_DEP_4) | instskip(NEXT) | instid1(VALU_DEP_4)
	v_pk_fma_f16 v46, v45, v47, v46
	v_pk_fma_f16 v48, v45, v48, v44
	s_delay_alu instid0(VALU_DEP_4) | instskip(NEXT) | instid1(VALU_DEP_4)
	v_pk_fma_f16 v49, v45, v42, v40
	v_pk_fma_f16 v47, v45, v43, v41
	ds_load_2addr_b32 v[44:45], v95 offset1:32
	ds_load_b128 v[40:43], v75 offset:704
	s_wait_dscnt 0x0
	v_lshrrev_b32_e32 v50, 16, v40
	v_lshrrev_b32_e32 v51, 16, v41
	v_and_b32_e32 v40, 0xffff, v40
	v_and_b32_e32 v41, 0xffff, v41
	s_delay_alu instid0(VALU_DEP_4) | instskip(NEXT) | instid1(VALU_DEP_4)
	v_mul_u32_u24_e32 v50, 0x10001, v50
	v_mul_u32_u24_e32 v51, 0x10001, v51
	s_delay_alu instid0(VALU_DEP_4) | instskip(NEXT) | instid1(VALU_DEP_4)
	v_mul_u32_u24_e32 v40, 0x10001, v40
	v_mul_u32_u24_e32 v41, 0x10001, v41
	s_delay_alu instid0(VALU_DEP_4) | instskip(NEXT) | instid1(VALU_DEP_3)
	v_pk_fma_f16 v46, v44, v50, v46
	v_pk_fma_f16 v40, v44, v40, v49
	s_delay_alu instid0(VALU_DEP_3)
	v_pk_fma_f16 v41, v44, v41, v47
	v_pk_fma_f16 v44, v44, v51, v48
	v_lshrrev_b32_e32 v47, 16, v42
	v_lshrrev_b32_e32 v48, 16, v43
	v_and_b32_e32 v42, 0xffff, v42
	v_and_b32_e32 v43, 0xffff, v43
	s_delay_alu instid0(VALU_DEP_4) | instskip(NEXT) | instid1(VALU_DEP_4)
	v_mul_u32_u24_e32 v47, 0x10001, v47
	v_mul_u32_u24_e32 v48, 0x10001, v48
	s_delay_alu instid0(VALU_DEP_4) | instskip(NEXT) | instid1(VALU_DEP_4)
	v_mul_u32_u24_e32 v42, 0x10001, v42
	v_mul_u32_u24_e32 v43, 0x10001, v43
	s_delay_alu instid0(VALU_DEP_4) | instskip(NEXT) | instid1(VALU_DEP_4)
	v_pk_fma_f16 v46, v45, v47, v46
	v_pk_fma_f16 v48, v45, v48, v44
	s_delay_alu instid0(VALU_DEP_4) | instskip(NEXT) | instid1(VALU_DEP_4)
	v_pk_fma_f16 v49, v45, v42, v40
	v_pk_fma_f16 v47, v45, v43, v41
	ds_load_2addr_b32 v[44:45], v95 offset0:64 offset1:96
	ds_load_b128 v[40:43], v75 offset:720
	s_wait_dscnt 0x0
	v_lshrrev_b32_e32 v50, 16, v40
	v_lshrrev_b32_e32 v51, 16, v41
	v_and_b32_e32 v40, 0xffff, v40
	v_and_b32_e32 v41, 0xffff, v41
	s_delay_alu instid0(VALU_DEP_4) | instskip(NEXT) | instid1(VALU_DEP_4)
	v_mul_u32_u24_e32 v50, 0x10001, v50
	v_mul_u32_u24_e32 v51, 0x10001, v51
	s_delay_alu instid0(VALU_DEP_4) | instskip(NEXT) | instid1(VALU_DEP_4)
	v_mul_u32_u24_e32 v40, 0x10001, v40
	v_mul_u32_u24_e32 v41, 0x10001, v41
	s_delay_alu instid0(VALU_DEP_4) | instskip(NEXT) | instid1(VALU_DEP_3)
	v_pk_fma_f16 v46, v44, v50, v46
	v_pk_fma_f16 v40, v44, v40, v49
	s_delay_alu instid0(VALU_DEP_3)
	v_pk_fma_f16 v41, v44, v41, v47
	v_pk_fma_f16 v44, v44, v51, v48
	v_lshrrev_b32_e32 v47, 16, v42
	v_lshrrev_b32_e32 v48, 16, v43
	v_and_b32_e32 v42, 0xffff, v42
	v_and_b32_e32 v43, 0xffff, v43
	s_delay_alu instid0(VALU_DEP_4) | instskip(NEXT) | instid1(VALU_DEP_4)
	v_mul_u32_u24_e32 v47, 0x10001, v47
	v_mul_u32_u24_e32 v48, 0x10001, v48
	s_delay_alu instid0(VALU_DEP_4) | instskip(NEXT) | instid1(VALU_DEP_4)
	v_mul_u32_u24_e32 v42, 0x10001, v42
	v_mul_u32_u24_e32 v43, 0x10001, v43
	s_delay_alu instid0(VALU_DEP_4) | instskip(NEXT) | instid1(VALU_DEP_4)
	v_pk_fma_f16 v46, v45, v47, v46
	v_pk_fma_f16 v48, v45, v48, v44
	s_delay_alu instid0(VALU_DEP_4) | instskip(NEXT) | instid1(VALU_DEP_4)
	v_pk_fma_f16 v49, v45, v42, v40
	v_pk_fma_f16 v47, v45, v43, v41
	ds_load_2addr_b32 v[44:45], v95 offset0:128 offset1:160
	;; [unrolled: 35-line block ×3, first 2 shown]
	ds_load_b128 v[40:43], v75 offset:752
	s_wait_dscnt 0x0
	v_lshrrev_b32_e32 v50, 16, v40
	v_lshrrev_b32_e32 v51, 16, v41
	v_and_b32_e32 v40, 0xffff, v40
	v_and_b32_e32 v41, 0xffff, v41
	s_delay_alu instid0(VALU_DEP_4) | instskip(NEXT) | instid1(VALU_DEP_4)
	v_mul_u32_u24_e32 v50, 0x10001, v50
	v_mul_u32_u24_e32 v51, 0x10001, v51
	s_delay_alu instid0(VALU_DEP_4) | instskip(NEXT) | instid1(VALU_DEP_4)
	v_mul_u32_u24_e32 v40, 0x10001, v40
	v_mul_u32_u24_e32 v41, 0x10001, v41
	s_delay_alu instid0(VALU_DEP_4) | instskip(NEXT) | instid1(VALU_DEP_3)
	v_pk_fma_f16 v46, v44, v50, v46
	v_pk_fma_f16 v40, v44, v40, v49
	s_delay_alu instid0(VALU_DEP_3)
	v_pk_fma_f16 v41, v44, v41, v47
	v_pk_fma_f16 v44, v44, v51, v48
	v_lshrrev_b32_e32 v47, 16, v42
	v_lshrrev_b32_e32 v48, 16, v43
	v_and_b32_e32 v42, 0xffff, v42
	v_and_b32_e32 v43, 0xffff, v43
	s_delay_alu instid0(VALU_DEP_4) | instskip(NEXT) | instid1(VALU_DEP_4)
	v_mul_u32_u24_e32 v47, 0x10001, v47
	v_mul_u32_u24_e32 v48, 0x10001, v48
	s_delay_alu instid0(VALU_DEP_4) | instskip(NEXT) | instid1(VALU_DEP_4)
	v_mul_u32_u24_e32 v42, 0x10001, v42
	v_mul_u32_u24_e32 v43, 0x10001, v43
	s_delay_alu instid0(VALU_DEP_4) | instskip(NEXT) | instid1(VALU_DEP_4)
	v_pk_fma_f16 v46, v45, v47, v46
	v_pk_fma_f16 v48, v45, v48, v44
	s_delay_alu instid0(VALU_DEP_4) | instskip(NEXT) | instid1(VALU_DEP_4)
	v_pk_fma_f16 v49, v45, v42, v40
	v_pk_fma_f16 v47, v45, v43, v41
	ds_load_2addr_b32 v[44:45], v96 offset1:32
	ds_load_b128 v[40:43], v75 offset:768
	s_wait_dscnt 0x0
	v_lshrrev_b32_e32 v50, 16, v40
	v_lshrrev_b32_e32 v51, 16, v41
	v_and_b32_e32 v40, 0xffff, v40
	v_and_b32_e32 v41, 0xffff, v41
	s_delay_alu instid0(VALU_DEP_4) | instskip(NEXT) | instid1(VALU_DEP_4)
	v_mul_u32_u24_e32 v50, 0x10001, v50
	v_mul_u32_u24_e32 v51, 0x10001, v51
	s_delay_alu instid0(VALU_DEP_4) | instskip(NEXT) | instid1(VALU_DEP_4)
	v_mul_u32_u24_e32 v40, 0x10001, v40
	v_mul_u32_u24_e32 v41, 0x10001, v41
	s_delay_alu instid0(VALU_DEP_4) | instskip(NEXT) | instid1(VALU_DEP_3)
	v_pk_fma_f16 v46, v44, v50, v46
	v_pk_fma_f16 v40, v44, v40, v49
	s_delay_alu instid0(VALU_DEP_3)
	v_pk_fma_f16 v41, v44, v41, v47
	v_pk_fma_f16 v44, v44, v51, v48
	v_lshrrev_b32_e32 v47, 16, v42
	v_lshrrev_b32_e32 v48, 16, v43
	v_and_b32_e32 v42, 0xffff, v42
	v_and_b32_e32 v43, 0xffff, v43
	s_delay_alu instid0(VALU_DEP_4) | instskip(NEXT) | instid1(VALU_DEP_4)
	v_mul_u32_u24_e32 v47, 0x10001, v47
	v_mul_u32_u24_e32 v48, 0x10001, v48
	s_delay_alu instid0(VALU_DEP_4) | instskip(NEXT) | instid1(VALU_DEP_4)
	v_mul_u32_u24_e32 v42, 0x10001, v42
	v_mul_u32_u24_e32 v43, 0x10001, v43
	s_delay_alu instid0(VALU_DEP_4) | instskip(NEXT) | instid1(VALU_DEP_4)
	v_pk_fma_f16 v46, v45, v47, v46
	v_pk_fma_f16 v48, v45, v48, v44
	s_delay_alu instid0(VALU_DEP_4) | instskip(NEXT) | instid1(VALU_DEP_4)
	v_pk_fma_f16 v49, v45, v42, v40
	v_pk_fma_f16 v47, v45, v43, v41
	ds_load_2addr_b32 v[44:45], v96 offset0:64 offset1:96
	ds_load_b128 v[40:43], v75 offset:784
	s_wait_dscnt 0x0
	v_lshrrev_b32_e32 v50, 16, v40
	v_lshrrev_b32_e32 v51, 16, v41
	v_and_b32_e32 v40, 0xffff, v40
	v_and_b32_e32 v41, 0xffff, v41
	s_delay_alu instid0(VALU_DEP_4) | instskip(NEXT) | instid1(VALU_DEP_4)
	v_mul_u32_u24_e32 v50, 0x10001, v50
	v_mul_u32_u24_e32 v51, 0x10001, v51
	s_delay_alu instid0(VALU_DEP_4) | instskip(NEXT) | instid1(VALU_DEP_4)
	v_mul_u32_u24_e32 v40, 0x10001, v40
	v_mul_u32_u24_e32 v41, 0x10001, v41
	s_delay_alu instid0(VALU_DEP_4) | instskip(NEXT) | instid1(VALU_DEP_3)
	v_pk_fma_f16 v46, v44, v50, v46
	v_pk_fma_f16 v40, v44, v40, v49
	s_delay_alu instid0(VALU_DEP_3)
	v_pk_fma_f16 v41, v44, v41, v47
	v_pk_fma_f16 v44, v44, v51, v48
	v_lshrrev_b32_e32 v47, 16, v42
	v_lshrrev_b32_e32 v48, 16, v43
	v_and_b32_e32 v42, 0xffff, v42
	v_and_b32_e32 v43, 0xffff, v43
	s_delay_alu instid0(VALU_DEP_4) | instskip(NEXT) | instid1(VALU_DEP_4)
	v_mul_u32_u24_e32 v47, 0x10001, v47
	v_mul_u32_u24_e32 v48, 0x10001, v48
	s_delay_alu instid0(VALU_DEP_4) | instskip(NEXT) | instid1(VALU_DEP_4)
	v_mul_u32_u24_e32 v42, 0x10001, v42
	v_mul_u32_u24_e32 v43, 0x10001, v43
	s_delay_alu instid0(VALU_DEP_4) | instskip(NEXT) | instid1(VALU_DEP_4)
	v_pk_fma_f16 v46, v45, v47, v46
	v_pk_fma_f16 v48, v45, v48, v44
	s_delay_alu instid0(VALU_DEP_4) | instskip(NEXT) | instid1(VALU_DEP_4)
	v_pk_fma_f16 v49, v45, v42, v40
	v_pk_fma_f16 v47, v45, v43, v41
	ds_load_2addr_b32 v[44:45], v96 offset0:128 offset1:160
	;; [unrolled: 35-line block ×3, first 2 shown]
	ds_load_b128 v[40:43], v75 offset:816
	s_wait_dscnt 0x0
	v_lshrrev_b32_e32 v50, 16, v40
	v_lshrrev_b32_e32 v51, 16, v41
	v_and_b32_e32 v40, 0xffff, v40
	v_and_b32_e32 v41, 0xffff, v41
	s_delay_alu instid0(VALU_DEP_4) | instskip(NEXT) | instid1(VALU_DEP_4)
	v_mul_u32_u24_e32 v50, 0x10001, v50
	v_mul_u32_u24_e32 v51, 0x10001, v51
	s_delay_alu instid0(VALU_DEP_4) | instskip(NEXT) | instid1(VALU_DEP_4)
	v_mul_u32_u24_e32 v40, 0x10001, v40
	v_mul_u32_u24_e32 v41, 0x10001, v41
	s_delay_alu instid0(VALU_DEP_4) | instskip(NEXT) | instid1(VALU_DEP_3)
	v_pk_fma_f16 v46, v44, v50, v46
	v_pk_fma_f16 v40, v44, v40, v49
	s_delay_alu instid0(VALU_DEP_3)
	v_pk_fma_f16 v41, v44, v41, v47
	v_pk_fma_f16 v44, v44, v51, v48
	v_lshrrev_b32_e32 v47, 16, v42
	v_lshrrev_b32_e32 v48, 16, v43
	v_and_b32_e32 v42, 0xffff, v42
	v_and_b32_e32 v43, 0xffff, v43
	s_delay_alu instid0(VALU_DEP_4) | instskip(NEXT) | instid1(VALU_DEP_4)
	v_mul_u32_u24_e32 v47, 0x10001, v47
	v_mul_u32_u24_e32 v48, 0x10001, v48
	s_delay_alu instid0(VALU_DEP_4) | instskip(NEXT) | instid1(VALU_DEP_4)
	v_mul_u32_u24_e32 v42, 0x10001, v42
	v_mul_u32_u24_e32 v43, 0x10001, v43
	s_delay_alu instid0(VALU_DEP_4) | instskip(NEXT) | instid1(VALU_DEP_4)
	v_pk_fma_f16 v46, v45, v47, v46
	v_pk_fma_f16 v48, v45, v48, v44
	s_delay_alu instid0(VALU_DEP_4) | instskip(NEXT) | instid1(VALU_DEP_4)
	v_pk_fma_f16 v49, v45, v42, v40
	v_pk_fma_f16 v47, v45, v43, v41
	ds_load_2addr_b32 v[44:45], v97 offset1:32
	ds_load_b128 v[40:43], v75 offset:832
	s_wait_dscnt 0x0
	v_lshrrev_b32_e32 v50, 16, v40
	v_lshrrev_b32_e32 v51, 16, v41
	v_and_b32_e32 v40, 0xffff, v40
	v_and_b32_e32 v41, 0xffff, v41
	s_delay_alu instid0(VALU_DEP_4) | instskip(NEXT) | instid1(VALU_DEP_4)
	v_mul_u32_u24_e32 v50, 0x10001, v50
	v_mul_u32_u24_e32 v51, 0x10001, v51
	s_delay_alu instid0(VALU_DEP_4) | instskip(NEXT) | instid1(VALU_DEP_4)
	v_mul_u32_u24_e32 v40, 0x10001, v40
	v_mul_u32_u24_e32 v41, 0x10001, v41
	s_delay_alu instid0(VALU_DEP_4) | instskip(NEXT) | instid1(VALU_DEP_3)
	v_pk_fma_f16 v46, v44, v50, v46
	v_pk_fma_f16 v40, v44, v40, v49
	s_delay_alu instid0(VALU_DEP_3)
	v_pk_fma_f16 v41, v44, v41, v47
	v_pk_fma_f16 v44, v44, v51, v48
	v_lshrrev_b32_e32 v47, 16, v42
	v_lshrrev_b32_e32 v48, 16, v43
	v_and_b32_e32 v42, 0xffff, v42
	v_and_b32_e32 v43, 0xffff, v43
	s_delay_alu instid0(VALU_DEP_4) | instskip(NEXT) | instid1(VALU_DEP_4)
	v_mul_u32_u24_e32 v47, 0x10001, v47
	v_mul_u32_u24_e32 v48, 0x10001, v48
	s_delay_alu instid0(VALU_DEP_4) | instskip(NEXT) | instid1(VALU_DEP_4)
	v_mul_u32_u24_e32 v42, 0x10001, v42
	v_mul_u32_u24_e32 v43, 0x10001, v43
	s_delay_alu instid0(VALU_DEP_4) | instskip(NEXT) | instid1(VALU_DEP_4)
	v_pk_fma_f16 v46, v45, v47, v46
	v_pk_fma_f16 v48, v45, v48, v44
	s_delay_alu instid0(VALU_DEP_4) | instskip(NEXT) | instid1(VALU_DEP_4)
	v_pk_fma_f16 v49, v45, v42, v40
	v_pk_fma_f16 v47, v45, v43, v41
	ds_load_2addr_b32 v[44:45], v97 offset0:64 offset1:96
	ds_load_b128 v[40:43], v75 offset:848
	s_wait_dscnt 0x0
	v_lshrrev_b32_e32 v50, 16, v40
	v_lshrrev_b32_e32 v51, 16, v41
	v_and_b32_e32 v40, 0xffff, v40
	v_and_b32_e32 v41, 0xffff, v41
	s_delay_alu instid0(VALU_DEP_4) | instskip(NEXT) | instid1(VALU_DEP_4)
	v_mul_u32_u24_e32 v50, 0x10001, v50
	v_mul_u32_u24_e32 v51, 0x10001, v51
	s_delay_alu instid0(VALU_DEP_4) | instskip(NEXT) | instid1(VALU_DEP_4)
	v_mul_u32_u24_e32 v40, 0x10001, v40
	v_mul_u32_u24_e32 v41, 0x10001, v41
	s_delay_alu instid0(VALU_DEP_4) | instskip(NEXT) | instid1(VALU_DEP_3)
	v_pk_fma_f16 v46, v44, v50, v46
	v_pk_fma_f16 v40, v44, v40, v49
	s_delay_alu instid0(VALU_DEP_3)
	v_pk_fma_f16 v41, v44, v41, v47
	v_pk_fma_f16 v44, v44, v51, v48
	v_lshrrev_b32_e32 v47, 16, v42
	v_lshrrev_b32_e32 v48, 16, v43
	v_and_b32_e32 v42, 0xffff, v42
	v_and_b32_e32 v43, 0xffff, v43
	s_delay_alu instid0(VALU_DEP_4) | instskip(NEXT) | instid1(VALU_DEP_4)
	v_mul_u32_u24_e32 v47, 0x10001, v47
	v_mul_u32_u24_e32 v48, 0x10001, v48
	s_delay_alu instid0(VALU_DEP_4) | instskip(NEXT) | instid1(VALU_DEP_4)
	v_mul_u32_u24_e32 v42, 0x10001, v42
	v_mul_u32_u24_e32 v43, 0x10001, v43
	s_delay_alu instid0(VALU_DEP_4) | instskip(NEXT) | instid1(VALU_DEP_4)
	v_pk_fma_f16 v46, v45, v47, v46
	v_pk_fma_f16 v48, v45, v48, v44
	s_delay_alu instid0(VALU_DEP_4) | instskip(NEXT) | instid1(VALU_DEP_4)
	v_pk_fma_f16 v49, v45, v42, v40
	v_pk_fma_f16 v47, v45, v43, v41
	ds_load_2addr_b32 v[44:45], v97 offset0:128 offset1:160
	;; [unrolled: 35-line block ×3, first 2 shown]
	ds_load_b128 v[40:43], v75 offset:880
	s_wait_dscnt 0x0
	v_lshrrev_b32_e32 v50, 16, v40
	v_lshrrev_b32_e32 v51, 16, v41
	v_and_b32_e32 v40, 0xffff, v40
	v_and_b32_e32 v41, 0xffff, v41
	s_delay_alu instid0(VALU_DEP_4) | instskip(NEXT) | instid1(VALU_DEP_4)
	v_mul_u32_u24_e32 v50, 0x10001, v50
	v_mul_u32_u24_e32 v51, 0x10001, v51
	s_delay_alu instid0(VALU_DEP_4) | instskip(NEXT) | instid1(VALU_DEP_4)
	v_mul_u32_u24_e32 v40, 0x10001, v40
	v_mul_u32_u24_e32 v41, 0x10001, v41
	s_delay_alu instid0(VALU_DEP_4) | instskip(NEXT) | instid1(VALU_DEP_3)
	v_pk_fma_f16 v46, v44, v50, v46
	v_pk_fma_f16 v40, v44, v40, v49
	s_delay_alu instid0(VALU_DEP_3)
	v_pk_fma_f16 v41, v44, v41, v47
	v_pk_fma_f16 v44, v44, v51, v48
	v_lshrrev_b32_e32 v47, 16, v42
	v_lshrrev_b32_e32 v48, 16, v43
	v_and_b32_e32 v42, 0xffff, v42
	v_and_b32_e32 v43, 0xffff, v43
	s_delay_alu instid0(VALU_DEP_4) | instskip(NEXT) | instid1(VALU_DEP_4)
	v_mul_u32_u24_e32 v47, 0x10001, v47
	v_mul_u32_u24_e32 v48, 0x10001, v48
	s_delay_alu instid0(VALU_DEP_4) | instskip(NEXT) | instid1(VALU_DEP_4)
	v_mul_u32_u24_e32 v42, 0x10001, v42
	v_mul_u32_u24_e32 v43, 0x10001, v43
	s_delay_alu instid0(VALU_DEP_4) | instskip(NEXT) | instid1(VALU_DEP_4)
	v_pk_fma_f16 v46, v45, v47, v46
	v_pk_fma_f16 v48, v45, v48, v44
	s_delay_alu instid0(VALU_DEP_4) | instskip(NEXT) | instid1(VALU_DEP_4)
	v_pk_fma_f16 v49, v45, v42, v40
	v_pk_fma_f16 v47, v45, v43, v41
	ds_load_2addr_b32 v[44:45], v98 offset1:32
	ds_load_b128 v[40:43], v75 offset:896
	s_wait_dscnt 0x0
	v_lshrrev_b32_e32 v50, 16, v40
	v_lshrrev_b32_e32 v51, 16, v41
	v_and_b32_e32 v40, 0xffff, v40
	v_and_b32_e32 v41, 0xffff, v41
	s_delay_alu instid0(VALU_DEP_4) | instskip(NEXT) | instid1(VALU_DEP_4)
	v_mul_u32_u24_e32 v50, 0x10001, v50
	v_mul_u32_u24_e32 v51, 0x10001, v51
	s_delay_alu instid0(VALU_DEP_4) | instskip(NEXT) | instid1(VALU_DEP_4)
	v_mul_u32_u24_e32 v40, 0x10001, v40
	v_mul_u32_u24_e32 v41, 0x10001, v41
	s_delay_alu instid0(VALU_DEP_4) | instskip(NEXT) | instid1(VALU_DEP_3)
	v_pk_fma_f16 v46, v44, v50, v46
	v_pk_fma_f16 v40, v44, v40, v49
	s_delay_alu instid0(VALU_DEP_3)
	v_pk_fma_f16 v41, v44, v41, v47
	v_pk_fma_f16 v44, v44, v51, v48
	v_lshrrev_b32_e32 v47, 16, v42
	v_lshrrev_b32_e32 v48, 16, v43
	v_and_b32_e32 v42, 0xffff, v42
	v_and_b32_e32 v43, 0xffff, v43
	s_delay_alu instid0(VALU_DEP_4) | instskip(NEXT) | instid1(VALU_DEP_4)
	v_mul_u32_u24_e32 v47, 0x10001, v47
	v_mul_u32_u24_e32 v48, 0x10001, v48
	s_delay_alu instid0(VALU_DEP_4) | instskip(NEXT) | instid1(VALU_DEP_4)
	v_mul_u32_u24_e32 v42, 0x10001, v42
	v_mul_u32_u24_e32 v43, 0x10001, v43
	s_delay_alu instid0(VALU_DEP_4) | instskip(NEXT) | instid1(VALU_DEP_4)
	v_pk_fma_f16 v46, v45, v47, v46
	v_pk_fma_f16 v48, v45, v48, v44
	s_delay_alu instid0(VALU_DEP_4) | instskip(NEXT) | instid1(VALU_DEP_4)
	v_pk_fma_f16 v49, v45, v42, v40
	v_pk_fma_f16 v47, v45, v43, v41
	ds_load_2addr_b32 v[44:45], v98 offset0:64 offset1:96
	ds_load_b128 v[40:43], v75 offset:912
	s_wait_dscnt 0x0
	v_lshrrev_b32_e32 v50, 16, v40
	v_lshrrev_b32_e32 v51, 16, v41
	v_and_b32_e32 v40, 0xffff, v40
	v_and_b32_e32 v41, 0xffff, v41
	s_delay_alu instid0(VALU_DEP_4) | instskip(NEXT) | instid1(VALU_DEP_4)
	v_mul_u32_u24_e32 v50, 0x10001, v50
	v_mul_u32_u24_e32 v51, 0x10001, v51
	s_delay_alu instid0(VALU_DEP_4) | instskip(NEXT) | instid1(VALU_DEP_4)
	v_mul_u32_u24_e32 v40, 0x10001, v40
	v_mul_u32_u24_e32 v41, 0x10001, v41
	s_delay_alu instid0(VALU_DEP_4) | instskip(NEXT) | instid1(VALU_DEP_3)
	v_pk_fma_f16 v46, v44, v50, v46
	v_pk_fma_f16 v40, v44, v40, v49
	s_delay_alu instid0(VALU_DEP_3)
	v_pk_fma_f16 v41, v44, v41, v47
	v_pk_fma_f16 v44, v44, v51, v48
	v_lshrrev_b32_e32 v47, 16, v42
	v_lshrrev_b32_e32 v48, 16, v43
	v_and_b32_e32 v42, 0xffff, v42
	v_and_b32_e32 v43, 0xffff, v43
	s_delay_alu instid0(VALU_DEP_4) | instskip(NEXT) | instid1(VALU_DEP_4)
	v_mul_u32_u24_e32 v47, 0x10001, v47
	v_mul_u32_u24_e32 v48, 0x10001, v48
	s_delay_alu instid0(VALU_DEP_4) | instskip(NEXT) | instid1(VALU_DEP_4)
	v_mul_u32_u24_e32 v42, 0x10001, v42
	v_mul_u32_u24_e32 v43, 0x10001, v43
	s_delay_alu instid0(VALU_DEP_4) | instskip(NEXT) | instid1(VALU_DEP_4)
	v_pk_fma_f16 v46, v45, v47, v46
	v_pk_fma_f16 v48, v45, v48, v44
	s_delay_alu instid0(VALU_DEP_4) | instskip(NEXT) | instid1(VALU_DEP_4)
	v_pk_fma_f16 v49, v45, v42, v40
	v_pk_fma_f16 v47, v45, v43, v41
	ds_load_2addr_b32 v[44:45], v98 offset0:128 offset1:160
	;; [unrolled: 35-line block ×3, first 2 shown]
	ds_load_b128 v[40:43], v75 offset:944
	s_wait_dscnt 0x0
	v_lshrrev_b32_e32 v50, 16, v40
	v_lshrrev_b32_e32 v51, 16, v41
	v_and_b32_e32 v40, 0xffff, v40
	v_and_b32_e32 v41, 0xffff, v41
	s_delay_alu instid0(VALU_DEP_4) | instskip(NEXT) | instid1(VALU_DEP_4)
	v_mul_u32_u24_e32 v50, 0x10001, v50
	v_mul_u32_u24_e32 v51, 0x10001, v51
	s_delay_alu instid0(VALU_DEP_4) | instskip(NEXT) | instid1(VALU_DEP_4)
	v_mul_u32_u24_e32 v40, 0x10001, v40
	v_mul_u32_u24_e32 v41, 0x10001, v41
	s_delay_alu instid0(VALU_DEP_4) | instskip(NEXT) | instid1(VALU_DEP_3)
	v_pk_fma_f16 v46, v44, v50, v46
	v_pk_fma_f16 v40, v44, v40, v49
	s_delay_alu instid0(VALU_DEP_3)
	v_pk_fma_f16 v41, v44, v41, v47
	v_pk_fma_f16 v44, v44, v51, v48
	v_lshrrev_b32_e32 v47, 16, v42
	v_lshrrev_b32_e32 v48, 16, v43
	v_and_b32_e32 v42, 0xffff, v42
	v_and_b32_e32 v43, 0xffff, v43
	s_delay_alu instid0(VALU_DEP_4) | instskip(NEXT) | instid1(VALU_DEP_4)
	v_mul_u32_u24_e32 v47, 0x10001, v47
	v_mul_u32_u24_e32 v48, 0x10001, v48
	s_delay_alu instid0(VALU_DEP_4) | instskip(NEXT) | instid1(VALU_DEP_4)
	v_mul_u32_u24_e32 v42, 0x10001, v42
	v_mul_u32_u24_e32 v43, 0x10001, v43
	s_delay_alu instid0(VALU_DEP_4) | instskip(NEXT) | instid1(VALU_DEP_4)
	v_pk_fma_f16 v46, v45, v47, v46
	v_pk_fma_f16 v48, v45, v48, v44
	s_delay_alu instid0(VALU_DEP_4) | instskip(NEXT) | instid1(VALU_DEP_4)
	v_pk_fma_f16 v49, v45, v42, v40
	v_pk_fma_f16 v47, v45, v43, v41
	ds_load_2addr_b32 v[44:45], v99 offset1:32
	ds_load_b128 v[40:43], v75 offset:960
	s_wait_dscnt 0x0
	v_lshrrev_b32_e32 v50, 16, v40
	v_lshrrev_b32_e32 v51, 16, v41
	v_and_b32_e32 v40, 0xffff, v40
	v_and_b32_e32 v41, 0xffff, v41
	s_delay_alu instid0(VALU_DEP_4) | instskip(NEXT) | instid1(VALU_DEP_4)
	v_mul_u32_u24_e32 v50, 0x10001, v50
	v_mul_u32_u24_e32 v51, 0x10001, v51
	s_delay_alu instid0(VALU_DEP_4) | instskip(NEXT) | instid1(VALU_DEP_4)
	v_mul_u32_u24_e32 v40, 0x10001, v40
	v_mul_u32_u24_e32 v41, 0x10001, v41
	s_delay_alu instid0(VALU_DEP_4) | instskip(NEXT) | instid1(VALU_DEP_3)
	v_pk_fma_f16 v46, v44, v50, v46
	v_pk_fma_f16 v40, v44, v40, v49
	s_delay_alu instid0(VALU_DEP_3)
	v_pk_fma_f16 v41, v44, v41, v47
	v_pk_fma_f16 v44, v44, v51, v48
	v_lshrrev_b32_e32 v47, 16, v42
	v_lshrrev_b32_e32 v48, 16, v43
	v_and_b32_e32 v42, 0xffff, v42
	v_and_b32_e32 v43, 0xffff, v43
	s_delay_alu instid0(VALU_DEP_4) | instskip(NEXT) | instid1(VALU_DEP_4)
	v_mul_u32_u24_e32 v47, 0x10001, v47
	v_mul_u32_u24_e32 v48, 0x10001, v48
	s_delay_alu instid0(VALU_DEP_4) | instskip(NEXT) | instid1(VALU_DEP_4)
	v_mul_u32_u24_e32 v42, 0x10001, v42
	v_mul_u32_u24_e32 v43, 0x10001, v43
	s_delay_alu instid0(VALU_DEP_4) | instskip(NEXT) | instid1(VALU_DEP_4)
	v_pk_fma_f16 v46, v45, v47, v46
	v_pk_fma_f16 v48, v45, v48, v44
	s_delay_alu instid0(VALU_DEP_4) | instskip(NEXT) | instid1(VALU_DEP_4)
	v_pk_fma_f16 v49, v45, v42, v40
	v_pk_fma_f16 v47, v45, v43, v41
	ds_load_2addr_b32 v[44:45], v99 offset0:64 offset1:96
	ds_load_b128 v[40:43], v75 offset:976
	s_wait_dscnt 0x0
	v_lshrrev_b32_e32 v50, 16, v40
	v_lshrrev_b32_e32 v51, 16, v41
	v_and_b32_e32 v40, 0xffff, v40
	v_and_b32_e32 v41, 0xffff, v41
	s_delay_alu instid0(VALU_DEP_4) | instskip(NEXT) | instid1(VALU_DEP_4)
	v_mul_u32_u24_e32 v50, 0x10001, v50
	v_mul_u32_u24_e32 v51, 0x10001, v51
	s_delay_alu instid0(VALU_DEP_4) | instskip(NEXT) | instid1(VALU_DEP_4)
	v_mul_u32_u24_e32 v40, 0x10001, v40
	v_mul_u32_u24_e32 v41, 0x10001, v41
	s_delay_alu instid0(VALU_DEP_4) | instskip(NEXT) | instid1(VALU_DEP_3)
	v_pk_fma_f16 v46, v44, v50, v46
	v_pk_fma_f16 v40, v44, v40, v49
	s_delay_alu instid0(VALU_DEP_3)
	v_pk_fma_f16 v41, v44, v41, v47
	v_pk_fma_f16 v44, v44, v51, v48
	v_lshrrev_b32_e32 v47, 16, v42
	v_lshrrev_b32_e32 v48, 16, v43
	v_and_b32_e32 v42, 0xffff, v42
	v_and_b32_e32 v43, 0xffff, v43
	s_delay_alu instid0(VALU_DEP_4) | instskip(NEXT) | instid1(VALU_DEP_4)
	v_mul_u32_u24_e32 v47, 0x10001, v47
	v_mul_u32_u24_e32 v48, 0x10001, v48
	s_delay_alu instid0(VALU_DEP_4) | instskip(NEXT) | instid1(VALU_DEP_4)
	v_mul_u32_u24_e32 v42, 0x10001, v42
	v_mul_u32_u24_e32 v43, 0x10001, v43
	s_delay_alu instid0(VALU_DEP_4) | instskip(NEXT) | instid1(VALU_DEP_4)
	v_pk_fma_f16 v46, v45, v47, v46
	v_pk_fma_f16 v48, v45, v48, v44
	s_delay_alu instid0(VALU_DEP_4) | instskip(NEXT) | instid1(VALU_DEP_4)
	v_pk_fma_f16 v49, v45, v42, v40
	v_pk_fma_f16 v47, v45, v43, v41
	ds_load_2addr_b32 v[44:45], v99 offset0:128 offset1:160
	;; [unrolled: 35-line block ×3, first 2 shown]
	ds_load_b128 v[45:48], v75 offset:1008
	s_wait_loadcnt_dscnt 0x0
	s_barrier_signal -1
	s_barrier_wait -1
	global_inv scope:SCOPE_SE
	s_load_b32 s3, s[24:25], 0x4
	v_lshrrev_b32_e32 v43, 16, v45
	v_lshrrev_b32_e32 v44, 16, v46
	v_and_b32_e32 v45, 0xffff, v45
	v_and_b32_e32 v46, 0xffff, v46
	s_delay_alu instid0(VALU_DEP_4) | instskip(NEXT) | instid1(VALU_DEP_4)
	v_mul_u32_u24_e32 v43, 0x10001, v43
	v_mul_u32_u24_e32 v52, 0x10001, v44
	s_delay_alu instid0(VALU_DEP_4) | instskip(NEXT) | instid1(VALU_DEP_4)
	v_mul_u32_u24_e32 v45, 0x10001, v45
	v_mul_u32_u24_e32 v46, 0x10001, v46
	s_wait_kmcnt 0x0
	s_lshl_b32 s3, s3, 7
	v_pk_fma_f16 v43, v40, v43, v49
	v_lshrrev_b32_e32 v49, 16, v47
	v_pk_fma_f16 v42, v40, v45, v42
	v_pk_fma_f16 v44, v40, v46, v50
	v_lshrrev_b32_e32 v45, 16, v48
	v_and_b32_e32 v46, 0xffff, v47
	v_and_b32_e32 v48, 0xffff, v48
	v_pk_fma_f16 v40, v40, v52, v51
	v_mul_u32_u24_e32 v47, 0x10001, v49
	v_mul_u32_u24_e32 v45, 0x10001, v45
	;; [unrolled: 1-line block ×4, first 2 shown]
	s_wait_alu 0xfffe
	s_add_co_i32 s10, s3, s10
	v_pk_fma_f16 v104, v41, v47, v43
	v_pk_fma_f16 v40, v41, v45, v40
	v_pk_fma_f16 v105, v41, v46, v42
	v_pk_fma_f16 v103, v41, v48, v44
	s_wait_alu 0xfffe
	s_cmp_ge_i32 s10, s30
	s_cbranch_scc0 .LBB24_9
; %bb.10:
	v_dual_mov_b32 v4, v56 :: v_dual_lshlrev_b32 v15, 1, v12
.LBB24_11:
	v_cmp_lt_i32_e32 vcc_lo, v65, v57
	s_cmp_lg_u64 s[12:13], 0
	s_cselect_b32 s3, -1, 0
	s_cmp_eq_u32 s4, 0
	s_wait_alu 0xfffd
	v_cndmask_b32_e32 v5, v4, v65, vcc_lo
	v_cmp_lt_i32_e32 vcc_lo, v62, v57
	s_cselect_b32 s5, -1, 0
	s_wait_alu 0xfffe
	s_and_b32 s3, s5, s3
	v_lshlrev_b32_e32 v5, 2, v5
	s_wait_alu 0xfffd
	v_cndmask_b32_e32 v9, v4, v62, vcc_lo
	v_cmp_lt_i32_e32 vcc_lo, v61, v57
	ds_bpermute_b32 v6, v5, v100
	s_wait_alu 0xfffd
	v_cndmask_b32_e32 v16, v4, v61, vcc_lo
	v_cmp_lt_i32_e32 vcc_lo, v60, v57
	s_delay_alu instid0(VALU_DEP_2)
	v_lshlrev_b32_e32 v16, 2, v16
	s_wait_dscnt 0x0
	v_add_f32_e32 v6, v100, v6
	ds_bpermute_b32 v7, v5, v101
	v_lshlrev_b32_e32 v9, 2, v9
	ds_bpermute_b32 v8, v5, v102
	ds_bpermute_b32 v5, v5, v68
	;; [unrolled: 1-line block ×3, first 2 shown]
	s_wait_dscnt 0x2
	v_dual_add_f32 v7, v101, v7 :: v_dual_add_f32 v8, v102, v8
	s_wait_dscnt 0x0
	v_dual_add_f32 v5, v68, v5 :: v_dual_add_f32 v6, v6, v10
	ds_bpermute_b32 v11, v9, v7
	ds_bpermute_b32 v14, v9, v8
	;; [unrolled: 1-line block ×3, first 2 shown]
	s_wait_dscnt 0x1
	v_dual_add_f32 v7, v7, v11 :: v_dual_add_f32 v8, v8, v14
	s_wait_dscnt 0x0
	v_add_f32_e32 v5, v5, v9
	ds_bpermute_b32 v9, v16, v6
	ds_bpermute_b32 v10, v16, v7
	;; [unrolled: 1-line block ×4, first 2 shown]
	s_wait_alu 0xfffd
	v_cndmask_b32_e32 v16, v4, v60, vcc_lo
	v_cmp_lt_i32_e32 vcc_lo, v58, v57
	s_delay_alu instid0(VALU_DEP_2)
	v_lshlrev_b32_e32 v16, 2, v16
	s_wait_alu 0xfffd
	v_cndmask_b32_e32 v4, v4, v58, vcc_lo
	s_wait_alu 0xfffe
	s_and_b32 vcc_lo, exec_lo, s3
	s_wait_dscnt 0x2
	v_dual_add_f32 v6, v6, v9 :: v_dual_add_f32 v7, v7, v10
	s_wait_dscnt 0x0
	v_dual_add_f32 v8, v8, v11 :: v_dual_add_f32 v5, v5, v14
	ds_bpermute_b32 v9, v16, v6
	ds_bpermute_b32 v10, v16, v7
	;; [unrolled: 1-line block ×4, first 2 shown]
	v_lshlrev_b32_e32 v4, 2, v4
	s_wait_dscnt 0x2
	v_dual_add_f32 v6, v6, v9 :: v_dual_add_f32 v7, v7, v10
	s_wait_dscnt 0x0
	v_add_f32_e32 v9, v5, v14
	ds_bpermute_b32 v5, v4, v6
	ds_bpermute_b32 v10, v4, v7
	v_add_f32_e32 v8, v8, v11
	ds_bpermute_b32 v14, v4, v9
	ds_bpermute_b32 v11, v4, v8
	s_wait_dscnt 0x2
	v_dual_add_f32 v4, v6, v5 :: v_dual_add_f32 v5, v7, v10
	s_wait_dscnt 0x0
	v_dual_add_f32 v7, v9, v14 :: v_dual_add_f32 v6, v8, v11
	s_wait_alu 0xfffe
	s_cbranch_vccz .LBB24_14
; %bb.12:
	s_ashr_i32 s29, s28, 31
	v_dual_mov_b32 v8, 0 :: v_dual_max_num_f32 v17, v1, v1
	s_lshl_b64 s[6:7], s[28:29], 2
	v_dual_max_num_f32 v14, v0, v0 :: v_dual_max_num_f32 v19, v3, v3
	s_add_nc_u64 s[6:7], s[12:13], s[6:7]
	global_load_b128 v[8:11], v8, s[6:7]
	s_wait_loadcnt 0x0
	v_dual_max_num_f32 v16, v8, v8 :: v_dual_max_num_f32 v21, v10, v10
	v_max_num_f32_e32 v22, v11, v11
	s_delay_alu instid0(VALU_DEP_1) | instskip(NEXT) | instid1(VALU_DEP_1)
	v_dual_max_num_f32 v20, v9, v9 :: v_dual_max_num_f32 v19, v19, v22
	v_dual_max_num_f32 v18, v2, v2 :: v_dual_max_num_f32 v17, v17, v20
	s_delay_alu instid0(VALU_DEP_2) | instskip(NEXT) | instid1(VALU_DEP_1)
	v_dual_max_num_f32 v16, v14, v16 :: v_dual_sub_f32 v11, v11, v19
	v_dual_sub_f32 v9, v9, v17 :: v_dual_sub_f32 v8, v8, v16
	s_delay_alu instid0(VALU_DEP_3) | instskip(SKIP_1) | instid1(VALU_DEP_2)
	v_max_num_f32_e32 v18, v18, v21
	v_sub_f32_e32 v14, v0, v16
	v_dual_sub_f32 v20, v1, v17 :: v_dual_sub_f32 v21, v2, v18
	v_sub_f32_e32 v22, v3, v19
	s_delay_alu instid0(VALU_DEP_3) | instskip(NEXT) | instid1(VALU_DEP_3)
	v_cmp_ngt_f32_e32 vcc_lo, 0xc2ce8ed0, v14
	v_dual_mul_f32 v23, 0x3fb8aa3b, v21 :: v_dual_mov_b32 v0, v16
	s_delay_alu instid0(VALU_DEP_3) | instskip(SKIP_2) | instid1(VALU_DEP_4)
	v_mul_f32_e32 v25, 0x3fb8aa3b, v22
	v_dual_mov_b32 v1, v17 :: v_dual_mov_b32 v2, v18
	v_mov_b32_e32 v3, v19
	v_rndne_f32_e32 v36, v23
	v_dual_mul_f32 v16, 0x3fb8aa3b, v14 :: v_dual_mul_f32 v17, 0x3fb8aa3b, v8
	v_dual_sub_f32 v10, v10, v18 :: v_dual_mul_f32 v19, 0x3fb8aa3b, v9
	v_fma_f32 v35, 0x3fb8aa3b, v21, -v23
	s_delay_alu instid0(VALU_DEP_4) | instskip(NEXT) | instid1(VALU_DEP_4)
	v_sub_f32_e32 v23, v23, v36
	v_fma_f32 v27, 0x3fb8aa3b, v14, -v16
	v_rndne_f32_e32 v28, v16
	v_fma_f32 v29, 0x3fb8aa3b, v8, -v17
	v_rndne_f32_e32 v30, v17
	v_mul_f32_e32 v18, 0x3fb8aa3b, v20
	v_fma_f32 v33, 0x3fb8aa3b, v9, -v19
	v_rndne_f32_e32 v34, v19
	v_mul_f32_e32 v26, 0x3fb8aa3b, v11
	;; [unrolled: 3-line block ×3, first 2 shown]
	v_dual_fmac_f32 v27, 0x32a5705f, v14 :: v_dual_sub_f32 v16, v16, v28
	v_fmac_f32_e32 v33, 0x32a5705f, v9
	v_sub_f32_e32 v17, v17, v30
	v_fma_f32 v31, 0x3fb8aa3b, v20, -v18
	v_rndne_f32_e32 v32, v18
	v_sub_f32_e32 v19, v19, v34
	v_fma_f32 v42, 0x3fb8aa3b, v11, -v26
	v_dual_fmac_f32 v39, 0x32a5705f, v22 :: v_dual_add_f32 v16, v16, v27
	v_sub_f32_e32 v25, v25, v41
	v_rndne_f32_e32 v38, v24
	v_fmac_f32_e32 v29, 0x32a5705f, v8
	v_fma_f32 v37, 0x3fb8aa3b, v10, -v24
	v_dual_fmac_f32 v31, 0x32a5705f, v20 :: v_dual_fmac_f32 v42, 0x32a5705f, v11
	v_dual_sub_f32 v18, v18, v32 :: v_dual_fmac_f32 v35, 0x32a5705f, v21
	s_delay_alu instid0(VALU_DEP_4)
	v_dual_sub_f32 v24, v24, v38 :: v_dual_add_f32 v17, v17, v29
	v_exp_f32_e32 v16, v16
	v_rndne_f32_e32 v43, v26
	v_cvt_i32_f32_e32 v28, v28
	v_add_f32_e32 v18, v18, v31
	v_exp_f32_e32 v17, v17
	v_cvt_i32_f32_e32 v30, v30
	v_dual_fmac_f32 v37, 0x32a5705f, v10 :: v_dual_sub_f32 v26, v26, v43
	v_add_f32_e32 v19, v19, v33
	v_exp_f32_e32 v18, v18
	s_delay_alu instid0(TRANS32_DEP_3) | instskip(SKIP_3) | instid1(VALU_DEP_3)
	v_ldexp_f32 v16, v16, v28
	v_cvt_i32_f32_e32 v32, v32
	v_dual_add_f32 v23, v23, v35 :: v_dual_add_f32 v24, v24, v37
	s_wait_alu 0xfffd
	v_dual_add_f32 v25, v25, v39 :: v_dual_cndmask_b32 v16, 0, v16
	v_add_f32_e32 v26, v26, v42
	v_exp_f32_e32 v19, v19
	v_ldexp_f32 v17, v17, v30
	v_cmp_ngt_f32_e32 vcc_lo, 0xc2ce8ed0, v8
	v_cvt_i32_f32_e32 v34, v34
	v_exp_f32_e32 v23, v23
	v_exp_f32_e32 v24, v24
	v_ldexp_f32 v18, v18, v32
	s_wait_alu 0xfffd
	v_cndmask_b32_e32 v17, 0, v17, vcc_lo
	v_cmp_ngt_f32_e32 vcc_lo, 0xc2ce8ed0, v20
	v_cvt_i32_f32_e32 v36, v36
	v_cvt_i32_f32_e32 v38, v38
	v_exp_f32_e32 v26, v26
	v_ldexp_f32 v19, v19, v34
	s_wait_alu 0xfffd
	v_cndmask_b32_e32 v18, 0, v18, vcc_lo
	v_cmp_ngt_f32_e32 vcc_lo, 0xc2ce8ed0, v9
	v_exp_f32_e32 v25, v25
	v_cvt_i32_f32_e32 v29, v43
	v_ldexp_f32 v23, v23, v36
	v_ldexp_f32 v24, v24, v38
	s_wait_alu 0xfffd
	v_cndmask_b32_e32 v19, 0, v19, vcc_lo
	v_cmp_ngt_f32_e32 vcc_lo, 0xc2ce8ed0, v21
	v_cvt_i32_f32_e32 v27, v41
	v_ldexp_f32 v26, v26, v29
	s_wait_alu 0xfffd
	v_cndmask_b32_e32 v23, 0, v23, vcc_lo
	v_cmp_ngt_f32_e32 vcc_lo, 0xc2ce8ed0, v10
	v_ldexp_f32 v25, v25, v27
	s_wait_alu 0xfffd
	v_cndmask_b32_e32 v24, 0, v24, vcc_lo
	v_cmp_ngt_f32_e32 vcc_lo, 0xc2ce8ed0, v22
	s_wait_alu 0xfffd
	v_cndmask_b32_e32 v25, 0, v25, vcc_lo
	v_cmp_ngt_f32_e32 vcc_lo, 0xc2ce8ed0, v11
	s_wait_alu 0xfffd
	v_cndmask_b32_e32 v26, 0, v26, vcc_lo
	v_cmp_nlt_f32_e32 vcc_lo, 0x42b17218, v14
	s_wait_alu 0xfffd
	v_cndmask_b32_e32 v14, 0x7f800000, v16, vcc_lo
	v_cmp_nlt_f32_e32 vcc_lo, 0x42b17218, v8
	;; [unrolled: 3-line block ×7, first 2 shown]
	s_delay_alu instid0(VALU_DEP_2)
	v_dual_fmac_f32 v10, v6, v17 :: v_dual_fmac_f32 v9, v5, v16
	v_fmac_f32_e32 v8, v4, v14
	s_wait_alu 0xfffd
	v_cndmask_b32_e32 v18, 0x7f800000, v25, vcc_lo
	v_cmp_nlt_f32_e32 vcc_lo, 0x42b17218, v11
	v_cvt_f16_f32_e32 v5, v16
	s_wait_alu 0xfffd
	v_cndmask_b32_e32 v11, 0x7f800000, v26, vcc_lo
	s_delay_alu instid0(VALU_DEP_2) | instskip(NEXT) | instid1(VALU_DEP_2)
	v_dual_mov_b32 v5, v9 :: v_dual_and_b32 v16, 0xffff, v5
	v_fmac_f32_e32 v11, v7, v18
	v_cvt_f16_f32_e32 v4, v14
	v_cvt_f16_f32_e32 v14, v18
	s_delay_alu instid0(VALU_DEP_4) | instskip(NEXT) | instid1(VALU_DEP_3)
	v_mul_u32_u24_e32 v16, 0x10001, v16
	v_dual_mov_b32 v4, v8 :: v_dual_and_b32 v7, 0xffff, v4
	v_cvt_f16_f32_e32 v6, v17
	s_delay_alu instid0(VALU_DEP_4) | instskip(NEXT) | instid1(VALU_DEP_4)
	v_and_b32_e32 v14, 0xffff, v14
	v_pk_mul_f16 v104, v104, v16
	s_delay_alu instid0(VALU_DEP_4) | instskip(NEXT) | instid1(VALU_DEP_4)
	v_mul_u32_u24_e32 v7, 0x10001, v7
	v_and_b32_e32 v6, 0xffff, v6
	s_delay_alu instid0(VALU_DEP_4) | instskip(NEXT) | instid1(VALU_DEP_3)
	v_mul_u32_u24_e32 v14, 0x10001, v14
	v_pk_mul_f16 v105, v105, v7
	v_mov_b32_e32 v7, v11
	s_delay_alu instid0(VALU_DEP_4) | instskip(SKIP_2) | instid1(VALU_DEP_3)
	v_mul_u32_u24_e32 v17, 0x10001, v6
	v_mov_b32_e32 v6, v10
	v_pk_mul_f16 v40, v40, v14
	v_pk_mul_f16 v103, v103, v17
	s_mov_b32 s3, exec_lo
	v_cmpx_gt_i32_e64 s22, v13
	s_cbranch_execnz .LBB24_15
.LBB24_13:
	s_nop 0
	s_sendmsg sendmsg(MSG_DEALLOC_VGPRS)
	s_endpgm
.LBB24_14:
	s_delay_alu instid0(VALU_DEP_1)
	v_dual_mov_b32 v11, v7 :: v_dual_mov_b32 v10, v6
	v_dual_mov_b32 v9, v5 :: v_dual_mov_b32 v8, v4
	s_mov_b32 s3, exec_lo
	v_cmpx_gt_i32_e64 s22, v13
	s_cbranch_execz .LBB24_13
.LBB24_15:
	s_load_b32 s1, s[0:1], 0xd4
	v_mov_b32_e32 v16, 1.0
	s_wait_kmcnt 0x0
	s_cmp_lg_u32 s1, 1
	s_cselect_b32 s5, -1, 0
	s_cmp_eq_u32 s1, 1
	s_cselect_b32 s3, -1, 0
	s_wait_alu 0xfffe
	s_and_b32 vcc_lo, exec_lo, s5
	s_wait_alu 0xfffe
	s_cbranch_vccnz .LBB24_17
; %bb.16:
	v_div_scale_f32 v14, null, v4, v4, 1.0
	s_delay_alu instid0(VALU_DEP_1) | instskip(NEXT) | instid1(TRANS32_DEP_1)
	v_rcp_f32_e32 v16, v14
	v_fma_f32 v17, -v14, v16, 1.0
	s_delay_alu instid0(VALU_DEP_1) | instskip(SKIP_1) | instid1(VALU_DEP_1)
	v_fmac_f32_e32 v16, v17, v16
	v_div_scale_f32 v17, vcc_lo, 1.0, v4, 1.0
	v_mul_f32_e32 v18, v17, v16
	s_delay_alu instid0(VALU_DEP_1) | instskip(NEXT) | instid1(VALU_DEP_1)
	v_fma_f32 v19, -v14, v18, v17
	v_fmac_f32_e32 v18, v19, v16
	s_delay_alu instid0(VALU_DEP_1) | instskip(SKIP_1) | instid1(VALU_DEP_1)
	v_fma_f32 v14, -v14, v18, v17
	s_wait_alu 0xfffd
	v_div_fmas_f32 v14, v14, v16, v18
	s_delay_alu instid0(VALU_DEP_1)
	v_div_fixup_f32 v16, v14, v4, 1.0
.LBB24_17:
	v_mad_co_u64_u32 v[13:14], null, s2, s22, v[13:14]
	v_lshrrev_b32_e32 v4, 16, v105
	v_cmp_eq_u32_e32 vcc_lo, 0, v12
	s_delay_alu instid0(VALU_DEP_2) | instskip(NEXT) | instid1(VALU_DEP_4)
	v_cvt_f32_f16_e32 v4, v4
	v_mad_co_u64_u32 v[13:14], null, v13, s23, s[28:29]
	s_delay_alu instid0(VALU_DEP_2) | instskip(NEXT) | instid1(VALU_DEP_2)
	v_mul_f32_e32 v20, v16, v4
	v_mad_co_u64_u32 v[13:14], null, s1, v13, s[4:5]
	v_cvt_f32_f16_e32 v14, v105
	s_delay_alu instid0(VALU_DEP_1) | instskip(NEXT) | instid1(VALU_DEP_3)
	v_dual_mov_b32 v18, 0 :: v_dual_mul_f32 v19, v16, v14
	v_lshl_add_u32 v17, v13, 6, v15
	s_delay_alu instid0(VALU_DEP_1) | instskip(NEXT) | instid1(VALU_DEP_1)
	v_lshlrev_b64_e32 v[17:18], 2, v[17:18]
	v_add_co_u32 v16, s0, s16, v17
	s_wait_alu 0xf1ff
	s_delay_alu instid0(VALU_DEP_2)
	v_add_co_ci_u32_e64 v17, null, s17, v18, s0
	s_and_b32 s0, vcc_lo, s5
	global_store_b64 v[16:17], v[19:20], off
	s_wait_alu 0xfffe
	s_and_saveexec_b32 s2, s0
	s_cbranch_execz .LBB24_19
; %bb.18:
	v_ashrrev_i32_e32 v14, 31, v13
	v_dual_mov_b32 v18, v0 :: v_dual_mov_b32 v19, v8
	s_delay_alu instid0(VALU_DEP_2) | instskip(NEXT) | instid1(VALU_DEP_1)
	v_lshlrev_b64_e32 v[16:17], 3, v[13:14]
	v_add_co_u32 v16, vcc_lo, s18, v16
	s_wait_alu 0xfffd
	s_delay_alu instid0(VALU_DEP_2)
	v_add_co_ci_u32_e64 v17, null, s19, v17, vcc_lo
	global_store_b64 v[16:17], v[18:19], off
.LBB24_19:
	s_wait_alu 0xfffe
	s_or_b32 exec_lo, exec_lo, s2
	v_cndmask_b32_e64 v12, 0, 1, s3
	v_mov_b32_e32 v0, 1.0
	s_and_not1_b32 vcc_lo, exec_lo, s3
	s_wait_alu 0xfffe
	s_cbranch_vccnz .LBB24_21
; %bb.20:
	v_div_scale_f32 v0, null, v5, v5, 1.0
	s_delay_alu instid0(VALU_DEP_1) | instskip(NEXT) | instid1(TRANS32_DEP_1)
	v_rcp_f32_e32 v4, v0
	v_fma_f32 v8, -v0, v4, 1.0
	s_delay_alu instid0(VALU_DEP_1) | instskip(SKIP_1) | instid1(VALU_DEP_1)
	v_fmac_f32_e32 v4, v8, v4
	v_div_scale_f32 v8, vcc_lo, 1.0, v5, 1.0
	v_mul_f32_e32 v14, v8, v4
	s_delay_alu instid0(VALU_DEP_1) | instskip(NEXT) | instid1(VALU_DEP_1)
	v_fma_f32 v16, -v0, v14, v8
	v_fmac_f32_e32 v14, v16, v4
	s_delay_alu instid0(VALU_DEP_1) | instskip(SKIP_1) | instid1(VALU_DEP_1)
	v_fma_f32 v0, -v0, v14, v8
	s_wait_alu 0xfffd
	v_div_fmas_f32 v0, v0, v4, v14
	s_delay_alu instid0(VALU_DEP_1)
	v_div_fixup_f32 v0, v0, v5, 1.0
.LBB24_21:
	v_add_nc_u32_e32 v4, s1, v13
	v_lshrrev_b32_e32 v5, 16, v104
	v_cvt_f32_f16_e32 v8, v104
	s_delay_alu instid0(VALU_DEP_3) | instskip(NEXT) | instid1(VALU_DEP_3)
	v_lshl_add_u32 v13, v4, 6, v15
	v_cvt_f32_f16_e32 v5, v5
	v_mov_b32_e32 v14, 0
	s_delay_alu instid0(VALU_DEP_4) | instskip(NEXT) | instid1(VALU_DEP_3)
	v_mul_f32_e32 v16, v0, v8
	v_mul_f32_e32 v17, v0, v5
	s_delay_alu instid0(VALU_DEP_3) | instskip(NEXT) | instid1(VALU_DEP_1)
	v_lshlrev_b64_e32 v[13:14], 2, v[13:14]
	v_add_co_u32 v13, vcc_lo, s16, v13
	s_wait_alu 0xfffd
	s_delay_alu instid0(VALU_DEP_2)
	v_add_co_ci_u32_e64 v14, null, s17, v14, vcc_lo
	global_store_b64 v[13:14], v[16:17], off
	s_and_saveexec_b32 s2, s0
	s_cbranch_execz .LBB24_23
; %bb.22:
	v_ashrrev_i32_e32 v5, 31, v4
	v_mov_b32_e32 v8, v1
	s_delay_alu instid0(VALU_DEP_2) | instskip(NEXT) | instid1(VALU_DEP_1)
	v_lshlrev_b64_e32 v[13:14], 3, v[4:5]
	v_add_co_u32 v13, vcc_lo, s18, v13
	s_wait_alu 0xfffd
	s_delay_alu instid0(VALU_DEP_2)
	v_add_co_ci_u32_e64 v14, null, s19, v14, vcc_lo
	global_store_b64 v[13:14], v[8:9], off
.LBB24_23:
	s_wait_alu 0xfffe
	s_or_b32 exec_lo, exec_lo, s2
	v_cmp_ne_u32_e32 vcc_lo, 1, v12
	v_mov_b32_e32 v1, 1.0
	s_cbranch_vccnz .LBB24_25
; %bb.24:
	v_div_scale_f32 v0, null, v6, v6, 1.0
	s_delay_alu instid0(VALU_DEP_1) | instskip(NEXT) | instid1(TRANS32_DEP_1)
	v_rcp_f32_e32 v1, v0
	v_fma_f32 v5, -v0, v1, 1.0
	s_delay_alu instid0(VALU_DEP_1) | instskip(SKIP_1) | instid1(VALU_DEP_1)
	v_fmac_f32_e32 v1, v5, v1
	v_div_scale_f32 v5, vcc_lo, 1.0, v6, 1.0
	v_mul_f32_e32 v8, v5, v1
	s_delay_alu instid0(VALU_DEP_1) | instskip(NEXT) | instid1(VALU_DEP_1)
	v_fma_f32 v9, -v0, v8, v5
	v_fmac_f32_e32 v8, v9, v1
	s_delay_alu instid0(VALU_DEP_1) | instskip(SKIP_1) | instid1(VALU_DEP_1)
	v_fma_f32 v0, -v0, v8, v5
	s_wait_alu 0xfffd
	v_div_fmas_f32 v0, v0, v1, v8
	s_delay_alu instid0(VALU_DEP_1)
	v_div_fixup_f32 v1, v0, v6, 1.0
.LBB24_25:
	v_dual_mov_b32 v5, 0 :: v_dual_add_nc_u32 v0, s1, v4
	v_lshrrev_b32_e32 v6, 16, v103
	v_cvt_f32_f16_e32 v8, v103
	s_delay_alu instid0(VALU_DEP_3) | instskip(NEXT) | instid1(VALU_DEP_3)
	v_lshl_add_u32 v4, v0, 6, v15
	v_cvt_f32_f16_e32 v6, v6
	s_delay_alu instid0(VALU_DEP_3) | instskip(NEXT) | instid1(VALU_DEP_3)
	v_mul_f32_e32 v8, v1, v8
	v_lshlrev_b64_e32 v[4:5], 2, v[4:5]
	s_delay_alu instid0(VALU_DEP_3) | instskip(NEXT) | instid1(VALU_DEP_2)
	v_mul_f32_e32 v9, v1, v6
	v_add_co_u32 v4, vcc_lo, s16, v4
	s_wait_alu 0xfffd
	s_delay_alu instid0(VALU_DEP_3)
	v_add_co_ci_u32_e64 v5, null, s17, v5, vcc_lo
	global_store_b64 v[4:5], v[8:9], off
	s_and_saveexec_b32 s2, s0
	s_cbranch_execz .LBB24_27
; %bb.26:
	v_ashrrev_i32_e32 v1, 31, v0
	v_mov_b32_e32 v9, v2
	s_delay_alu instid0(VALU_DEP_2) | instskip(NEXT) | instid1(VALU_DEP_1)
	v_lshlrev_b64_e32 v[4:5], 3, v[0:1]
	v_add_co_u32 v4, vcc_lo, s18, v4
	s_wait_alu 0xfffd
	s_delay_alu instid0(VALU_DEP_2)
	v_add_co_ci_u32_e64 v5, null, s19, v5, vcc_lo
	global_store_b64 v[4:5], v[9:10], off
.LBB24_27:
	s_wait_alu 0xfffe
	s_or_b32 exec_lo, exec_lo, s2
	v_cmp_ne_u32_e32 vcc_lo, 1, v12
	v_mov_b32_e32 v1, 1.0
	s_cbranch_vccnz .LBB24_29
; %bb.28:
	v_div_scale_f32 v1, null, v7, v7, 1.0
	s_delay_alu instid0(VALU_DEP_1) | instskip(NEXT) | instid1(TRANS32_DEP_1)
	v_rcp_f32_e32 v2, v1
	v_fma_f32 v4, -v1, v2, 1.0
	s_delay_alu instid0(VALU_DEP_1) | instskip(SKIP_1) | instid1(VALU_DEP_1)
	v_fmac_f32_e32 v2, v4, v2
	v_div_scale_f32 v4, vcc_lo, 1.0, v7, 1.0
	v_mul_f32_e32 v5, v4, v2
	s_delay_alu instid0(VALU_DEP_1) | instskip(NEXT) | instid1(VALU_DEP_1)
	v_fma_f32 v6, -v1, v5, v4
	v_fmac_f32_e32 v5, v6, v2
	s_delay_alu instid0(VALU_DEP_1) | instskip(SKIP_1) | instid1(VALU_DEP_1)
	v_fma_f32 v1, -v1, v5, v4
	s_wait_alu 0xfffd
	v_div_fmas_f32 v1, v1, v2, v5
	s_delay_alu instid0(VALU_DEP_1)
	v_div_fixup_f32 v1, v1, v7, 1.0
.LBB24_29:
	v_dual_mov_b32 v5, 0 :: v_dual_add_nc_u32 v0, s1, v0
	v_lshrrev_b32_e32 v2, 16, v40
	v_cvt_f32_f16_e32 v6, v40
	s_delay_alu instid0(VALU_DEP_3) | instskip(NEXT) | instid1(VALU_DEP_3)
	v_lshl_add_u32 v4, v0, 6, v15
	v_cvt_f32_f16_e32 v2, v2
	s_delay_alu instid0(VALU_DEP_3) | instskip(NEXT) | instid1(VALU_DEP_3)
	v_mul_f32_e32 v6, v1, v6
	v_lshlrev_b64_e32 v[4:5], 2, v[4:5]
	s_delay_alu instid0(VALU_DEP_3) | instskip(NEXT) | instid1(VALU_DEP_2)
	v_mul_f32_e32 v7, v1, v2
	v_add_co_u32 v1, vcc_lo, s16, v4
	s_wait_alu 0xfffd
	s_delay_alu instid0(VALU_DEP_3)
	v_add_co_ci_u32_e64 v2, null, s17, v5, vcc_lo
	global_store_b64 v[1:2], v[6:7], off
	s_and_b32 exec_lo, exec_lo, s0
	s_cbranch_execz .LBB24_13
; %bb.30:
	v_ashrrev_i32_e32 v1, 31, v0
	v_mov_b32_e32 v10, v3
	s_delay_alu instid0(VALU_DEP_2) | instskip(NEXT) | instid1(VALU_DEP_1)
	v_lshlrev_b64_e32 v[0:1], 3, v[0:1]
	v_add_co_u32 v0, vcc_lo, s18, v0
	s_wait_alu 0xfffd
	s_delay_alu instid0(VALU_DEP_2)
	v_add_co_ci_u32_e64 v1, null, s19, v1, vcc_lo
	global_store_b64 v[0:1], v[10:11], off
	s_nop 0
	s_sendmsg sendmsg(MSG_DEALLOC_VGPRS)
	s_endpgm
	.section	.rodata,"a",@progbits
	.p2align	6, 0x0
	.amdhsa_kernel _ZL15flash_attn_tileILi64ELi64ELi4ELi4ELb0EEvPKcS1_S1_S1_S1_PKiPfP15HIP_vector_typeIfLj2EEffffjfiS5_IjLj3EEiiiiiiiiiiiliiliiiiil
		.amdhsa_group_segment_fixed_size 24576
		.amdhsa_private_segment_fixed_size 0
		.amdhsa_kernarg_size 464
		.amdhsa_user_sgpr_count 2
		.amdhsa_user_sgpr_dispatch_ptr 0
		.amdhsa_user_sgpr_queue_ptr 0
		.amdhsa_user_sgpr_kernarg_segment_ptr 1
		.amdhsa_user_sgpr_dispatch_id 0
		.amdhsa_user_sgpr_private_segment_size 0
		.amdhsa_wavefront_size32 1
		.amdhsa_uses_dynamic_stack 0
		.amdhsa_enable_private_segment 0
		.amdhsa_system_sgpr_workgroup_id_x 1
		.amdhsa_system_sgpr_workgroup_id_y 1
		.amdhsa_system_sgpr_workgroup_id_z 1
		.amdhsa_system_sgpr_workgroup_info 0
		.amdhsa_system_vgpr_workitem_id 1
		.amdhsa_next_free_vgpr 241
		.amdhsa_next_free_sgpr 42
		.amdhsa_reserve_vcc 1
		.amdhsa_float_round_mode_32 0
		.amdhsa_float_round_mode_16_64 0
		.amdhsa_float_denorm_mode_32 3
		.amdhsa_float_denorm_mode_16_64 3
		.amdhsa_fp16_overflow 0
		.amdhsa_workgroup_processor_mode 1
		.amdhsa_memory_ordered 1
		.amdhsa_forward_progress 1
		.amdhsa_inst_pref_size 195
		.amdhsa_round_robin_scheduling 0
		.amdhsa_exception_fp_ieee_invalid_op 0
		.amdhsa_exception_fp_denorm_src 0
		.amdhsa_exception_fp_ieee_div_zero 0
		.amdhsa_exception_fp_ieee_overflow 0
		.amdhsa_exception_fp_ieee_underflow 0
		.amdhsa_exception_fp_ieee_inexact 0
		.amdhsa_exception_int_div_zero 0
	.end_amdhsa_kernel
	.section	.text._ZL15flash_attn_tileILi64ELi64ELi4ELi4ELb0EEvPKcS1_S1_S1_S1_PKiPfP15HIP_vector_typeIfLj2EEffffjfiS5_IjLj3EEiiiiiiiiiiiliiliiiiil,"axG",@progbits,_ZL15flash_attn_tileILi64ELi64ELi4ELi4ELb0EEvPKcS1_S1_S1_S1_PKiPfP15HIP_vector_typeIfLj2EEffffjfiS5_IjLj3EEiiiiiiiiiiiliiliiiiil,comdat
.Lfunc_end24:
	.size	_ZL15flash_attn_tileILi64ELi64ELi4ELi4ELb0EEvPKcS1_S1_S1_S1_PKiPfP15HIP_vector_typeIfLj2EEffffjfiS5_IjLj3EEiiiiiiiiiiiliiliiiiil, .Lfunc_end24-_ZL15flash_attn_tileILi64ELi64ELi4ELi4ELb0EEvPKcS1_S1_S1_S1_PKiPfP15HIP_vector_typeIfLj2EEffffjfiS5_IjLj3EEiiiiiiiiiiiliiliiiiil
                                        ; -- End function
	.set _ZL15flash_attn_tileILi64ELi64ELi4ELi4ELb0EEvPKcS1_S1_S1_S1_PKiPfP15HIP_vector_typeIfLj2EEffffjfiS5_IjLj3EEiiiiiiiiiiiliiliiiiil.num_vgpr, 139
	.set _ZL15flash_attn_tileILi64ELi64ELi4ELi4ELb0EEvPKcS1_S1_S1_S1_PKiPfP15HIP_vector_typeIfLj2EEffffjfiS5_IjLj3EEiiiiiiiiiiiliiliiiiil.num_agpr, 0
	.set _ZL15flash_attn_tileILi64ELi64ELi4ELi4ELb0EEvPKcS1_S1_S1_S1_PKiPfP15HIP_vector_typeIfLj2EEffffjfiS5_IjLj3EEiiiiiiiiiiiliiliiiiil.numbered_sgpr, 42
	.set _ZL15flash_attn_tileILi64ELi64ELi4ELi4ELb0EEvPKcS1_S1_S1_S1_PKiPfP15HIP_vector_typeIfLj2EEffffjfiS5_IjLj3EEiiiiiiiiiiiliiliiiiil.num_named_barrier, 0
	.set _ZL15flash_attn_tileILi64ELi64ELi4ELi4ELb0EEvPKcS1_S1_S1_S1_PKiPfP15HIP_vector_typeIfLj2EEffffjfiS5_IjLj3EEiiiiiiiiiiiliiliiiiil.private_seg_size, 0
	.set _ZL15flash_attn_tileILi64ELi64ELi4ELi4ELb0EEvPKcS1_S1_S1_S1_PKiPfP15HIP_vector_typeIfLj2EEffffjfiS5_IjLj3EEiiiiiiiiiiiliiliiiiil.uses_vcc, 1
	.set _ZL15flash_attn_tileILi64ELi64ELi4ELi4ELb0EEvPKcS1_S1_S1_S1_PKiPfP15HIP_vector_typeIfLj2EEffffjfiS5_IjLj3EEiiiiiiiiiiiliiliiiiil.uses_flat_scratch, 0
	.set _ZL15flash_attn_tileILi64ELi64ELi4ELi4ELb0EEvPKcS1_S1_S1_S1_PKiPfP15HIP_vector_typeIfLj2EEffffjfiS5_IjLj3EEiiiiiiiiiiiliiliiiiil.has_dyn_sized_stack, 0
	.set _ZL15flash_attn_tileILi64ELi64ELi4ELi4ELb0EEvPKcS1_S1_S1_S1_PKiPfP15HIP_vector_typeIfLj2EEffffjfiS5_IjLj3EEiiiiiiiiiiiliiliiiiil.has_recursion, 0
	.set _ZL15flash_attn_tileILi64ELi64ELi4ELi4ELb0EEvPKcS1_S1_S1_S1_PKiPfP15HIP_vector_typeIfLj2EEffffjfiS5_IjLj3EEiiiiiiiiiiiliiliiiiil.has_indirect_call, 0
	.section	.AMDGPU.csdata,"",@progbits
; Kernel info:
; codeLenInByte = 24956
; TotalNumSgprs: 44
; NumVgprs: 139
; ScratchSize: 0
; MemoryBound: 0
; FloatMode: 240
; IeeeMode: 1
; LDSByteSize: 24576 bytes/workgroup (compile time only)
; SGPRBlocks: 0
; VGPRBlocks: 30
; NumSGPRsForWavesPerEU: 44
; NumVGPRsForWavesPerEU: 241
; Occupancy: 5
; WaveLimiterHint : 1
; COMPUTE_PGM_RSRC2:SCRATCH_EN: 0
; COMPUTE_PGM_RSRC2:USER_SGPR: 2
; COMPUTE_PGM_RSRC2:TRAP_HANDLER: 0
; COMPUTE_PGM_RSRC2:TGID_X_EN: 1
; COMPUTE_PGM_RSRC2:TGID_Y_EN: 1
; COMPUTE_PGM_RSRC2:TGID_Z_EN: 1
; COMPUTE_PGM_RSRC2:TIDIG_COMP_CNT: 1
	.section	.text._ZL33flash_attn_stream_k_fixup_uniformILi64ELi4ELi4EEvPfPK15HIP_vector_typeIfLj2EEiiiiiiS1_IjLj3EES5_S5_,"axG",@progbits,_ZL33flash_attn_stream_k_fixup_uniformILi64ELi4ELi4EEvPfPK15HIP_vector_typeIfLj2EEiiiiiiS1_IjLj3EES5_S5_,comdat
	.globl	_ZL33flash_attn_stream_k_fixup_uniformILi64ELi4ELi4EEvPfPK15HIP_vector_typeIfLj2EEiiiiiiS1_IjLj3EES5_S5_ ; -- Begin function _ZL33flash_attn_stream_k_fixup_uniformILi64ELi4ELi4EEvPfPK15HIP_vector_typeIfLj2EEiiiiiiS1_IjLj3EES5_S5_
	.p2align	8
	.type	_ZL33flash_attn_stream_k_fixup_uniformILi64ELi4ELi4EEvPfPK15HIP_vector_typeIfLj2EEiiiiiiS1_IjLj3EES5_S5_,@function
_ZL33flash_attn_stream_k_fixup_uniformILi64ELi4ELi4EEvPfPK15HIP_vector_typeIfLj2EEiiiiiiS1_IjLj3EES5_S5_: ; @_ZL33flash_attn_stream_k_fixup_uniformILi64ELi4ELi4EEvPfPK15HIP_vector_typeIfLj2EEiiiiiiS1_IjLj3EES5_S5_
; %bb.0:
	s_clause 0x1
	s_load_b256 s[4:11], s[0:1], 0x1c
	s_load_b128 s[12:15], s[0:1], 0x3c
	s_wait_kmcnt 0x0
	s_mul_hi_u32 s2, s7, ttmp9
	s_delay_alu instid0(SALU_CYCLE_1) | instskip(NEXT) | instid1(SALU_CYCLE_1)
	s_add_co_i32 s2, ttmp9, s2
	s_lshr_b32 s2, s2, s8
	s_delay_alu instid0(SALU_CYCLE_1) | instskip(SKIP_2) | instid1(SALU_CYCLE_1)
	s_mul_i32 s3, s2, s9
	s_load_b64 s[8:9], s[0:1], 0x10
	s_sub_co_i32 s7, ttmp9, s3
	s_mul_hi_u32 s3, s7, s10
	s_delay_alu instid0(SALU_CYCLE_1) | instskip(NEXT) | instid1(SALU_CYCLE_1)
	s_add_co_i32 s3, s7, s3
	s_lshr_b32 s3, s3, s11
	s_delay_alu instid0(SALU_CYCLE_1) | instskip(NEXT) | instid1(SALU_CYCLE_1)
	s_mul_i32 s10, s3, s12
	s_sub_co_i32 s7, s7, s10
	s_delay_alu instid0(SALU_CYCLE_1) | instskip(NEXT) | instid1(SALU_CYCLE_1)
	s_mul_hi_u32 s10, s7, s13
	s_add_co_i32 s10, s7, s10
	s_delay_alu instid0(SALU_CYCLE_1) | instskip(NEXT) | instid1(SALU_CYCLE_1)
	s_lshr_b32 s12, s10, s14
	s_mul_i32 s10, s12, s15
	s_lshl_b32 s12, s12, 2
	s_sub_co_i32 s11, s7, s10
	s_and_b32 s7, ttmp7, 0xffff
	s_lshl_b32 s13, s11, 2
	s_lshr_b32 s10, ttmp7, 16
	s_add_co_i32 s13, s13, s7
	s_wait_kmcnt 0x0
	s_cmp_lt_i32 s13, s8
	s_cselect_b32 s13, -1, 0
	s_add_co_i32 s14, s12, s10
	s_delay_alu instid0(SALU_CYCLE_1) | instskip(SKIP_1) | instid1(SALU_CYCLE_1)
	s_cmp_lt_i32 s14, s5
	s_cselect_b32 s14, -1, 0
	s_and_b32 s13, s13, s14
	s_delay_alu instid0(SALU_CYCLE_1)
	s_and_not1_b32 vcc_lo, exec_lo, s13
	s_cbranch_vccnz .LBB25_6
; %bb.1:
	s_mul_i32 s2, s2, s8
	s_mul_i32 s5, s3, s5
	s_add_co_i32 s2, s2, s7
	s_delay_alu instid0(SALU_CYCLE_1) | instskip(NEXT) | instid1(SALU_CYCLE_1)
	s_mul_i32 s2, s2, s9
	s_add_co_i32 s8, s2, s10
	s_load_b128 s[0:3], s[0:1], 0x0
	s_add_co_i32 s5, s8, s5
	s_mul_i32 s8, s9, s11
	s_add_co_i32 s5, s5, s12
	s_lshl_b32 s8, s8, 8
	s_lshl_b32 s5, s5, 6
	s_delay_alu instid0(SALU_CYCLE_1)
	s_add_co_i32 s8, s8, s5
	s_lshl_b32 s5, s7, 2
	v_or_b32_e32 v1, s8, v0
	s_mul_i32 s8, s6, ttmp9
	s_wait_alu 0xfffe
	s_add_co_i32 s9, s8, s6
	s_wait_alu 0xfffe
	s_add_co_i32 s12, s9, -2
	v_ashrrev_i32_e32 v2, 31, v1
	s_delay_alu instid0(VALU_DEP_1) | instskip(SKIP_1) | instid1(VALU_DEP_1)
	v_lshlrev_b64_e32 v[1:2], 2, v[1:2]
	s_wait_kmcnt 0x0
	v_add_co_u32 v1, vcc_lo, s0, v1
	s_delay_alu instid0(VALU_DEP_1)
	v_add_co_ci_u32_e64 v2, null, s1, v2, vcc_lo
	s_add_co_i32 s0, s5, s10
	s_lshl_b32 s1, s9, 4
	global_load_b32 v5, v[1:2], off
	s_wait_alu 0xfffe
	s_add_co_i32 s0, s0, s1
	s_wait_alu 0xfffe
	s_add_co_i32 s0, s0, -16
	s_wait_alu 0xfffe
	s_ashr_i32 s1, s0, 31
	s_wait_alu 0xfffe
	s_lshl_b64 s[0:1], s[0:1], 3
	s_cmp_lt_i32 s12, s8
	s_wait_alu 0xfffe
	s_add_nc_u64 s[0:1], s[2:3], s[0:1]
	s_load_b32 s11, s[0:1], 0x4
	s_cbranch_scc1 .LBB25_4
; %bb.2:
	s_load_b32 s0, s[0:1], 0x0
	s_add_co_i32 s13, ttmp9, 1
	s_lshl_b32 s12, s4, 6
	s_mul_i32 s1, s6, s13
	s_lshl_b32 s6, s7, 8
	s_lshl_b32 s7, s10, 6
	s_wait_alu 0xfffe
	s_lshl_b32 s14, s1, 10
	s_add_co_i32 s6, s7, s6
	s_lshl_b32 s1, s1, 4
	s_add_co_i32 s14, s6, s14
	s_wait_alu 0xfffe
	s_add_co_i32 s1, s10, s1
	v_or_b32_e32 v0, s14, v0
	s_lshl_b32 s4, s4, 4
	s_ashr_i32 s13, s12, 31
	s_wait_alu 0xfffe
	s_add_co_i32 s1, s1, s4
	s_wait_kmcnt 0x0
	v_dual_mov_b32 v6, s11 :: v_dual_add_nc_u32 v3, 0xfffff800, v0
	s_lshl_b64 s[6:7], s[12:13], 2
	s_wait_alu 0xfffe
	s_add_co_i32 s4, s1, s5
	s_add_nc_u64 s[6:7], s[2:3], s[6:7]
	s_add_co_i32 s1, s9, -1
	s_sub_co_i32 s4, s4, 32
.LBB25_3:                               ; =>This Inner Loop Header: Depth=1
	v_ashrrev_i32_e32 v4, 31, v3
	s_ashr_i32 s5, s4, 31
	v_mov_b32_e32 v10, v6
	s_lshl_b64 s[10:11], s[4:5], 3
	s_wait_loadcnt 0x0
	v_mov_b32_e32 v9, v5
	v_lshlrev_b64_e32 v[7:8], 2, v[3:4]
	s_wait_alu 0xfffe
	s_add_nc_u64 s[10:11], s[2:3], s[10:11]
	v_max_num_f32_e64 v4, s0, s0
	s_load_b64 s[10:11], s[10:11], 0x0
	v_add_nc_u32_e32 v3, 0xfffffc00, v3
	v_add_co_u32 v7, vcc_lo, s6, v7
	s_wait_alu 0xfffd
	v_add_co_ci_u32_e64 v8, null, s7, v8, vcc_lo
	v_readfirstlane_b32 s5, v4
	global_load_b32 v0, v[7:8], off
	s_wait_kmcnt 0x0
	v_max_num_f32_e64 v4, s10, s10
	s_delay_alu instid0(VALU_DEP_1) | instskip(SKIP_1) | instid1(SALU_CYCLE_3)
	v_readfirstlane_b32 s9, v4
	s_max_num_f32 s5, s5, s9
	s_sub_f32 s0, s0, s5
	s_sub_f32 s9, s10, s5
	s_wait_alu 0xfffe
	s_delay_alu instid0(SALU_CYCLE_1) | instskip(NEXT) | instid1(SALU_CYCLE_1)
	s_mul_f32 s10, s0, 0x3fb8aa3b
	s_mul_f32 s12, s9, 0x3fb8aa3b
	s_wait_alu 0xfffe
	s_delay_alu instid0(SALU_CYCLE_1)
	s_xor_b32 s13, s10, 0x80000000
	s_rndne_f32 s14, s10
	s_fmamk_f32 s13, s0, 0x3fb8aa3b, s13
	s_cmp_nlt_f32 s0, 0xc2ce8ed0
	s_rndne_f32 s15, s12
	s_wait_alu 0xfffe
	s_sub_f32 s10, s10, s14
	s_fmamk_f32 s13, s0, 0x32a5705f, s13
	s_cvt_i32_f32 s14, s14
	s_cselect_b32 vcc_lo, -1, 0
	s_cmp_ngt_f32 s0, 0x42b17218
	s_wait_alu 0xfffe
	s_add_f32 s10, s10, s13
	s_sub_f32 s13, s12, s15
	s_wait_alu 0xfffe
	s_delay_alu instid0(SALU_CYCLE_1) | instskip(SKIP_1) | instid1(TRANS32_DEP_1)
	v_s_exp_f32 s10, s10
	s_wait_alu 0xf1ff
	v_ldexp_f32 v4, s10, s14
	s_cvt_i32_f32 s10, s15
	s_delay_alu instid0(VALU_DEP_1) | instskip(SKIP_3) | instid1(VALU_DEP_1)
	v_cndmask_b32_e32 v4, 0, v4, vcc_lo
	s_cselect_b32 vcc_lo, -1, 0
	s_cmp_ge_f32 s0, 0xc1a00000
	s_wait_alu 0xfffe
	v_cndmask_b32_e32 v4, 0x7f800000, v4, vcc_lo
	s_cselect_b32 vcc_lo, -1, 0
	s_xor_b32 s0, s12, 0x80000000
	s_cmp_nlt_f32 s9, 0xc2ce8ed0
	s_wait_alu 0xfffe
	s_fmamk_f32 s0, s9, 0x3fb8aa3b, s0
	s_wait_alu 0xfffe
	s_delay_alu instid0(SALU_CYCLE_2) | instskip(SKIP_1) | instid1(SALU_CYCLE_2)
	s_fmamk_f32 s0, s9, 0x32a5705f, s0
	s_wait_alu 0xfffe
	s_add_f32 s0, s13, s0
	s_wait_alu 0xfffe
	s_delay_alu instid0(SALU_CYCLE_2) | instskip(SKIP_1) | instid1(TRANS32_DEP_1)
	v_s_exp_f32 s0, s0
	s_wait_alu 0xf1ff
	v_ldexp_f32 v7, s0, s10
	s_cselect_b32 s0, -1, 0
	s_cmp_ngt_f32 s9, 0x42b17218
	s_wait_alu 0xfffe
	s_delay_alu instid0(VALU_DEP_1) | instskip(SKIP_3) | instid1(VALU_DEP_1)
	v_cndmask_b32_e64 v7, 0, v7, s0
	s_cselect_b32 s0, -1, 0
	s_cmp_ge_f32 s9, 0xc1a00000
	s_wait_alu 0xfffe
	v_cndmask_b32_e64 v7, 0x7f800000, v7, s0
	s_cselect_b32 s0, -1, 0
	s_add_co_i32 s1, s1, -1
	s_add_co_i32 s4, s4, -16
	s_wait_alu 0xfffe
	s_cmp_le_i32 s1, s8
	v_cndmask_b32_e64 v7, 0, v7, s0
	s_mov_b32 s0, s5
	s_wait_loadcnt 0x0
	s_delay_alu instid0(VALU_DEP_1) | instskip(NEXT) | instid1(VALU_DEP_1)
	v_dual_mul_f32 v5, v0, v7 :: v_dual_cndmask_b32 v4, 0, v4
	v_dual_mul_f32 v8, s11, v7 :: v_dual_fmac_f32 v5, v9, v4
	s_delay_alu instid0(VALU_DEP_1) | instskip(NEXT) | instid1(VALU_DEP_1)
	v_mov_b32_e32 v6, v8
	v_fmac_f32_e32 v6, v10, v4
	s_cbranch_scc0 .LBB25_3
	s_branch .LBB25_5
.LBB25_4:
	s_wait_kmcnt 0x0
	v_mov_b32_e32 v6, s11
.LBB25_5:
	s_wait_loadcnt 0x0
	s_delay_alu instid0(VALU_DEP_1) | instskip(NEXT) | instid1(VALU_DEP_1)
	v_div_scale_f32 v0, null, v6, v6, v5
	v_rcp_f32_e32 v3, v0
	s_delay_alu instid0(TRANS32_DEP_1) | instskip(NEXT) | instid1(VALU_DEP_1)
	v_fma_f32 v4, -v0, v3, 1.0
	v_fmac_f32_e32 v3, v4, v3
	v_div_scale_f32 v4, vcc_lo, v5, v6, v5
	s_delay_alu instid0(VALU_DEP_1) | instskip(NEXT) | instid1(VALU_DEP_1)
	v_mul_f32_e32 v7, v4, v3
	v_fma_f32 v8, -v0, v7, v4
	s_delay_alu instid0(VALU_DEP_1) | instskip(NEXT) | instid1(VALU_DEP_1)
	v_fmac_f32_e32 v7, v8, v3
	v_fma_f32 v0, -v0, v7, v4
	s_wait_alu 0xfffd
	s_delay_alu instid0(VALU_DEP_1) | instskip(NEXT) | instid1(VALU_DEP_1)
	v_div_fmas_f32 v0, v0, v3, v7
	v_div_fixup_f32 v0, v0, v6, v5
	global_store_b32 v[1:2], v0, off
.LBB25_6:
	s_endpgm
	.section	.rodata,"a",@progbits
	.p2align	6, 0x0
	.amdhsa_kernel _ZL33flash_attn_stream_k_fixup_uniformILi64ELi4ELi4EEvPfPK15HIP_vector_typeIfLj2EEiiiiiiS1_IjLj3EES5_S5_
		.amdhsa_group_segment_fixed_size 0
		.amdhsa_private_segment_fixed_size 0
		.amdhsa_kernarg_size 76
		.amdhsa_user_sgpr_count 2
		.amdhsa_user_sgpr_dispatch_ptr 0
		.amdhsa_user_sgpr_queue_ptr 0
		.amdhsa_user_sgpr_kernarg_segment_ptr 1
		.amdhsa_user_sgpr_dispatch_id 0
		.amdhsa_user_sgpr_private_segment_size 0
		.amdhsa_wavefront_size32 1
		.amdhsa_uses_dynamic_stack 0
		.amdhsa_enable_private_segment 0
		.amdhsa_system_sgpr_workgroup_id_x 1
		.amdhsa_system_sgpr_workgroup_id_y 1
		.amdhsa_system_sgpr_workgroup_id_z 1
		.amdhsa_system_sgpr_workgroup_info 0
		.amdhsa_system_vgpr_workitem_id 0
		.amdhsa_next_free_vgpr 11
		.amdhsa_next_free_sgpr 16
		.amdhsa_reserve_vcc 1
		.amdhsa_float_round_mode_32 0
		.amdhsa_float_round_mode_16_64 0
		.amdhsa_float_denorm_mode_32 3
		.amdhsa_float_denorm_mode_16_64 3
		.amdhsa_fp16_overflow 0
		.amdhsa_workgroup_processor_mode 1
		.amdhsa_memory_ordered 1
		.amdhsa_forward_progress 1
		.amdhsa_inst_pref_size 9
		.amdhsa_round_robin_scheduling 0
		.amdhsa_exception_fp_ieee_invalid_op 0
		.amdhsa_exception_fp_denorm_src 0
		.amdhsa_exception_fp_ieee_div_zero 0
		.amdhsa_exception_fp_ieee_overflow 0
		.amdhsa_exception_fp_ieee_underflow 0
		.amdhsa_exception_fp_ieee_inexact 0
		.amdhsa_exception_int_div_zero 0
	.end_amdhsa_kernel
	.section	.text._ZL33flash_attn_stream_k_fixup_uniformILi64ELi4ELi4EEvPfPK15HIP_vector_typeIfLj2EEiiiiiiS1_IjLj3EES5_S5_,"axG",@progbits,_ZL33flash_attn_stream_k_fixup_uniformILi64ELi4ELi4EEvPfPK15HIP_vector_typeIfLj2EEiiiiiiS1_IjLj3EES5_S5_,comdat
.Lfunc_end25:
	.size	_ZL33flash_attn_stream_k_fixup_uniformILi64ELi4ELi4EEvPfPK15HIP_vector_typeIfLj2EEiiiiiiS1_IjLj3EES5_S5_, .Lfunc_end25-_ZL33flash_attn_stream_k_fixup_uniformILi64ELi4ELi4EEvPfPK15HIP_vector_typeIfLj2EEiiiiiiS1_IjLj3EES5_S5_
                                        ; -- End function
	.set _ZL33flash_attn_stream_k_fixup_uniformILi64ELi4ELi4EEvPfPK15HIP_vector_typeIfLj2EEiiiiiiS1_IjLj3EES5_S5_.num_vgpr, 11
	.set _ZL33flash_attn_stream_k_fixup_uniformILi64ELi4ELi4EEvPfPK15HIP_vector_typeIfLj2EEiiiiiiS1_IjLj3EES5_S5_.num_agpr, 0
	.set _ZL33flash_attn_stream_k_fixup_uniformILi64ELi4ELi4EEvPfPK15HIP_vector_typeIfLj2EEiiiiiiS1_IjLj3EES5_S5_.numbered_sgpr, 16
	.set _ZL33flash_attn_stream_k_fixup_uniformILi64ELi4ELi4EEvPfPK15HIP_vector_typeIfLj2EEiiiiiiS1_IjLj3EES5_S5_.num_named_barrier, 0
	.set _ZL33flash_attn_stream_k_fixup_uniformILi64ELi4ELi4EEvPfPK15HIP_vector_typeIfLj2EEiiiiiiS1_IjLj3EES5_S5_.private_seg_size, 0
	.set _ZL33flash_attn_stream_k_fixup_uniformILi64ELi4ELi4EEvPfPK15HIP_vector_typeIfLj2EEiiiiiiS1_IjLj3EES5_S5_.uses_vcc, 1
	.set _ZL33flash_attn_stream_k_fixup_uniformILi64ELi4ELi4EEvPfPK15HIP_vector_typeIfLj2EEiiiiiiS1_IjLj3EES5_S5_.uses_flat_scratch, 0
	.set _ZL33flash_attn_stream_k_fixup_uniformILi64ELi4ELi4EEvPfPK15HIP_vector_typeIfLj2EEiiiiiiS1_IjLj3EES5_S5_.has_dyn_sized_stack, 0
	.set _ZL33flash_attn_stream_k_fixup_uniformILi64ELi4ELi4EEvPfPK15HIP_vector_typeIfLj2EEiiiiiiS1_IjLj3EES5_S5_.has_recursion, 0
	.set _ZL33flash_attn_stream_k_fixup_uniformILi64ELi4ELi4EEvPfPK15HIP_vector_typeIfLj2EEiiiiiiS1_IjLj3EES5_S5_.has_indirect_call, 0
	.section	.AMDGPU.csdata,"",@progbits
; Kernel info:
; codeLenInByte = 1140
; TotalNumSgprs: 18
; NumVgprs: 11
; ScratchSize: 0
; MemoryBound: 0
; FloatMode: 240
; IeeeMode: 1
; LDSByteSize: 0 bytes/workgroup (compile time only)
; SGPRBlocks: 0
; VGPRBlocks: 1
; NumSGPRsForWavesPerEU: 18
; NumVGPRsForWavesPerEU: 11
; Occupancy: 16
; WaveLimiterHint : 0
; COMPUTE_PGM_RSRC2:SCRATCH_EN: 0
; COMPUTE_PGM_RSRC2:USER_SGPR: 2
; COMPUTE_PGM_RSRC2:TRAP_HANDLER: 0
; COMPUTE_PGM_RSRC2:TGID_X_EN: 1
; COMPUTE_PGM_RSRC2:TGID_Y_EN: 1
; COMPUTE_PGM_RSRC2:TGID_Z_EN: 1
; COMPUTE_PGM_RSRC2:TIDIG_COMP_CNT: 0
	.section	.text._ZL33flash_attn_stream_k_fixup_generalILi64ELi4ELi4EEvPfPK15HIP_vector_typeIfLj2EEiiiiS1_IjLj3EES5_S5_S5_,"axG",@progbits,_ZL33flash_attn_stream_k_fixup_generalILi64ELi4ELi4EEvPfPK15HIP_vector_typeIfLj2EEiiiiS1_IjLj3EES5_S5_S5_,comdat
	.globl	_ZL33flash_attn_stream_k_fixup_generalILi64ELi4ELi4EEvPfPK15HIP_vector_typeIfLj2EEiiiiS1_IjLj3EES5_S5_S5_ ; -- Begin function _ZL33flash_attn_stream_k_fixup_generalILi64ELi4ELi4EEvPfPK15HIP_vector_typeIfLj2EEiiiiS1_IjLj3EES5_S5_S5_
	.p2align	8
	.type	_ZL33flash_attn_stream_k_fixup_generalILi64ELi4ELi4EEvPfPK15HIP_vector_typeIfLj2EEiiiiS1_IjLj3EES5_S5_S5_,@function
_ZL33flash_attn_stream_k_fixup_generalILi64ELi4ELi4EEvPfPK15HIP_vector_typeIfLj2EEiiiiS1_IjLj3EES5_S5_S5_: ; @_ZL33flash_attn_stream_k_fixup_generalILi64ELi4ELi4EEvPfPK15HIP_vector_typeIfLj2EEiiiiS1_IjLj3EES5_S5_S5_
; %bb.0:
	s_clause 0x1
	s_load_b128 s[4:7], s[0:1], 0x10
	s_load_b32 s16, s[0:1], 0x50
	s_mov_b32 s2, ttmp9
	s_ashr_i32 s3, ttmp9, 31
	s_mov_b32 s17, 0
	s_delay_alu instid0(SALU_CYCLE_1) | instskip(SKIP_3) | instid1(SALU_CYCLE_1)
	s_mov_b32 s8, s17
	s_wait_kmcnt 0x0
	s_ashr_i32 s19, s7, 31
	s_mov_b32 s18, s7
	s_mul_u64 s[2:3], s[18:19], s[2:3]
	s_delay_alu instid0(SALU_CYCLE_1) | instskip(NEXT) | instid1(SALU_CYCLE_1)
	s_mov_b32 s9, s3
	s_cmp_lg_u64 s[8:9], 0
	s_cbranch_scc0 .LBB26_21
; %bb.1:
	s_add_nc_u64 s[8:9], s[16:17], 0
	s_mov_b32 s15, s17
	s_xor_b64 s[8:9], s[8:9], 0
	s_mov_b32 s23, s17
	s_cvt_f32_u32 s7, s8
	s_cvt_f32_u32 s10, s9
	s_sub_nc_u64 s[12:13], 0, s[8:9]
	s_delay_alu instid0(SALU_CYCLE_2) | instskip(NEXT) | instid1(SALU_CYCLE_3)
	s_fmamk_f32 s7, s10, 0x4f800000, s7
	v_s_rcp_f32 s7, s7
	s_delay_alu instid0(TRANS32_DEP_1) | instskip(SKIP_1) | instid1(SALU_CYCLE_2)
	s_mul_f32 s7, s7, 0x5f7ffffc
	s_wait_alu 0xfffe
	s_mul_f32 s10, s7, 0x2f800000
	s_delay_alu instid0(SALU_CYCLE_3) | instskip(NEXT) | instid1(SALU_CYCLE_3)
	s_trunc_f32 s10, s10
	s_fmamk_f32 s7, s10, 0xcf800000, s7
	s_cvt_u32_f32 s11, s10
	s_wait_alu 0xfffe
	s_delay_alu instid0(SALU_CYCLE_1) | instskip(NEXT) | instid1(SALU_CYCLE_3)
	s_cvt_u32_f32 s10, s7
	s_mul_u64 s[20:21], s[12:13], s[10:11]
	s_delay_alu instid0(SALU_CYCLE_1)
	s_mul_hi_u32 s25, s10, s21
	s_mul_i32 s24, s10, s21
	s_mul_hi_u32 s14, s10, s20
	s_mul_i32 s22, s11, s20
	s_add_nc_u64 s[14:15], s[14:15], s[24:25]
	s_mul_hi_u32 s7, s11, s20
	s_mul_hi_u32 s26, s11, s21
	s_add_co_u32 s14, s14, s22
	s_wait_alu 0xfffe
	s_add_co_ci_u32 s22, s15, s7
	s_mul_i32 s20, s11, s21
	s_add_co_ci_u32 s21, s26, 0
	s_delay_alu instid0(SALU_CYCLE_1)
	s_add_nc_u64 s[14:15], s[22:23], s[20:21]
	s_mov_b32 s21, s17
	s_add_co_u32 s10, s10, s14
	s_cselect_b32 s7, -1, 0
	s_wait_alu 0xfffe
	s_cmp_lg_u32 s7, 0
	s_add_co_ci_u32 s11, s11, s15
	s_mov_b32 s15, s17
	s_mul_u64 s[12:13], s[12:13], s[10:11]
	s_delay_alu instid0(SALU_CYCLE_1)
	s_mul_hi_u32 s23, s10, s13
	s_mul_i32 s22, s10, s13
	s_mul_hi_u32 s14, s10, s12
	s_mul_i32 s20, s11, s12
	s_add_nc_u64 s[14:15], s[14:15], s[22:23]
	s_mul_hi_u32 s7, s11, s12
	s_mul_hi_u32 s24, s11, s13
	s_mul_i32 s12, s11, s13
	s_add_co_u32 s13, s14, s20
	s_wait_alu 0xfffe
	s_add_co_ci_u32 s20, s15, s7
	s_add_co_ci_u32 s13, s24, 0
	s_mov_b32 s15, s17
	s_add_nc_u64 s[12:13], s[20:21], s[12:13]
	s_delay_alu instid0(SALU_CYCLE_1) | instskip(SKIP_1) | instid1(SALU_CYCLE_1)
	s_add_co_u32 s7, s10, s12
	s_cselect_b32 s10, -1, 0
	s_cmp_lg_u32 s10, 0
	s_add_co_ci_u32 s20, s11, s13
	s_ashr_i32 s10, s3, 31
	s_delay_alu instid0(SALU_CYCLE_1) | instskip(NEXT) | instid1(SALU_CYCLE_1)
	s_mov_b32 s11, s10
	s_add_nc_u64 s[12:13], s[2:3], s[10:11]
	s_delay_alu instid0(SALU_CYCLE_1) | instskip(NEXT) | instid1(SALU_CYCLE_1)
	s_xor_b64 s[12:13], s[12:13], s[10:11]
	s_mul_hi_u32 s23, s12, s20
	s_mul_i32 s22, s12, s20
	s_wait_alu 0xfffe
	s_mul_hi_u32 s14, s12, s7
	s_mul_hi_u32 s24, s13, s7
	s_mul_i32 s7, s13, s7
	s_add_nc_u64 s[14:15], s[14:15], s[22:23]
	s_mul_hi_u32 s3, s13, s20
	s_wait_alu 0xfffe
	s_add_co_u32 s7, s14, s7
	s_mul_i32 s22, s13, s20
	s_add_co_ci_u32 s20, s15, s24
	s_add_co_ci_u32 s23, s3, 0
	s_delay_alu instid0(SALU_CYCLE_1) | instskip(NEXT) | instid1(SALU_CYCLE_1)
	s_add_nc_u64 s[14:15], s[20:21], s[22:23]
	s_mul_u64 s[20:21], s[8:9], s[14:15]
	s_delay_alu instid0(SALU_CYCLE_1)
	s_sub_co_u32 s3, s12, s20
	s_cselect_b32 s7, -1, 0
	s_sub_co_i32 s12, s13, s21
	s_wait_alu 0xfffe
	s_cmp_lg_u32 s7, 0
	s_sub_co_ci_u32 s12, s12, s9
	s_sub_co_u32 s20, s3, s8
	s_cselect_b32 s22, -1, 0
	s_delay_alu instid0(SALU_CYCLE_1) | instskip(SKIP_2) | instid1(SALU_CYCLE_1)
	s_cmp_lg_u32 s22, 0
	s_add_nc_u64 s[22:23], s[14:15], 1
	s_sub_co_ci_u32 s12, s12, 0
	s_cmp_ge_u32 s12, s9
	s_cselect_b32 s24, -1, 0
	s_cmp_ge_u32 s20, s8
	s_cselect_b32 s20, -1, 0
	s_cmp_eq_u32 s12, s9
	s_cselect_b32 s12, s20, s24
	s_add_nc_u64 s[24:25], s[14:15], 2
	s_cmp_lg_u32 s12, 0
	s_cselect_b32 s12, s24, s22
	s_cselect_b32 s20, s25, s23
	s_cmp_lg_u32 s7, 0
	s_sub_co_ci_u32 s7, s13, s21
	s_wait_alu 0xfffe
	s_cmp_ge_u32 s7, s9
	s_cselect_b32 s13, -1, 0
	s_cmp_ge_u32 s3, s8
	s_cselect_b32 s3, -1, 0
	s_cmp_eq_u32 s7, s9
	s_cselect_b32 s3, s3, s13
	s_delay_alu instid0(SALU_CYCLE_1) | instskip(SKIP_4) | instid1(SALU_CYCLE_1)
	s_cmp_lg_u32 s3, 0
	s_mov_b32 s3, s17
	s_cselect_b32 s9, s20, s15
	s_cselect_b32 s8, s12, s14
	s_xor_b64 s[10:11], s[10:11], 0
	s_xor_b64 s[8:9], s[8:9], s[10:11]
	s_delay_alu instid0(SALU_CYCLE_1)
	s_sub_nc_u64 s[20:21], s[8:9], s[10:11]
	s_and_not1_b32 vcc_lo, exec_lo, s3
	s_cbranch_vccnz .LBB26_3
.LBB26_2:
	v_cvt_f32_u32_e32 v1, s16
	s_sub_co_i32 s7, 0, s16
	s_delay_alu instid0(VALU_DEP_1) | instskip(NEXT) | instid1(TRANS32_DEP_1)
	v_rcp_iflag_f32_e32 v1, v1
	v_mul_f32_e32 v1, 0x4f7ffffe, v1
	s_delay_alu instid0(VALU_DEP_1) | instskip(NEXT) | instid1(VALU_DEP_1)
	v_cvt_u32_f32_e32 v1, v1
	v_readfirstlane_b32 s3, v1
	s_wait_alu 0xfffe
	s_mul_i32 s7, s7, s3
	s_wait_alu 0xfffe
	s_mul_hi_u32 s7, s3, s7
	s_wait_alu 0xfffe
	s_add_co_i32 s3, s3, s7
	s_delay_alu instid0(SALU_CYCLE_1) | instskip(NEXT) | instid1(SALU_CYCLE_1)
	s_mul_hi_u32 s3, s2, s3
	s_mul_i32 s7, s3, s16
	s_wait_alu 0xfffe
	s_sub_co_i32 s2, s2, s7
	s_add_co_i32 s7, s3, 1
	s_sub_co_i32 s8, s2, s16
	s_cmp_ge_u32 s2, s16
	s_wait_alu 0xfffe
	s_cselect_b32 s3, s7, s3
	s_cselect_b32 s2, s8, s2
	s_add_co_i32 s7, s3, 1
	s_cmp_ge_u32 s2, s16
	s_wait_alu 0xfffe
	s_cselect_b32 s20, s7, s3
.LBB26_3:
	s_add_co_i32 s2, ttmp9, 1
	s_mov_b32 s8, 0
	s_ashr_i32 s3, s2, 31
	s_delay_alu instid0(SALU_CYCLE_1) | instskip(NEXT) | instid1(SALU_CYCLE_1)
	s_mul_u64 s[2:3], s[18:19], s[2:3]
	s_mov_b32 s9, s3
	s_delay_alu instid0(SALU_CYCLE_1)
	s_cmp_lg_u64 s[8:9], 0
	s_cbranch_scc0 .LBB26_22
; %bb.4:
	s_add_nc_u64 s[10:11], s[16:17], 0
	s_mov_b32 s23, s8
	s_xor_b64 s[10:11], s[10:11], 0
	s_mov_b32 s27, s8
	s_cvt_f32_u32 s7, s10
	s_cvt_f32_u32 s9, s11
	s_sub_nc_u64 s[14:15], 0, s[10:11]
	s_wait_alu 0xfffe
	s_delay_alu instid0(SALU_CYCLE_1) | instskip(SKIP_1) | instid1(SALU_CYCLE_2)
	s_fmamk_f32 s7, s9, 0x4f800000, s7
	s_wait_alu 0xfffe
	v_s_rcp_f32 s7, s7
	s_delay_alu instid0(TRANS32_DEP_1) | instskip(SKIP_1) | instid1(SALU_CYCLE_2)
	s_mul_f32 s7, s7, 0x5f7ffffc
	s_wait_alu 0xfffe
	s_mul_f32 s9, s7, 0x2f800000
	s_delay_alu instid0(SALU_CYCLE_3) | instskip(NEXT) | instid1(SALU_CYCLE_3)
	s_trunc_f32 s9, s9
	s_fmamk_f32 s7, s9, 0xcf800000, s7
	s_cvt_u32_f32 s13, s9
	s_wait_alu 0xfffe
	s_delay_alu instid0(SALU_CYCLE_1) | instskip(NEXT) | instid1(SALU_CYCLE_3)
	s_cvt_u32_f32 s12, s7
	s_mul_u64 s[24:25], s[14:15], s[12:13]
	s_delay_alu instid0(SALU_CYCLE_1)
	s_mul_hi_u32 s29, s12, s25
	s_mul_i32 s28, s12, s25
	s_mul_hi_u32 s22, s12, s24
	s_mul_i32 s9, s13, s24
	s_add_nc_u64 s[22:23], s[22:23], s[28:29]
	s_mul_hi_u32 s7, s13, s24
	s_mul_hi_u32 s21, s13, s25
	s_add_co_u32 s9, s22, s9
	s_wait_alu 0xfffe
	s_add_co_ci_u32 s26, s23, s7
	s_mul_i32 s24, s13, s25
	s_add_co_ci_u32 s25, s21, 0
	s_delay_alu instid0(SALU_CYCLE_1)
	s_add_nc_u64 s[22:23], s[26:27], s[24:25]
	s_mov_b32 s25, s8
	s_add_co_u32 s12, s12, s22
	s_cselect_b32 s7, -1, 0
	s_wait_alu 0xfffe
	s_cmp_lg_u32 s7, 0
	s_add_co_ci_u32 s13, s13, s23
	s_mov_b32 s23, s8
	s_mul_u64 s[14:15], s[14:15], s[12:13]
	s_delay_alu instid0(SALU_CYCLE_1)
	s_mul_hi_u32 s27, s12, s15
	s_mul_i32 s26, s12, s15
	s_mul_hi_u32 s22, s12, s14
	s_mul_i32 s9, s13, s14
	s_add_nc_u64 s[22:23], s[22:23], s[26:27]
	s_mul_hi_u32 s7, s13, s14
	s_mul_hi_u32 s21, s13, s15
	s_add_co_u32 s9, s22, s9
	s_wait_alu 0xfffe
	s_add_co_ci_u32 s24, s23, s7
	s_mul_i32 s14, s13, s15
	s_add_co_ci_u32 s15, s21, 0
	s_mov_b32 s23, s8
	s_add_nc_u64 s[14:15], s[24:25], s[14:15]
	s_delay_alu instid0(SALU_CYCLE_1) | instskip(SKIP_1) | instid1(SALU_CYCLE_1)
	s_add_co_u32 s7, s12, s14
	s_cselect_b32 s9, -1, 0
	s_cmp_lg_u32 s9, 0
	s_add_co_ci_u32 s9, s13, s15
	s_ashr_i32 s12, s3, 31
	s_delay_alu instid0(SALU_CYCLE_1) | instskip(NEXT) | instid1(SALU_CYCLE_1)
	s_mov_b32 s13, s12
	s_add_nc_u64 s[14:15], s[2:3], s[12:13]
	s_delay_alu instid0(SALU_CYCLE_1) | instskip(NEXT) | instid1(SALU_CYCLE_1)
	s_xor_b64 s[14:15], s[14:15], s[12:13]
	s_mul_hi_u32 s27, s14, s9
	s_mul_i32 s26, s14, s9
	s_wait_alu 0xfffe
	s_mul_hi_u32 s22, s14, s7
	s_mul_hi_u32 s21, s15, s7
	s_mul_i32 s7, s15, s7
	s_add_nc_u64 s[22:23], s[22:23], s[26:27]
	s_mul_hi_u32 s3, s15, s9
	s_wait_alu 0xfffe
	s_add_co_u32 s7, s22, s7
	s_add_co_ci_u32 s24, s23, s21
	s_mul_i32 s26, s15, s9
	s_add_co_ci_u32 s27, s3, 0
	s_delay_alu instid0(SALU_CYCLE_1) | instskip(NEXT) | instid1(SALU_CYCLE_1)
	s_add_nc_u64 s[22:23], s[24:25], s[26:27]
	s_mul_u64 s[24:25], s[10:11], s[22:23]
	s_add_nc_u64 s[26:27], s[22:23], 1
	s_sub_co_u32 s3, s14, s24
	s_cselect_b32 s7, -1, 0
	s_sub_co_i32 s9, s15, s25
	s_wait_alu 0xfffe
	s_cmp_lg_u32 s7, 0
	s_add_nc_u64 s[28:29], s[22:23], 2
	s_sub_co_ci_u32 s9, s9, s11
	s_sub_co_u32 s14, s3, s10
	s_cselect_b32 s21, -1, 0
	s_delay_alu instid0(SALU_CYCLE_1) | instskip(SKIP_1) | instid1(SALU_CYCLE_1)
	s_cmp_lg_u32 s21, 0
	s_sub_co_ci_u32 s9, s9, 0
	s_cmp_ge_u32 s9, s11
	s_cselect_b32 s21, -1, 0
	s_cmp_ge_u32 s14, s10
	s_cselect_b32 s14, -1, 0
	s_cmp_eq_u32 s9, s11
	s_cselect_b32 s9, s14, s21
	s_delay_alu instid0(SALU_CYCLE_1)
	s_cmp_lg_u32 s9, 0
	s_cselect_b32 s9, s28, s26
	s_cselect_b32 s14, s29, s27
	s_cmp_lg_u32 s7, 0
	s_sub_co_ci_u32 s7, s15, s25
	s_wait_alu 0xfffe
	s_cmp_ge_u32 s7, s11
	s_cselect_b32 s15, -1, 0
	s_cmp_ge_u32 s3, s10
	s_cselect_b32 s3, -1, 0
	s_cmp_eq_u32 s7, s11
	s_cselect_b32 s3, s3, s15
	s_delay_alu instid0(SALU_CYCLE_1) | instskip(SKIP_3) | instid1(SALU_CYCLE_1)
	s_cmp_lg_u32 s3, 0
	s_cselect_b32 s11, s14, s23
	s_cselect_b32 s10, s9, s22
	s_xor_b64 s[12:13], s[12:13], 0
	s_xor_b64 s[10:11], s[10:11], s[12:13]
	s_delay_alu instid0(SALU_CYCLE_1)
	s_sub_nc_u64 s[10:11], s[10:11], s[12:13]
	s_load_b96 s[12:14], s[0:1], 0x44
	s_and_not1_b32 vcc_lo, exec_lo, s8
	s_cbranch_vccnz .LBB26_6
.LBB26_5:
	v_cvt_f32_u32_e32 v1, s16
	s_sub_co_i32 s7, 0, s16
	s_delay_alu instid0(VALU_DEP_1) | instskip(NEXT) | instid1(TRANS32_DEP_1)
	v_rcp_iflag_f32_e32 v1, v1
	v_mul_f32_e32 v1, 0x4f7ffffe, v1
	s_delay_alu instid0(VALU_DEP_1) | instskip(NEXT) | instid1(VALU_DEP_1)
	v_cvt_u32_f32_e32 v1, v1
	v_readfirstlane_b32 s3, v1
	s_wait_alu 0xfffe
	s_mul_i32 s7, s7, s3
	s_wait_alu 0xfffe
	s_mul_hi_u32 s7, s3, s7
	s_wait_alu 0xfffe
	s_add_co_i32 s3, s3, s7
	s_delay_alu instid0(SALU_CYCLE_1) | instskip(NEXT) | instid1(SALU_CYCLE_1)
	s_mul_hi_u32 s3, s2, s3
	s_mul_i32 s7, s3, s16
	s_wait_alu 0xfffe
	s_sub_co_i32 s2, s2, s7
	s_add_co_i32 s7, s3, 1
	s_sub_co_i32 s8, s2, s16
	s_cmp_ge_u32 s2, s16
	s_wait_alu 0xfffe
	s_cselect_b32 s3, s7, s3
	s_cselect_b32 s2, s8, s2
	s_add_co_i32 s7, s3, 1
	s_cmp_ge_u32 s2, s16
	s_wait_alu 0xfffe
	s_cselect_b32 s10, s7, s3
.LBB26_6:
	s_mov_b32 s21, 0
	s_wait_kmcnt 0x0
	s_mov_b32 s22, s12
	s_mov_b32 s23, s21
	s_cmp_eq_u32 s20, s10
	s_mul_u64 s[2:3], s[20:21], s[22:23]
	s_cselect_b32 s7, -1, 0
	s_add_co_i32 s2, s3, s20
	s_mov_b32 s11, s21
	s_lshr_b32 s12, s2, s13
	s_mul_u64 s[2:3], s[10:11], s[22:23]
	s_mul_i32 s2, s12, s14
	s_delay_alu instid0(SALU_CYCLE_1) | instskip(SKIP_2) | instid1(SALU_CYCLE_1)
	s_cmp_eq_u32 s2, s20
	s_cselect_b32 s2, -1, 0
	s_add_co_i32 s3, s3, s10
	s_lshr_b32 s3, s3, s13
	s_delay_alu instid0(SALU_CYCLE_1)
	s_cmp_eq_u32 s12, s3
	s_mul_i32 s3, s3, s14
	s_cselect_b32 s8, -1, 0
	s_cmp_lg_u32 s3, s10
	s_cselect_b32 s3, -1, 0
	s_wait_alu 0xfffe
	s_or_b32 s2, s7, s2
	s_and_b32 s3, s8, s3
	s_delay_alu instid0(SALU_CYCLE_1) | instskip(NEXT) | instid1(SALU_CYCLE_1)
	s_or_b32 s2, s2, s3
	s_and_b32 vcc_lo, exec_lo, s2
	s_cbranch_vccnz .LBB26_24
; %bb.7:
	s_load_b256 s[24:31], s[0:1], 0x20
	s_mov_b32 s3, s21
	s_wait_kmcnt 0x0
	s_mov_b32 s2, s24
	s_delay_alu instid0(SALU_CYCLE_1) | instskip(NEXT) | instid1(SALU_CYCLE_1)
	s_mul_u64 s[2:3], s[20:21], s[2:3]
	s_add_co_i32 s2, s3, s20
	s_delay_alu instid0(SALU_CYCLE_1) | instskip(SKIP_2) | instid1(SALU_CYCLE_1)
	s_lshr_b32 s7, s2, s25
	s_load_b32 s2, s[0:1], 0x40
	s_mul_i32 s3, s7, s26
	s_sub_co_i32 s3, s20, s3
	s_delay_alu instid0(SALU_CYCLE_1) | instskip(NEXT) | instid1(SALU_CYCLE_1)
	s_mul_hi_u32 s8, s3, s27
	s_add_co_i32 s8, s3, s8
	s_delay_alu instid0(SALU_CYCLE_1) | instskip(NEXT) | instid1(SALU_CYCLE_1)
	s_lshr_b32 s8, s8, s28
	s_mul_i32 s9, s8, s29
	s_delay_alu instid0(SALU_CYCLE_1) | instskip(NEXT) | instid1(SALU_CYCLE_1)
	s_sub_co_i32 s9, s3, s9
	s_mul_hi_u32 s3, s9, s30
	s_delay_alu instid0(SALU_CYCLE_1) | instskip(NEXT) | instid1(SALU_CYCLE_1)
	s_add_co_i32 s3, s9, s3
	s_lshr_b32 s24, s3, s31
	s_mov_b32 s3, s21
	s_wait_kmcnt 0x0
	s_mul_i32 s2, s24, s2
	s_lshl_b32 s21, s24, 2
	s_sub_co_i32 s2, s9, s2
	s_delay_alu instid0(SALU_CYCLE_1) | instskip(SKIP_2) | instid1(SALU_CYCLE_1)
	s_mul_u64 s[10:11], s[2:3], s[22:23]
	s_lshr_b32 s3, ttmp7, 16
	s_add_co_i32 s2, s2, s11
	s_lshr_b32 s15, s2, s13
	s_and_b32 s2, ttmp7, 0xffff
	s_lshl_b32 s9, s15, 2
	s_delay_alu instid0(SALU_CYCLE_1) | instskip(NEXT) | instid1(SALU_CYCLE_1)
	s_add_co_i32 s9, s9, s2
	s_cmp_lt_i32 s9, s4
	s_cselect_b32 s9, -1, 0
	s_add_co_i32 s10, s21, s3
	s_delay_alu instid0(SALU_CYCLE_1) | instskip(SKIP_1) | instid1(SALU_CYCLE_1)
	s_cmp_lt_i32 s10, s6
	s_cselect_b32 s10, -1, 0
	s_and_b32 s9, s9, s10
	s_delay_alu instid0(SALU_CYCLE_1)
	s_and_not1_b32 vcc_lo, exec_lo, s9
	s_cbranch_vccnz .LBB26_24
; %bb.8:
	s_mul_i32 s4, s7, s4
	s_mul_i32 s6, s8, s6
	s_add_co_i32 s4, s4, s2
	s_load_b128 s[8:11], s[0:1], 0x0
	s_mul_i32 s4, s4, s5
	s_mul_i32 s1, s5, s15
	s_add_co_i32 s4, s4, s3
	s_lshl_b32 s1, s1, 8
	s_add_co_i32 s0, s4, s6
	s_lshl_b32 s15, s2, 2
	s_add_co_i32 s0, s0, s21
	s_add_co_i32 s15, s15, s3
	s_lshl_b32 s0, s0, 6
	v_cvt_f32_u32_e32 v4, s16
	s_add_co_i32 s1, s1, s0
	s_add_co_i32 s34, ttmp9, -1
	v_or_b32_e32 v1, s1, v0
	s_add_nc_u64 s[0:1], s[16:17], 0
	v_rcp_iflag_f32_e32 v4, v4
	s_wait_alu 0xfffe
	s_xor_b64 s[6:7], s[0:1], 0
	s_lshl_b32 s0, ttmp9, 4
	v_ashrrev_i32_e32 v2, 31, v1
	s_wait_alu 0xfffe
	s_cvt_f32_u32 s1, s6
	s_cvt_f32_u32 s2, s7
	s_add_co_i32 s0, s15, s0
	v_lshl_or_b32 v0, s15, 6, v0
	v_lshlrev_b64_e32 v[1:2], 2, v[1:2]
	s_wait_alu 0xfffe
	s_fmamk_f32 s2, s2, 0x4f800000, s1
	s_ashr_i32 s1, s0, 31
	s_sub_nc_u64 s[30:31], 0, s[6:7]
	s_wait_alu 0xfffe
	s_lshl_b64 s[0:1], s[0:1], 3
	v_s_rcp_f32 s2, s2
	s_wait_kmcnt 0x0
	v_add_co_u32 v1, vcc_lo, s8, v1
	s_delay_alu instid0(VALU_DEP_1)
	v_add_co_ci_u32_e64 v2, null, s9, v2, vcc_lo
	s_wait_alu 0xfffe
	s_add_nc_u64 s[0:1], s[10:11], s[0:1]
	s_mov_b32 s8, 0
	s_load_b64 s[26:27], s[0:1], 0x0
	global_load_b32 v3, v[1:2], off
	s_mul_f32 s2, s2, 0x5f7ffffc
	v_mul_f32_e32 v4, 0x4f7ffffe, v4
	s_lshl_b32 s0, s16, 6
	s_wait_alu 0xfffe
	s_mul_f32 s1, s2, 0x2f800000
	s_wait_alu 0xfffe
	s_delay_alu instid0(SALU_CYCLE_2)
	s_trunc_f32 s3, s1
	s_mov_b32 s1, s8
	s_wait_alu 0xfffe
	s_lshl_b64 s[0:1], s[0:1], 2
	s_fmamk_f32 s2, s3, 0xcf800000, s2
	s_cvt_u32_f32 s29, s3
	s_wait_alu 0xfffe
	s_add_nc_u64 s[24:25], s[10:11], s[0:1]
	s_cvt_u32_f32 s28, s2
	s_wait_kmcnt 0x0
	v_mov_b32_e32 v5, s27
	v_cvt_u32_f32_e32 v4, v4
.LBB26_9:                               ; =>This Inner Loop Header: Depth=1
	s_wait_alu 0xfffe
	s_ashr_i32 s35, s34, 31
	s_mov_b32 s2, -1
	s_wait_alu 0xfffe
	s_mul_u64 s[0:1], s[34:35], s[18:19]
                                        ; implicit-def: $sgpr38_sgpr39
	s_wait_alu 0xfffe
	s_mov_b32 s9, s1
	s_wait_alu 0xfffe
	s_cmp_lg_u64 s[8:9], 0
	s_cbranch_scc0 .LBB26_11
; %bb.10:                               ;   in Loop: Header=BB26_9 Depth=1
	s_mul_u64 s[2:3], s[30:31], s[28:29]
	s_mov_b32 s37, s8
	s_wait_alu 0xfffe
	s_mul_hi_u32 s5, s28, s3
	s_mul_i32 s4, s28, s3
	s_mul_hi_u32 s36, s28, s2
	s_mul_hi_u32 s9, s29, s2
	s_wait_alu 0xfffe
	s_add_nc_u64 s[4:5], s[36:37], s[4:5]
	s_mul_i32 s2, s29, s2
	s_mul_hi_u32 s17, s29, s3
	s_wait_alu 0xfffe
	s_add_co_u32 s2, s4, s2
	s_add_co_ci_u32 s2, s5, s9
	s_add_co_ci_u32 s5, s17, 0
	s_mul_i32 s4, s29, s3
	s_mov_b32 s3, s8
	s_mov_b32 s39, s8
	s_wait_alu 0xfffe
	s_add_nc_u64 s[2:3], s[2:3], s[4:5]
	s_wait_alu 0xfffe
	s_add_co_u32 s2, s28, s2
	s_cselect_b32 s4, -1, 0
	s_wait_alu 0xfffe
	s_cmp_lg_u32 s4, 0
	s_add_co_ci_u32 s3, s29, s3
	s_wait_alu 0xfffe
	s_mul_u64 s[4:5], s[30:31], s[2:3]
	s_wait_alu 0xfffe
	s_mul_hi_u32 s37, s2, s5
	s_mul_i32 s36, s2, s5
	s_mul_hi_u32 s38, s2, s4
	s_mul_hi_u32 s9, s3, s4
	s_mul_i32 s4, s3, s4
	s_wait_alu 0xfffe
	s_add_nc_u64 s[36:37], s[38:39], s[36:37]
	s_mul_hi_u32 s17, s3, s5
	s_wait_alu 0xfffe
	s_add_co_u32 s4, s36, s4
	s_add_co_ci_u32 s4, s37, s9
	s_add_co_ci_u32 s37, s17, 0
	s_mul_i32 s36, s3, s5
	s_mov_b32 s5, s8
	s_wait_alu 0xfffe
	s_add_nc_u64 s[4:5], s[4:5], s[36:37]
	s_mov_b32 s37, s8
	s_wait_alu 0xfffe
	s_add_co_u32 s9, s2, s4
	s_cselect_b32 s2, -1, 0
	s_wait_alu 0xfffe
	s_cmp_lg_u32 s2, 0
	s_add_co_ci_u32 s17, s3, s5
	s_ashr_i32 s2, s1, 31
	s_wait_alu 0xfffe
	s_mov_b32 s3, s2
	s_wait_alu 0xfffe
	s_add_nc_u64 s[4:5], s[0:1], s[2:3]
	s_wait_alu 0xfffe
	s_xor_b64 s[4:5], s[4:5], s[2:3]
	s_wait_alu 0xfffe
	s_mul_hi_u32 s39, s4, s17
	s_mul_i32 s38, s4, s17
	s_mul_hi_u32 s36, s4, s9
	s_mul_i32 s21, s5, s9
	s_wait_alu 0xfffe
	s_add_nc_u64 s[36:37], s[36:37], s[38:39]
	s_mul_hi_u32 s9, s5, s9
	s_mul_hi_u32 s1, s5, s17
	s_wait_alu 0xfffe
	s_add_co_u32 s21, s36, s21
	s_add_co_ci_u32 s36, s37, s9
	s_add_co_ci_u32 s39, s1, 0
	s_mul_i32 s38, s5, s17
	s_mov_b32 s37, s8
	s_wait_alu 0xfffe
	s_add_nc_u64 s[36:37], s[36:37], s[38:39]
	s_wait_alu 0xfffe
	s_mul_u64 s[38:39], s[6:7], s[36:37]
	s_add_nc_u64 s[40:41], s[36:37], 1
	s_sub_co_u32 s1, s4, s38
	s_cselect_b32 s4, -1, 0
	s_sub_co_i32 s9, s5, s39
	s_wait_alu 0xfffe
	s_cmp_lg_u32 s4, 0
	s_add_nc_u64 s[42:43], s[36:37], 2
	s_sub_co_ci_u32 s9, s9, s7
	s_sub_co_u32 s17, s1, s6
	s_cselect_b32 s21, -1, 0
	s_delay_alu instid0(SALU_CYCLE_1)
	s_cmp_lg_u32 s21, 0
	s_wait_alu 0xfffe
	s_sub_co_ci_u32 s9, s9, 0
	s_wait_alu 0xfffe
	s_cmp_ge_u32 s9, s7
	s_cselect_b32 s21, -1, 0
	s_cmp_ge_u32 s17, s6
	s_cselect_b32 s17, -1, 0
	s_cmp_eq_u32 s9, s7
	s_wait_alu 0xfffe
	s_cselect_b32 s9, s17, s21
	s_wait_alu 0xfffe
	s_cmp_lg_u32 s9, 0
	s_cselect_b32 s9, s42, s40
	s_cselect_b32 s17, s43, s41
	s_cmp_lg_u32 s4, 0
	s_sub_co_ci_u32 s4, s5, s39
	s_wait_alu 0xfffe
	s_cmp_ge_u32 s4, s7
	s_cselect_b32 s5, -1, 0
	s_cmp_ge_u32 s1, s6
	s_cselect_b32 s1, -1, 0
	s_cmp_eq_u32 s4, s7
	s_wait_alu 0xfffe
	s_cselect_b32 s1, s1, s5
	s_wait_alu 0xfffe
	s_cmp_lg_u32 s1, 0
	s_cselect_b32 s5, s17, s37
	s_cselect_b32 s4, s9, s36
	s_xor_b64 s[2:3], s[2:3], 0
	s_wait_alu 0xfffe
	s_xor_b64 s[4:5], s[4:5], s[2:3]
	s_wait_alu 0xfffe
	s_sub_nc_u64 s[38:39], s[4:5], s[2:3]
	s_mov_b32 s2, 0
.LBB26_11:                              ;   in Loop: Header=BB26_9 Depth=1
	s_wait_alu 0xfffe
	s_and_not1_b32 vcc_lo, exec_lo, s2
	s_wait_alu 0xfffe
	s_cbranch_vccnz .LBB26_13
; %bb.12:                               ;   in Loop: Header=BB26_9 Depth=1
	v_readfirstlane_b32 s1, v4
	s_sub_co_i32 s2, 0, s16
	s_wait_alu 0xfffe
	s_mul_i32 s2, s2, s1
	s_wait_alu 0xfffe
	s_mul_hi_u32 s2, s1, s2
	s_wait_alu 0xfffe
	s_add_co_i32 s1, s1, s2
	s_wait_alu 0xfffe
	s_mul_hi_u32 s1, s0, s1
	s_wait_alu 0xfffe
	s_mul_i32 s2, s1, s16
	s_wait_alu 0xfffe
	s_sub_co_i32 s0, s0, s2
	s_add_co_i32 s2, s1, 1
	s_wait_alu 0xfffe
	s_sub_co_i32 s3, s0, s16
	s_cmp_ge_u32 s0, s16
	s_cselect_b32 s1, s2, s1
	s_wait_alu 0xfffe
	s_cselect_b32 s0, s3, s0
	s_add_co_i32 s2, s1, 1
	s_wait_alu 0xfffe
	s_cmp_ge_u32 s0, s16
	s_cselect_b32 s38, s2, s1
.LBB26_13:                              ;   in Loop: Header=BB26_9 Depth=1
	v_readfirstlane_b32 s9, v0
	s_cmp_lg_u32 s20, s38
	s_mov_b32 s0, -1
                                        ; implicit-def: $sgpr21
                                        ; implicit-def: $vgpr6
                                        ; implicit-def: $vgpr7
                                        ; implicit-def: $sgpr17
                                        ; implicit-def: $sgpr27
	s_cbranch_scc1 .LBB26_16
; %bb.14:                               ;   in Loop: Header=BB26_9 Depth=1
	s_wait_alu 0xfffe
	s_and_not1_b32 vcc_lo, exec_lo, s0
	s_wait_alu 0xfffe
	s_cbranch_vccz .LBB26_19
.LBB26_15:                              ;   in Loop: Header=BB26_9 Depth=1
	s_and_not1_b32 vcc_lo, exec_lo, s21
	s_wait_alu 0xfffe
	s_cbranch_vccnz .LBB26_20
	s_branch .LBB26_23
.LBB26_16:                              ;   in Loop: Header=BB26_9 Depth=1
	s_add_co_i32 s0, s34, s16
	s_mov_b32 s1, s8
	s_wait_alu 0xfffe
	s_lshl_b32 s0, s0, 4
	v_max_num_f32_e64 v6, s26, s26
	s_wait_alu 0xfffe
	s_add_co_i32 s0, s0, s15
	s_mov_b32 s39, s8
	s_wait_alu 0xfffe
	s_lshl_b64 s[0:1], s[0:1], 3
	s_mul_u64 s[40:41], s[38:39], s[22:23]
	s_wait_alu 0xfffe
	s_add_nc_u64 s[0:1], s[10:11], s[0:1]
	s_mov_b32 s27, s20
	s_load_b64 s[36:37], s[0:1], 0x0
	v_readfirstlane_b32 s0, v6
	s_wait_kmcnt 0x0
	v_max_num_f32_e64 v7, s36, s36
	s_delay_alu instid0(VALU_DEP_1) | instskip(SKIP_2) | instid1(SALU_CYCLE_2)
	v_readfirstlane_b32 s1, v7
	s_max_num_f32 s9, s0, s1
	s_wait_alu 0xfffe
	s_sub_f32 s33, s26, s9
	s_sub_f32 s35, s36, s9
	s_wait_alu 0xfffe
	s_delay_alu instid0(SALU_CYCLE_1)
	s_cmp_nlt_f32 s33, 0xc2ce8ed0
	s_cselect_b32 s0, -1, 0
	s_cmp_ngt_f32 s33, 0x42b17218
	s_cselect_b32 s1, -1, 0
	s_cmp_ge_f32 s33, 0xc1a00000
	s_cselect_b32 s2, -1, 0
	s_cmp_nlt_f32 s35, 0xc2ce8ed0
	s_cselect_b32 s3, -1, 0
	s_cmp_ngt_f32 s35, 0x42b17218
	s_cselect_b32 s4, -1, 0
	s_cmp_ge_f32 s35, 0xc1a00000
	s_cselect_b32 s5, -1, 0
	s_add_co_i32 s17, s41, s38
	s_wait_alu 0xfffe
	s_lshr_b32 s17, s17, s13
	s_wait_alu 0xfffe
	s_mul_i32 s21, s17, s14
	s_delay_alu instid0(SALU_CYCLE_1)
	s_cmp_eq_u32 s21, s38
	s_cselect_b32 s21, -1, 0
	s_cmp_lt_u32 s17, s12
	s_cselect_b32 s17, -1, 0
	s_wait_alu 0xfffe
	s_or_b32 s17, s17, s21
	s_mov_b32 s21, -1
	s_wait_alu 0xfffe
	s_and_b32 vcc_lo, exec_lo, s17
	s_mov_b32 s17, s34
	s_wait_alu 0xfffe
	s_cbranch_vccnz .LBB26_18
; %bb.17:                               ;   in Loop: Header=BB26_9 Depth=1
	s_add_co_i32 s17, s34, -1
	s_mov_b32 s21, 0
	s_mov_b32 s27, s38
.LBB26_18:                              ;   in Loop: Header=BB26_9 Depth=1
	v_lshl_add_u32 v6, s34, 10, v0
	s_mul_f32 s36, s35, 0x3fb8aa3b
	s_mul_f32 s38, s33, 0x3fb8aa3b
	s_wait_alu 0xfffe
	s_delay_alu instid0(SALU_CYCLE_1)
	s_xor_b32 s39, s36, 0x80000000
	v_ashrrev_i32_e32 v7, 31, v6
	s_rndne_f32 s40, s36
	s_fmamk_f32 s39, s35, 0x3fb8aa3b, s39
	s_xor_b32 s41, s38, 0x80000000
	s_rndne_f32 s42, s38
	v_lshlrev_b64_e32 v[6:7], 2, v[6:7]
	s_sub_f32 s36, s36, s40
	s_fmamk_f32 s35, s35, 0x32a5705f, s39
	s_fmamk_f32 s39, s33, 0x3fb8aa3b, s41
	s_sub_f32 s38, s38, s42
	s_delay_alu instid0(VALU_DEP_1)
	v_add_co_u32 v6, vcc_lo, s24, v6
	s_wait_alu 0xfffd
	v_add_co_ci_u32_e64 v7, null, s25, v7, vcc_lo
	s_wait_alu 0xfffe
	s_add_f32 s35, s36, s35
	s_fmamk_f32 s33, s33, 0x32a5705f, s39
	s_cvt_i32_f32 s36, s40
	global_load_b32 v6, v[6:7], off
	s_wait_alu 0xfffe
	v_s_exp_f32 s35, s35
	s_add_f32 s33, s38, s33
	s_wait_alu 0xfffe
	s_delay_alu instid0(SALU_CYCLE_2) | instskip(NEXT) | instid1(TRANS32_DEP_2)
	v_s_exp_f32 s33, s33
	v_ldexp_f32 v7, s35, s36
	s_cvt_i32_f32 s35, s42
	s_wait_alu 0xf1fe
	s_delay_alu instid0(TRANS32_DEP_1) | instid1(SALU_CYCLE_2)
	v_ldexp_f32 v8, s33, s35
	s_delay_alu instid0(VALU_DEP_2) | instskip(NEXT) | instid1(VALU_DEP_2)
	v_cndmask_b32_e64 v7, 0, v7, s3
	v_cndmask_b32_e64 v8, 0, v8, s0
	s_delay_alu instid0(VALU_DEP_2) | instskip(NEXT) | instid1(VALU_DEP_2)
	v_cndmask_b32_e64 v7, 0x7f800000, v7, s4
	v_cndmask_b32_e64 v8, 0x7f800000, v8, s1
	;; [unrolled: 3-line block ×3, first 2 shown]
	s_wait_loadcnt 0x0
	s_delay_alu instid0(VALU_DEP_2) | instskip(SKIP_1) | instid1(VALU_DEP_1)
	v_mul_f32_e32 v6, v6, v7
	v_mul_f32_e32 v7, s37, v7
	v_fmac_f32_e32 v7, v5, v8
	s_delay_alu instid0(VALU_DEP_3)
	v_fmac_f32_e32 v6, v3, v8
	s_cbranch_execnz .LBB26_15
.LBB26_19:                              ;   in Loop: Header=BB26_9 Depth=1
	s_wait_loadcnt 0x0
	v_dual_mov_b32 v7, v5 :: v_dual_mov_b32 v6, v3
	s_add_co_i32 s17, s34, -1
	s_mov_b32 s27, s20
	s_mov_b32 s9, s26
	s_cbranch_execz .LBB26_23
.LBB26_20:                              ;   in Loop: Header=BB26_9 Depth=1
	v_mov_b32_e32 v5, v7
	s_wait_loadcnt 0x0
	v_mov_b32_e32 v3, v6
	s_wait_alu 0xfffe
	s_mov_b32 s20, s27
	s_mov_b32 s34, s17
	;; [unrolled: 1-line block ×3, first 2 shown]
	s_branch .LBB26_9
.LBB26_21:
                                        ; implicit-def: $sgpr20_sgpr21
	s_branch .LBB26_2
.LBB26_22:
                                        ; implicit-def: $sgpr10_sgpr11
	s_load_b96 s[12:14], s[0:1], 0x44
	s_branch .LBB26_5
.LBB26_23:
	v_div_scale_f32 v0, null, v7, v7, v6
	s_wait_loadcnt 0x0
	s_delay_alu instid0(VALU_DEP_1) | instskip(NEXT) | instid1(TRANS32_DEP_1)
	v_rcp_f32_e32 v3, v0
	v_fma_f32 v4, -v0, v3, 1.0
	s_delay_alu instid0(VALU_DEP_1) | instskip(SKIP_1) | instid1(VALU_DEP_1)
	v_fmac_f32_e32 v3, v4, v3
	v_div_scale_f32 v4, vcc_lo, v6, v7, v6
	v_mul_f32_e32 v5, v4, v3
	s_delay_alu instid0(VALU_DEP_1) | instskip(NEXT) | instid1(VALU_DEP_1)
	v_fma_f32 v8, -v0, v5, v4
	v_fmac_f32_e32 v5, v8, v3
	s_delay_alu instid0(VALU_DEP_1) | instskip(SKIP_1) | instid1(VALU_DEP_1)
	v_fma_f32 v0, -v0, v5, v4
	s_wait_alu 0xfffd
	v_div_fmas_f32 v0, v0, v3, v5
	s_delay_alu instid0(VALU_DEP_1)
	v_div_fixup_f32 v0, v0, v7, v6
	global_store_b32 v[1:2], v0, off
.LBB26_24:
	s_endpgm
	.section	.rodata,"a",@progbits
	.p2align	6, 0x0
	.amdhsa_kernel _ZL33flash_attn_stream_k_fixup_generalILi64ELi4ELi4EEvPfPK15HIP_vector_typeIfLj2EEiiiiS1_IjLj3EES5_S5_S5_
		.amdhsa_group_segment_fixed_size 0
		.amdhsa_private_segment_fixed_size 0
		.amdhsa_kernarg_size 336
		.amdhsa_user_sgpr_count 2
		.amdhsa_user_sgpr_dispatch_ptr 0
		.amdhsa_user_sgpr_queue_ptr 0
		.amdhsa_user_sgpr_kernarg_segment_ptr 1
		.amdhsa_user_sgpr_dispatch_id 0
		.amdhsa_user_sgpr_private_segment_size 0
		.amdhsa_wavefront_size32 1
		.amdhsa_uses_dynamic_stack 0
		.amdhsa_enable_private_segment 0
		.amdhsa_system_sgpr_workgroup_id_x 1
		.amdhsa_system_sgpr_workgroup_id_y 1
		.amdhsa_system_sgpr_workgroup_id_z 1
		.amdhsa_system_sgpr_workgroup_info 0
		.amdhsa_system_vgpr_workitem_id 0
		.amdhsa_next_free_vgpr 9
		.amdhsa_next_free_sgpr 44
		.amdhsa_reserve_vcc 1
		.amdhsa_float_round_mode_32 0
		.amdhsa_float_round_mode_16_64 0
		.amdhsa_float_denorm_mode_32 3
		.amdhsa_float_denorm_mode_16_64 3
		.amdhsa_fp16_overflow 0
		.amdhsa_workgroup_processor_mode 1
		.amdhsa_memory_ordered 1
		.amdhsa_forward_progress 1
		.amdhsa_inst_pref_size 28
		.amdhsa_round_robin_scheduling 0
		.amdhsa_exception_fp_ieee_invalid_op 0
		.amdhsa_exception_fp_denorm_src 0
		.amdhsa_exception_fp_ieee_div_zero 0
		.amdhsa_exception_fp_ieee_overflow 0
		.amdhsa_exception_fp_ieee_underflow 0
		.amdhsa_exception_fp_ieee_inexact 0
		.amdhsa_exception_int_div_zero 0
	.end_amdhsa_kernel
	.section	.text._ZL33flash_attn_stream_k_fixup_generalILi64ELi4ELi4EEvPfPK15HIP_vector_typeIfLj2EEiiiiS1_IjLj3EES5_S5_S5_,"axG",@progbits,_ZL33flash_attn_stream_k_fixup_generalILi64ELi4ELi4EEvPfPK15HIP_vector_typeIfLj2EEiiiiS1_IjLj3EES5_S5_S5_,comdat
.Lfunc_end26:
	.size	_ZL33flash_attn_stream_k_fixup_generalILi64ELi4ELi4EEvPfPK15HIP_vector_typeIfLj2EEiiiiS1_IjLj3EES5_S5_S5_, .Lfunc_end26-_ZL33flash_attn_stream_k_fixup_generalILi64ELi4ELi4EEvPfPK15HIP_vector_typeIfLj2EEiiiiS1_IjLj3EES5_S5_S5_
                                        ; -- End function
	.set _ZL33flash_attn_stream_k_fixup_generalILi64ELi4ELi4EEvPfPK15HIP_vector_typeIfLj2EEiiiiS1_IjLj3EES5_S5_S5_.num_vgpr, 9
	.set _ZL33flash_attn_stream_k_fixup_generalILi64ELi4ELi4EEvPfPK15HIP_vector_typeIfLj2EEiiiiS1_IjLj3EES5_S5_S5_.num_agpr, 0
	.set _ZL33flash_attn_stream_k_fixup_generalILi64ELi4ELi4EEvPfPK15HIP_vector_typeIfLj2EEiiiiS1_IjLj3EES5_S5_S5_.numbered_sgpr, 44
	.set _ZL33flash_attn_stream_k_fixup_generalILi64ELi4ELi4EEvPfPK15HIP_vector_typeIfLj2EEiiiiS1_IjLj3EES5_S5_S5_.num_named_barrier, 0
	.set _ZL33flash_attn_stream_k_fixup_generalILi64ELi4ELi4EEvPfPK15HIP_vector_typeIfLj2EEiiiiS1_IjLj3EES5_S5_S5_.private_seg_size, 0
	.set _ZL33flash_attn_stream_k_fixup_generalILi64ELi4ELi4EEvPfPK15HIP_vector_typeIfLj2EEiiiiS1_IjLj3EES5_S5_S5_.uses_vcc, 1
	.set _ZL33flash_attn_stream_k_fixup_generalILi64ELi4ELi4EEvPfPK15HIP_vector_typeIfLj2EEiiiiS1_IjLj3EES5_S5_S5_.uses_flat_scratch, 0
	.set _ZL33flash_attn_stream_k_fixup_generalILi64ELi4ELi4EEvPfPK15HIP_vector_typeIfLj2EEiiiiS1_IjLj3EES5_S5_S5_.has_dyn_sized_stack, 0
	.set _ZL33flash_attn_stream_k_fixup_generalILi64ELi4ELi4EEvPfPK15HIP_vector_typeIfLj2EEiiiiS1_IjLj3EES5_S5_S5_.has_recursion, 0
	.set _ZL33flash_attn_stream_k_fixup_generalILi64ELi4ELi4EEvPfPK15HIP_vector_typeIfLj2EEiiiiS1_IjLj3EES5_S5_S5_.has_indirect_call, 0
	.section	.AMDGPU.csdata,"",@progbits
; Kernel info:
; codeLenInByte = 3548
; TotalNumSgprs: 46
; NumVgprs: 9
; ScratchSize: 0
; MemoryBound: 0
; FloatMode: 240
; IeeeMode: 1
; LDSByteSize: 0 bytes/workgroup (compile time only)
; SGPRBlocks: 0
; VGPRBlocks: 1
; NumSGPRsForWavesPerEU: 46
; NumVGPRsForWavesPerEU: 9
; Occupancy: 16
; WaveLimiterHint : 0
; COMPUTE_PGM_RSRC2:SCRATCH_EN: 0
; COMPUTE_PGM_RSRC2:USER_SGPR: 2
; COMPUTE_PGM_RSRC2:TRAP_HANDLER: 0
; COMPUTE_PGM_RSRC2:TGID_X_EN: 1
; COMPUTE_PGM_RSRC2:TGID_Y_EN: 1
; COMPUTE_PGM_RSRC2:TGID_Z_EN: 1
; COMPUTE_PGM_RSRC2:TIDIG_COMP_CNT: 0
	.section	.text._ZL15flash_attn_tileILi64ELi64ELi2ELi4ELb0EEvPKcS1_S1_S1_S1_PKiPfP15HIP_vector_typeIfLj2EEffffjfiS5_IjLj3EEiiiiiiiiiiiliiliiiiil,"axG",@progbits,_ZL15flash_attn_tileILi64ELi64ELi2ELi4ELb0EEvPKcS1_S1_S1_S1_PKiPfP15HIP_vector_typeIfLj2EEffffjfiS5_IjLj3EEiiiiiiiiiiiliiliiiiil,comdat
	.globl	_ZL15flash_attn_tileILi64ELi64ELi2ELi4ELb0EEvPKcS1_S1_S1_S1_PKiPfP15HIP_vector_typeIfLj2EEffffjfiS5_IjLj3EEiiiiiiiiiiiliiliiiiil ; -- Begin function _ZL15flash_attn_tileILi64ELi64ELi2ELi4ELb0EEvPKcS1_S1_S1_S1_PKiPfP15HIP_vector_typeIfLj2EEffffjfiS5_IjLj3EEiiiiiiiiiiiliiliiiiil
	.p2align	8
	.type	_ZL15flash_attn_tileILi64ELi64ELi2ELi4ELb0EEvPKcS1_S1_S1_S1_PKiPfP15HIP_vector_typeIfLj2EEffffjfiS5_IjLj3EEiiiiiiiiiiiliiliiiiil,@function
_ZL15flash_attn_tileILi64ELi64ELi2ELi4ELb0EEvPKcS1_S1_S1_S1_PKiPfP15HIP_vector_typeIfLj2EEffffjfiS5_IjLj3EEiiiiiiiiiiiliiliiiiil: ; @_ZL15flash_attn_tileILi64ELi64ELi2ELi4ELb0EEvPKcS1_S1_S1_S1_PKiPfP15HIP_vector_typeIfLj2EEffffjfiS5_IjLj3EEiiiiiiiiiiiliiliiiiil
; %bb.0:
	s_clause 0x1
	s_load_b128 s[20:23], s[0:1], 0x5c
	s_load_b64 s[28:29], s[0:1], 0x80
	s_lshr_b32 s5, ttmp7, 16
	s_load_b64 s[36:37], s[0:1], 0xb8
	s_mov_b32 s35, 0
	s_mov_b64 s[30:31], 0
	s_wait_kmcnt 0x0
	s_ashr_i32 s2, s23, 31
	s_delay_alu instid0(SALU_CYCLE_1) | instskip(NEXT) | instid1(SALU_CYCLE_1)
	s_lshr_b32 s2, s2, 30
	s_add_co_i32 s2, s23, s2
	s_delay_alu instid0(SALU_CYCLE_1) | instskip(NEXT) | instid1(SALU_CYCLE_1)
	s_ashr_i32 s2, s2, 2
	s_cvt_f32_u32 s3, s2
	s_sub_co_i32 s4, 0, s2
	s_delay_alu instid0(SALU_CYCLE_2) | instskip(NEXT) | instid1(TRANS32_DEP_1)
	v_rcp_iflag_f32_e32 v1, s3
	v_readfirstlane_b32 s3, v1
	s_mul_f32 s3, s3, 0x4f7ffffe
	s_wait_alu 0xfffe
	s_delay_alu instid0(SALU_CYCLE_2) | instskip(SKIP_1) | instid1(SALU_CYCLE_2)
	s_cvt_u32_f32 s3, s3
	s_wait_alu 0xfffe
	s_mul_i32 s4, s4, s3
	s_delay_alu instid0(SALU_CYCLE_1) | instskip(NEXT) | instid1(SALU_CYCLE_1)
	s_mul_hi_u32 s4, s3, s4
	s_add_co_i32 s3, s3, s4
	s_wait_alu 0xfffe
	s_mul_hi_u32 s3, s5, s3
	s_wait_alu 0xfffe
	s_mul_i32 s4, s3, s2
	s_add_co_i32 s6, s3, 1
	s_sub_co_i32 s4, s5, s4
	s_delay_alu instid0(SALU_CYCLE_1)
	s_sub_co_i32 s7, s4, s2
	s_cmp_ge_u32 s4, s2
	s_cselect_b32 s3, s6, s3
	s_cselect_b32 s4, s7, s4
	s_wait_alu 0xfffe
	s_add_co_i32 s6, s3, 1
	s_cmp_ge_u32 s4, s2
	s_cselect_b32 s2, s6, s3
	s_abs_i32 s3, s29
	s_abs_i32 s8, s23
	s_wait_alu 0xfffe
	s_cvt_f32_u32 s4, s3
	s_sub_co_i32 s6, 0, s3
	s_lshl_b32 s5, s5, 2
	s_mul_i32 s7, s2, s23
	v_rcp_iflag_f32_e32 v1, s4
	s_sub_co_i32 s33, s5, s7
	s_xor_b32 s5, s23, s29
	s_wait_alu 0xfffe
	s_ashr_i32 s24, s5, 31
	s_delay_alu instid0(TRANS32_DEP_1) | instskip(SKIP_2) | instid1(SALU_CYCLE_2)
	v_readfirstlane_b32 s4, v1
	s_mul_f32 s4, s4, 0x4f7ffffe
	s_wait_alu 0xfffe
	s_cvt_u32_f32 s4, s4
	s_wait_alu 0xfffe
	s_delay_alu instid0(SALU_CYCLE_2) | instskip(NEXT) | instid1(SALU_CYCLE_1)
	s_mul_i32 s6, s6, s4
	s_mul_hi_u32 s6, s4, s6
	s_delay_alu instid0(SALU_CYCLE_1) | instskip(SKIP_4) | instid1(SALU_CYCLE_1)
	s_add_co_i32 s4, s4, s6
	s_wait_alu 0xfffe
	s_mul_hi_u32 s4, s8, s4
	s_wait_alu 0xfffe
	s_mul_i32 s6, s4, s3
	s_sub_co_i32 s5, s8, s6
	s_add_co_i32 s6, s4, 1
	s_wait_alu 0xfffe
	s_sub_co_i32 s7, s5, s3
	s_cmp_ge_u32 s5, s3
	s_cselect_b32 s4, s6, s4
	s_cselect_b32 s5, s7, s5
	s_wait_alu 0xfffe
	s_add_co_i32 s6, s4, 1
	s_cmp_ge_u32 s5, s3
	s_cselect_b32 s3, s6, s4
	s_load_b512 s[4:19], s[0:1], 0x0
	s_xor_b32 s3, s3, s24
	s_wait_alu 0xfffe
	s_sub_co_i32 s38, s3, s24
	s_delay_alu instid0(SALU_CYCLE_1) | instskip(NEXT) | instid1(SALU_CYCLE_1)
	s_abs_i32 s29, s38
	s_cvt_f32_u32 s3, s29
	s_wait_alu 0xfffe
	s_delay_alu instid0(SALU_CYCLE_2) | instskip(SKIP_2) | instid1(TRANS32_DEP_1)
	v_rcp_iflag_f32_e32 v1, s3
	s_wait_kmcnt 0x0
	s_cmp_eq_u64 s[10:11], 0
	v_readfirstlane_b32 s27, v1
	s_cbranch_scc1 .LBB27_2
; %bb.1:
	s_abs_i32 s3, s36
	s_wait_alu 0xfffe
	s_cvt_f32_u32 s24, s3
	s_delay_alu instid0(SALU_CYCLE_3) | instskip(NEXT) | instid1(TRANS32_DEP_1)
	v_rcp_iflag_f32_e32 v1, s24
	v_readfirstlane_b32 s24, v1
	s_mul_f32 s24, s24, 0x4f7ffffe
	s_wait_alu 0xfffe
	s_delay_alu instid0(SALU_CYCLE_2) | instskip(SKIP_2) | instid1(SALU_CYCLE_1)
	s_cvt_u32_f32 s26, s24
	s_sub_co_i32 s24, 0, s3
	s_wait_alu 0xfffe
	s_mul_i32 s24, s24, s26
	s_wait_alu 0xfffe
	s_mul_hi_u32 s30, s26, s24
	s_load_b64 s[24:25], s[0:1], 0xc8
	s_add_co_i32 s26, s26, s30
	s_delay_alu instid0(SALU_CYCLE_1) | instskip(NEXT) | instid1(SALU_CYCLE_1)
	s_mul_hi_u32 s26, s2, s26
	s_mul_i32 s26, s26, s3
	s_delay_alu instid0(SALU_CYCLE_1) | instskip(NEXT) | instid1(SALU_CYCLE_1)
	s_sub_co_i32 s26, s2, s26
	s_sub_co_i32 s30, s26, s3
	s_cmp_ge_u32 s26, s3
	s_cselect_b32 s26, s30, s26
	s_delay_alu instid0(SALU_CYCLE_1) | instskip(SKIP_2) | instid1(SALU_CYCLE_1)
	s_sub_co_i32 s30, s26, s3
	s_cmp_ge_u32 s26, s3
	s_cselect_b32 s30, s30, s26
	s_ashr_i32 s31, s30, 31
	s_wait_kmcnt 0x0
	s_mul_u64 s[24:25], s[24:25], s[30:31]
	s_wait_alu 0xfffe
	s_add_nc_u64 s[30:31], s[10:11], s[24:25]
.LBB27_2:
	v_lshrrev_b32_e32 v1, 10, v0
	s_load_b96 s[24:26], s[0:1], 0x70
	v_bfe_u32 v4, v0, 10, 10
	s_delay_alu instid0(VALU_DEP_2) | instskip(NEXT) | instid1(VALU_DEP_2)
	v_bfe_u32 v1, v1, 1, 9
	v_lshlrev_b32_e32 v3, 1, v4
	s_delay_alu instid0(VALU_DEP_2) | instskip(NEXT) | instid1(VALU_DEP_2)
	v_lshl_add_u32 v1, ttmp9, 1, v1
	v_or_b32_e32 v13, 1, v3
	v_and_b32_e32 v43, 2, v3
	s_delay_alu instid0(VALU_DEP_3) | instskip(NEXT) | instid1(VALU_DEP_3)
	v_mul_hi_u32 v2, s20, v1
	v_and_b32_e32 v11, 3, v13
	s_wait_kmcnt 0x0
	s_mul_i32 s10, s33, s25
	s_mov_b32 s20, s25
	s_delay_alu instid0(VALU_DEP_2) | instskip(NEXT) | instid1(VALU_DEP_1)
	v_add_nc_u32_e32 v2, v1, v2
	v_lshrrev_b32_e32 v2, s21, v2
	s_ashr_i32 s21, s25, 31
	s_ashr_i32 s25, s24, 31
	s_wait_alu 0xfffe
	s_lshr_b32 s3, s21, 2
	s_lshr_b64 s[40:41], s[24:25], 2
	v_mul_lo_u32 v2, v2, s22
	s_lshr_b32 s11, s25, 2
	s_wait_alu 0xfffe
	v_mul_lo_u32 v12, s3, v43
	s_delay_alu instid0(VALU_DEP_2) | instskip(NEXT) | instid1(VALU_DEP_1)
	v_sub_nc_u32_e32 v2, v1, v2
	v_mad_co_u64_u32 v[5:6], null, s40, v2, 0
	s_lshr_b64 s[40:41], s[20:21], 2
	s_mul_i32 s20, s2, s26
	s_wait_alu 0xfffe
	v_mad_co_u64_u32 v[9:10], null, s40, v43, 0
	s_ashr_i32 s21, s20, 31
	s_wait_alu 0xfffe
	s_add_nc_u64 s[4:5], s[4:5], s[20:21]
	v_mov_b32_e32 v3, v6
	v_or_b32_e32 v10, v10, v12
	s_delay_alu instid0(VALU_DEP_2)
	v_mad_co_u64_u32 v[6:7], null, s11, v2, v[3:4]
	v_mad_co_u64_u32 v[7:8], null, s40, v11, 0
	v_and_b32_e32 v0, 0x3ff, v0
	s_ashr_i32 s11, s10, 31
	v_lshlrev_b64_e32 v[9:10], 2, v[9:10]
	s_wait_alu 0xfffe
	s_add_nc_u64 s[4:5], s[4:5], s[10:11]
	s_delay_alu instid0(VALU_DEP_4) | instskip(SKIP_3) | instid1(VALU_DEP_2)
	v_lshlrev_b64_e32 v[5:6], 2, v[5:6]
	s_cmp_eq_u64 s[14:15], 0
	v_mov_b32_e32 v3, v8
	s_wait_alu 0xfffe
	v_add_co_u32 v5, vcc_lo, s4, v5
	s_delay_alu instid0(VALU_DEP_2)
	v_mad_co_u64_u32 v[11:12], null, s3, v11, v[3:4]
	v_lshlrev_b32_e32 v3, 3, v0
	v_add_co_ci_u32_e64 v6, null, s5, v6, vcc_lo
	s_load_b32 s3, s[0:1], 0x40
	v_add_co_u32 v3, vcc_lo, v5, v3
	v_mov_b32_e32 v8, v11
	s_wait_alu 0xfffd
	v_add_co_ci_u32_e64 v11, null, 0, v6, vcc_lo
	s_delay_alu instid0(VALU_DEP_2) | instskip(SKIP_2) | instid1(VALU_DEP_3)
	v_lshlrev_b64_e32 v[5:6], 2, v[7:8]
	v_add_co_u32 v7, vcc_lo, v3, v9
	s_wait_alu 0xfffd
	v_add_co_ci_u32_e64 v8, null, v11, v10, vcc_lo
	v_lshl_or_b32 v9, v0, 2, 0x5000
	s_delay_alu instid0(VALU_DEP_4)
	v_add_co_u32 v5, vcc_lo, v3, v5
	s_wait_alu 0xfffd
	v_add_co_ci_u32_e64 v6, null, v11, v6, vcc_lo
	s_clause 0x1
	global_load_b64 v[7:8], v[7:8], off
	global_load_b64 v[5:6], v[5:6], off
	v_lshlrev_b32_e32 v3, 8, v4
	s_delay_alu instid0(VALU_DEP_1)
	v_add_nc_u32_e32 v10, v9, v3
	v_lshl_add_u32 v9, v13, 7, v9
	s_wait_loadcnt 0x1
	s_wait_kmcnt 0x0
	v_fma_mixlo_f16 v8, s3, v8, 0
	v_fma_mixlo_f16 v7, s3, v7, 0
	s_wait_loadcnt 0x0
	v_fma_mixlo_f16 v6, s3, v6, 0
	v_fma_mixlo_f16 v5, s3, v5, 0
	v_lshlrev_b32_e32 v8, 16, v8
	v_and_b32_e32 v7, 0xffff, v7
	s_delay_alu instid0(VALU_DEP_4) | instskip(NEXT) | instid1(VALU_DEP_4)
	v_lshlrev_b32_e32 v6, 16, v6
	v_and_b32_e32 v5, 0xffff, v5
	s_delay_alu instid0(VALU_DEP_3) | instskip(NEXT) | instid1(VALU_DEP_2)
	v_or_b32_e32 v7, v8, v7
	v_or_b32_e32 v5, v6, v5
	ds_store_b32 v10, v7
	ds_store_b32 v9, v5
	s_wait_dscnt 0x0
	s_barrier_signal -1
	s_barrier_wait -1
	global_inv scope:SCOPE_SE
	s_cbranch_scc1 .LBB27_4
; %bb.3:
	s_load_b32 s3, s[0:1], 0xd0
	s_mov_b32 s5, 0
	s_wait_kmcnt 0x0
	s_mul_i32 s3, s3, s2
	s_wait_alu 0xfffe
	s_add_co_i32 s4, s3, ttmp9
	s_wait_alu 0xfffe
	s_lshl_b64 s[4:5], s[4:5], 2
	s_wait_alu 0xfffe
	s_add_nc_u64 s[4:5], s[14:15], s[4:5]
	s_load_b32 s28, s[4:5], 0x0
.LBB27_4:
	s_and_b32 s4, ttmp7, 0xffff
	v_mbcnt_lo_u32_b32 v44, -1, 0
	s_wait_alu 0xfffe
	s_lshl_b32 s10, s4, 7
	s_wait_kmcnt 0x0
	s_wait_alu 0xfffe
	s_cmp_lt_i32 s10, s28
	s_cbranch_scc1 .LBB27_7
; %bb.5:
	v_mbcnt_lo_u32_b32 v5, -1, 0
	v_mov_b32_e32 v46, 32
	s_delay_alu instid0(VALU_DEP_2)
	v_xor_b32_e32 v53, 16, v5
	v_xor_b32_e32 v52, 8, v5
	v_xor_b32_e32 v51, 4, v5
	v_xor_b32_e32 v50, 2, v5
	v_xor_b32_e32 v48, 1, v5
	s_mov_b32 s3, 0
	s_cbranch_execz .LBB27_8
; %bb.6:
	v_dual_mov_b32 v91, 0 :: v_dual_mov_b32 v64, 0
	v_dual_mov_b32 v36, 0xfeffffff :: v_dual_mov_b32 v35, 0xfeffffff
	;; [unrolled: 1-line block ×3, first 2 shown]
	s_branch .LBB27_11
.LBB27_7:
                                        ; implicit-def: $vgpr5
                                        ; implicit-def: $vgpr46
                                        ; implicit-def: $vgpr53
                                        ; implicit-def: $vgpr52
                                        ; implicit-def: $vgpr51
                                        ; implicit-def: $vgpr50
                                        ; implicit-def: $vgpr48
	s_mov_b32 s3, 0
.LBB27_8:
	s_mul_f32 s5, s27, 0x4f7ffffe
	s_clause 0x1
	s_load_b128 s[24:27], s[0:1], 0x98
	s_load_b64 s[20:21], s[0:1], 0x8c
	s_sub_co_i32 s11, 0, s29
	s_abs_i32 s34, s33
	s_cvt_u32_f32 s5, s5
	s_mov_b32 s15, s35
	s_ashr_i32 s36, s33, 31
	s_ashr_i32 s40, s38, 31
	s_wait_alu 0xfffe
	s_mul_i32 s11, s11, s5
	s_load_b64 s[38:39], s[0:1], 0xa8
	s_mul_hi_u32 s11, s5, s11
	v_lshrrev_b32_e32 v5, 3, v0
	s_wait_alu 0xfffe
	s_add_co_i32 s14, s5, s11
	s_ashr_i32 s5, s37, 1
	s_mul_u64 s[14:15], s[34:35], s[14:15]
	s_xor_b32 s11, s36, s40
	s_mul_i32 s35, s15, s29
	s_add_co_i32 s36, s15, 1
	v_lshl_add_u32 v20, v4, 2, v5
	v_dual_mov_b32 v90, 0 :: v_dual_lshlrev_b32 v45, 2, v0
	s_wait_kmcnt 0x0
	s_ashr_i32 s14, s26, 2
	s_sub_co_i32 s26, s34, s35
	s_ashr_i32 s20, s20, 2
	s_sub_co_i32 s34, s26, s29
	s_cmp_ge_u32 s26, s29
	s_wait_alu 0xfffe
	v_mul_lo_u32 v5, s20, v20
	s_cselect_b32 s15, s36, s15
	s_cselect_b32 s26, s34, s26
	s_add_co_i32 s34, s15, 1
	s_cmp_ge_u32 s26, s29
	s_mul_u64 s[24:25], s[24:25], s[2:3]
	s_cselect_b32 s15, s34, s15
	v_mul_lo_u32 v19, s14, v20
	s_xor_b32 s15, s15, s11
	s_wait_alu 0xfffe
	s_add_nc_u64 s[6:7], s[6:7], s[24:25]
	s_sub_co_i32 s11, s15, s11
	s_lshl_b32 s15, s20, 4
	s_wait_alu 0xfffe
	s_mul_i32 s24, s11, s21
	v_dual_mov_b32 v46, 32 :: v_dual_add_nc_u32 v7, s15, v5
	s_wait_alu 0xfffe
	s_ashr_i32 s25, s24, 31
	v_dual_mov_b32 v35, 0xfeffffff :: v_dual_and_b32 v38, 28, v45
	s_wait_alu 0xfffe
	s_add_nc_u64 s[6:7], s[6:7], s[24:25]
	s_mul_u64 s[24:25], s[38:39], s[2:3]
	s_lshl_b32 s3, s14, 4
	v_add_nc_u32_e32 v9, s15, v7
	s_wait_alu 0xfffe
	v_dual_mov_b32 v64, 0 :: v_dual_add_nc_u32 v21, s3, v19
	v_dual_mov_b32 v91, 0 :: v_dual_lshlrev_b32 v22, 2, v38
	s_delay_alu instid0(VALU_DEP_3) | instskip(NEXT) | instid1(VALU_DEP_3)
	v_add_nc_u32_e32 v11, s15, v9
	v_add_nc_u32_e32 v23, s3, v21
	v_ashrrev_i32_e32 v6, 31, v5
	s_delay_alu instid0(VALU_DEP_4)
	v_mad_u32_u24 v47, 0x90, v20, v22
	v_ashrrev_i32_e32 v8, 31, v7
	v_add_nc_u32_e32 v13, s15, v11
	v_add_nc_u32_e32 v27, s3, v23
	v_ashrrev_i32_e32 v10, 31, v9
	v_ashrrev_i32_e32 v12, 31, v11
	v_lshl_or_b32 v62, v20, 7, v22
	v_add_nc_u32_e32 v15, s15, v13
	v_add_nc_u32_e32 v29, s3, v27
	v_ashrrev_i32_e32 v14, 31, v13
	v_ashrrev_i32_e32 v20, 31, v19
	v_ashrrev_i32_e32 v22, 31, v21
	v_add_nc_u32_e32 v17, s15, v15
	v_add_nc_u32_e32 v31, s3, v29
	v_ashrrev_i32_e32 v16, 31, v15
	v_ashrrev_i32_e32 v24, 31, v23
	v_ashrrev_i32_e32 v28, 31, v27
	;; [unrolled: 5-line block ×3, first 2 shown]
	v_ashrrev_i32_e32 v26, 31, v25
	v_add_nc_u32_e32 v36, s3, v33
	v_ashrrev_i32_e32 v34, 31, v33
	v_lshl_add_u32 v63, v4, 9, 0x4800
	v_add_nc_u32_e32 v60, 0x5000, v3
	v_mad_co_u64_u32 v[2:3], null, v2, s5, v[0:1]
	v_ashrrev_i32_e32 v37, 31, v36
	s_mul_i32 s26, s11, s27
	v_lshlrev_b64_e32 v[3:4], 2, v[5:6]
	v_lshlrev_b64_e32 v[5:6], 2, v[7:8]
	;; [unrolled: 1-line block ×16, first 2 shown]
	v_add_nc_u32_e32 v49, 0x900, v47
	v_dual_mov_b32 v89, 0 :: v_dual_add_nc_u32 v54, 0x1200, v47
	v_add_nc_u32_e32 v55, 0x1b00, v47
	v_add_nc_u32_e32 v56, 0x2400, v47
	;; [unrolled: 1-line block ×5, first 2 shown]
	v_mul_u32_u24_e32 v61, 0x90, v0
	v_add_nc_u32_e32 v65, 0x800, v62
	v_add_nc_u32_e32 v66, 0x1000, v62
	;; [unrolled: 1-line block ×7, first 2 shown]
	v_lshlrev_b32_e32 v72, 2, v38
	v_xor_b32_e32 v53, 16, v44
	v_xor_b32_e32 v52, 8, v44
	;; [unrolled: 1-line block ×5, first 2 shown]
	v_add_nc_u32_e32 v73, v63, v45
	v_add_nc_u32_e32 v74, 0x400, v45
	;; [unrolled: 1-line block ×16, first 2 shown]
	v_mov_b32_e32 v36, 0xfeffffff
	s_add_nc_u64 s[8:9], s[8:9], s[24:25]
	s_ashr_i32 s27, s26, 31
	s_ashr_i32 s21, s20, 31
	s_add_nc_u64 s[8:9], s[8:9], s[26:27]
	s_ashr_i32 s15, s14, 31
	s_add_nc_u64 s[24:25], s[0:1], 0xd0
.LBB27_9:                               ; =>This Inner Loop Header: Depth=1
	s_ashr_i32 s11, s10, 31
	v_mov_b32_e32 v39, v35
	s_wait_alu 0xfffe
	s_mul_u64 s[26:27], s[10:11], s[20:21]
	v_dual_mov_b32 v38, v89 :: v_dual_mov_b32 v37, v36
	s_wait_alu 0xfffe
	s_lshl_b64 s[26:27], s[26:27], 2
	v_mov_b32_e32 v89, 0
	s_wait_alu 0xfffe
	s_add_nc_u64 s[26:27], s[6:7], s[26:27]
	v_dual_mov_b32 v41, 0 :: v_dual_mov_b32 v42, 0
	s_wait_alu 0xfffe
	v_add_co_u32 v35, vcc_lo, s26, v3
	s_wait_alu 0xfffd
	v_add_co_ci_u32_e64 v36, null, s27, v4, vcc_lo
	v_mov_b32_e32 v40, 0
	s_delay_alu instid0(VALU_DEP_3) | instskip(SKIP_1) | instid1(VALU_DEP_3)
	v_add_co_u32 v35, vcc_lo, v35, v72
	s_wait_alu 0xfffd
	v_add_co_ci_u32_e64 v36, null, 0, v36, vcc_lo
	global_load_b128 v[92:95], v[35:36], off
	v_add_co_u32 v35, vcc_lo, s26, v5
	s_wait_alu 0xfffd
	v_add_co_ci_u32_e64 v36, null, s27, v6, vcc_lo
	s_delay_alu instid0(VALU_DEP_2) | instskip(SKIP_1) | instid1(VALU_DEP_2)
	v_add_co_u32 v35, vcc_lo, v35, v72
	s_wait_alu 0xfffd
	v_add_co_ci_u32_e64 v36, null, 0, v36, vcc_lo
	s_wait_loadcnt 0x0
	ds_store_b128 v47, v[92:95]
	global_load_b128 v[92:95], v[35:36], off
	v_add_co_u32 v35, vcc_lo, s26, v7
	s_wait_alu 0xfffd
	v_add_co_ci_u32_e64 v36, null, s27, v8, vcc_lo
	s_delay_alu instid0(VALU_DEP_2) | instskip(SKIP_1) | instid1(VALU_DEP_2)
	v_add_co_u32 v35, vcc_lo, v35, v72
	s_wait_alu 0xfffd
	v_add_co_ci_u32_e64 v36, null, 0, v36, vcc_lo
	s_wait_loadcnt 0x0
	ds_store_b128 v49, v[92:95]
	;; [unrolled: 10-line block ×6, first 2 shown]
	global_load_b128 v[92:95], v[35:36], off
	v_add_co_u32 v35, vcc_lo, s26, v17
	s_wait_alu 0xfffd
	v_add_co_ci_u32_e64 v36, null, s27, v18, vcc_lo
	s_mul_u64 s[26:27], s[10:11], s[14:15]
	v_add_co_u32 v35, vcc_lo, v35, v72
	s_wait_alu 0xfffd
	v_add_co_ci_u32_e64 v36, null, 0, v36, vcc_lo
	v_cmp_gt_i32_e32 vcc_lo, 32, v53
	s_wait_alu 0xfffe
	s_lshl_b64 s[26:27], s[26:27], 2
	s_wait_alu 0xfffe
	s_add_nc_u64 s[26:27], s[8:9], s[26:27]
	s_wait_loadcnt 0x0
	ds_store_b128 v58, v[92:95]
	global_load_b128 v[92:95], v[35:36], off
	v_dual_mov_b32 v35, 0 :: v_dual_mov_b32 v36, 0
	s_wait_loadcnt 0x0
	ds_store_b128 v59, v[92:95]
	s_wait_dscnt 0x0
	s_barrier_signal -1
	s_barrier_wait -1
	global_inv scope:SCOPE_SE
	ds_load_b128 v[92:95], v61
	ds_load_b128 v[96:99], v61 offset:4608
	ds_load_b128 v[100:103], v61 offset:9216
	;; [unrolled: 1-line block ×3, first 2 shown]
	ds_load_b128 v[108:111], v60
	ds_load_b128 v[112:115], v60 offset:128
	s_wait_dscnt 0x1
	;;#ASMSTART
	v_dot2_f32_f16 v35, v92, v108, v35
	;;#ASMEND
	;;#ASMSTART
	v_dot2_f32_f16 v35, v93, v109, v35
	;;#ASMEND
	;; [unrolled: 3-line block ×4, first 2 shown]
	s_wait_dscnt 0x0
	;;#ASMSTART
	v_dot2_f32_f16 v36, v92, v112, v36
	;;#ASMEND
	;;#ASMSTART
	v_dot2_f32_f16 v36, v93, v113, v36
	;;#ASMEND
	;; [unrolled: 3-line block ×4, first 2 shown]
	v_mov_b32_e32 v92, 0
	;;#ASMSTART
	v_dot2_f32_f16 v89, v96, v108, v89
	;;#ASMEND
	;;#ASMSTART
	v_dot2_f32_f16 v89, v97, v109, v89
	;;#ASMEND
	;; [unrolled: 3-line block ×15, first 2 shown]
	v_mov_b32_e32 v93, 0
	;;#ASMSTART
	v_dot2_f32_f16 v41, v103, v115, v41
	;;#ASMEND
	;;#ASMSTART
	v_dot2_f32_f16 v93, v104, v108, v93
	;;#ASMEND
	;; [unrolled: 3-line block ×9, first 2 shown]
	ds_load_b128 v[94:97], v61 offset:16
	ds_load_b128 v[98:101], v61 offset:4624
	;; [unrolled: 1-line block ×6, first 2 shown]
	s_wait_dscnt 0x1
	;;#ASMSTART
	v_dot2_f32_f16 v35, v94, v110, v35
	;;#ASMEND
	;;#ASMSTART
	v_dot2_f32_f16 v35, v95, v111, v35
	;;#ASMEND
	;; [unrolled: 3-line block ×4, first 2 shown]
	s_wait_dscnt 0x0
	;;#ASMSTART
	v_dot2_f32_f16 v36, v94, v114, v36
	;;#ASMEND
	;;#ASMSTART
	v_dot2_f32_f16 v36, v95, v115, v36
	;;#ASMEND
	;; [unrolled: 3-line block ×28, first 2 shown]
	ds_load_b128 v[94:97], v61 offset:32
	ds_load_b128 v[98:101], v61 offset:4640
	;; [unrolled: 1-line block ×6, first 2 shown]
	s_wait_dscnt 0x1
	;;#ASMSTART
	v_dot2_f32_f16 v35, v94, v110, v35
	;;#ASMEND
	;;#ASMSTART
	v_dot2_f32_f16 v35, v95, v111, v35
	;;#ASMEND
	;; [unrolled: 3-line block ×4, first 2 shown]
	s_wait_dscnt 0x0
	;;#ASMSTART
	v_dot2_f32_f16 v36, v94, v114, v36
	;;#ASMEND
	;;#ASMSTART
	v_dot2_f32_f16 v36, v95, v115, v36
	;;#ASMEND
	;; [unrolled: 3-line block ×28, first 2 shown]
	ds_load_b128 v[94:97], v61 offset:48
	ds_load_b128 v[98:101], v61 offset:4656
	;; [unrolled: 1-line block ×6, first 2 shown]
	s_wait_dscnt 0x1
	;;#ASMSTART
	v_dot2_f32_f16 v35, v94, v110, v35
	;;#ASMEND
	;;#ASMSTART
	v_dot2_f32_f16 v35, v95, v111, v35
	;;#ASMEND
	;; [unrolled: 3-line block ×4, first 2 shown]
	s_wait_dscnt 0x0
	;;#ASMSTART
	v_dot2_f32_f16 v36, v94, v114, v36
	;;#ASMEND
	;;#ASMSTART
	v_dot2_f32_f16 v36, v95, v115, v36
	;;#ASMEND
	;;#ASMSTART
	v_dot2_f32_f16 v36, v96, v116, v36
	;;#ASMEND
	;;#ASMSTART
	v_dot2_f32_f16 v36, v97, v117, v36
	;;#ASMEND
	;;#ASMSTART
	v_dot2_f32_f16 v89, v98, v110, v89
	;;#ASMEND
	;;#ASMSTART
	v_dot2_f32_f16 v89, v99, v111, v89
	;;#ASMEND
	;;#ASMSTART
	v_dot2_f32_f16 v89, v100, v112, v89
	;;#ASMEND
	;;#ASMSTART
	v_dot2_f32_f16 v89, v101, v113, v89
	;;#ASMEND
	;;#ASMSTART
	v_dot2_f32_f16 v40, v98, v114, v40
	;;#ASMEND
	;;#ASMSTART
	v_dot2_f32_f16 v40, v99, v115, v40
	;;#ASMEND
	;;#ASMSTART
	v_dot2_f32_f16 v40, v100, v116, v40
	;;#ASMEND
	;;#ASMSTART
	v_dot2_f32_f16 v40, v101, v117, v40
	;;#ASMEND
	;;#ASMSTART
	v_dot2_f32_f16 v92, v102, v110, v92
	;;#ASMEND
	;;#ASMSTART
	v_dot2_f32_f16 v92, v103, v111, v92
	;;#ASMEND
	;;#ASMSTART
	v_dot2_f32_f16 v92, v104, v112, v92
	;;#ASMEND
	;;#ASMSTART
	v_dot2_f32_f16 v92, v105, v113, v92
	;;#ASMEND
	;;#ASMSTART
	v_dot2_f32_f16 v41, v102, v114, v41
	;;#ASMEND
	;;#ASMSTART
	v_dot2_f32_f16 v41, v103, v115, v41
	;;#ASMEND
	;;#ASMSTART
	v_dot2_f32_f16 v41, v104, v116, v41
	;;#ASMEND
	;;#ASMSTART
	v_dot2_f32_f16 v41, v105, v117, v41
	;;#ASMEND
	;;#ASMSTART
	v_dot2_f32_f16 v93, v106, v110, v93
	;;#ASMEND
	;;#ASMSTART
	v_dot2_f32_f16 v93, v107, v111, v93
	;;#ASMEND
	;;#ASMSTART
	v_dot2_f32_f16 v93, v108, v112, v93
	;;#ASMEND
	;;#ASMSTART
	v_dot2_f32_f16 v93, v109, v113, v93
	;;#ASMEND
	;;#ASMSTART
	v_dot2_f32_f16 v42, v106, v114, v42
	;;#ASMEND
	;;#ASMSTART
	v_dot2_f32_f16 v42, v107, v115, v42
	;;#ASMEND
	;;#ASMSTART
	v_dot2_f32_f16 v42, v108, v116, v42
	;;#ASMEND
	;;#ASMSTART
	v_dot2_f32_f16 v42, v109, v117, v42
	;;#ASMEND
	ds_load_b128 v[94:97], v61 offset:64
	ds_load_b128 v[98:101], v61 offset:4672
	;; [unrolled: 1-line block ×6, first 2 shown]
	s_wait_dscnt 0x1
	;;#ASMSTART
	v_dot2_f32_f16 v35, v94, v110, v35
	;;#ASMEND
	;;#ASMSTART
	v_dot2_f32_f16 v35, v95, v111, v35
	;;#ASMEND
	;; [unrolled: 3-line block ×4, first 2 shown]
	s_wait_dscnt 0x0
	;;#ASMSTART
	v_dot2_f32_f16 v36, v94, v114, v36
	;;#ASMEND
	;;#ASMSTART
	v_dot2_f32_f16 v36, v95, v115, v36
	;;#ASMEND
	;; [unrolled: 3-line block ×28, first 2 shown]
	ds_load_b128 v[94:97], v61 offset:80
	ds_load_b128 v[98:101], v61 offset:4688
	;; [unrolled: 1-line block ×6, first 2 shown]
	s_wait_dscnt 0x1
	;;#ASMSTART
	v_dot2_f32_f16 v35, v94, v110, v35
	;;#ASMEND
	;;#ASMSTART
	v_dot2_f32_f16 v35, v95, v111, v35
	;;#ASMEND
	;; [unrolled: 3-line block ×4, first 2 shown]
	s_wait_dscnt 0x0
	;;#ASMSTART
	v_dot2_f32_f16 v36, v94, v114, v36
	;;#ASMEND
	;;#ASMSTART
	v_dot2_f32_f16 v36, v95, v115, v36
	;;#ASMEND
	;; [unrolled: 3-line block ×28, first 2 shown]
	ds_load_b128 v[94:97], v61 offset:96
	ds_load_b128 v[98:101], v61 offset:4704
	;; [unrolled: 1-line block ×6, first 2 shown]
	s_wait_dscnt 0x1
	;;#ASMSTART
	v_dot2_f32_f16 v35, v94, v110, v35
	;;#ASMEND
	;;#ASMSTART
	v_dot2_f32_f16 v35, v95, v111, v35
	;;#ASMEND
	;; [unrolled: 3-line block ×4, first 2 shown]
	s_wait_dscnt 0x0
	;;#ASMSTART
	v_dot2_f32_f16 v36, v94, v114, v36
	;;#ASMEND
	;;#ASMSTART
	v_dot2_f32_f16 v36, v95, v115, v36
	;;#ASMEND
	;; [unrolled: 3-line block ×28, first 2 shown]
	ds_load_b128 v[94:97], v61 offset:112
	ds_load_b128 v[98:101], v61 offset:4720
	;; [unrolled: 1-line block ×6, first 2 shown]
	s_wait_dscnt 0x1
	;;#ASMSTART
	v_dot2_f32_f16 v35, v94, v110, v35
	;;#ASMEND
	;;#ASMSTART
	v_dot2_f32_f16 v35, v95, v111, v35
	;;#ASMEND
	;; [unrolled: 3-line block ×4, first 2 shown]
	s_wait_dscnt 0x0
	;;#ASMSTART
	v_dot2_f32_f16 v36, v94, v114, v36
	;;#ASMEND
	;;#ASMSTART
	v_dot2_f32_f16 v36, v95, v115, v36
	;;#ASMEND
	;; [unrolled: 3-line block ×28, first 2 shown]
	s_wait_alu 0xfffd
	v_cndmask_b32_e32 v95, v44, v53, vcc_lo
	v_cmp_gt_i32_e32 vcc_lo, 32, v52
	v_add_nc_u32_e32 v94, s10, v2
	s_wait_alu 0xfffd
	s_delay_alu instid0(VALU_DEP_3) | instskip(SKIP_1) | instid1(VALU_DEP_2)
	v_dual_cndmask_b32 v95, v44, v52 :: v_dual_lshlrev_b32 v96, 2, v95
	v_cmp_gt_i32_e32 vcc_lo, 32, v51
	v_lshlrev_b32_e32 v97, 2, v95
	s_wait_alu 0xfffd
	v_cndmask_b32_e32 v95, v44, v51, vcc_lo
	v_cmp_gt_i32_e32 vcc_lo, 32, v50
	s_wait_alu 0xfffd
	s_delay_alu instid0(VALU_DEP_2) | instskip(SKIP_1) | instid1(VALU_DEP_2)
	v_dual_cndmask_b32 v95, v44, v50 :: v_dual_lshlrev_b32 v98, 2, v95
	v_cmp_gt_i32_e32 vcc_lo, 32, v48
	v_lshlrev_b32_e32 v99, 2, v95
	s_wait_alu 0xfffd
	v_cndmask_b32_e32 v95, v44, v48, vcc_lo
	s_delay_alu instid0(VALU_DEP_1) | instskip(SKIP_1) | instid1(VALU_DEP_1)
	v_lshlrev_b32_e32 v100, 2, v95
	v_ashrrev_i32_e32 v95, 31, v94
	v_lshlrev_b64_e32 v[94:95], 1, v[94:95]
	s_delay_alu instid0(VALU_DEP_1) | instskip(SKIP_1) | instid1(VALU_DEP_2)
	v_add_co_u32 v94, vcc_lo, s30, v94
	s_wait_alu 0xfffd
	v_add_co_ci_u32_e64 v95, null, s31, v95, vcc_lo
	s_clause 0x1
	global_load_u16 v101, v[94:95], off
	global_load_u16 v103, v[94:95], off offset:64
	s_wait_loadcnt 0x1
	v_cvt_f32_f16_e32 v101, v101
	s_wait_loadcnt 0x0
	v_cvt_f32_f16_e32 v103, v103
	s_delay_alu instid0(VALU_DEP_1) | instskip(NEXT) | instid1(VALU_DEP_1)
	v_dual_add_f32 v102, v35, v101 :: v_dual_add_f32 v89, v89, v103
	v_dual_add_f32 v35, 0x40051340, v102 :: v_dual_add_f32 v104, 0x40051340, v89
	s_delay_alu instid0(VALU_DEP_1)
	v_max3_num_f32 v35, v39, v35, v104
	s_clause 0x1
	global_load_u16 v104, v[94:95], off offset:128
	global_load_u16 v94, v[94:95], off offset:192
	s_wait_loadcnt 0x0
	s_barrier_signal -1
	s_barrier_wait -1
	global_inv scope:SCOPE_SE
	v_cvt_f32_f16_e32 v104, v104
	v_cvt_f32_f16_e32 v94, v94
	s_delay_alu instid0(VALU_DEP_1) | instskip(SKIP_1) | instid1(VALU_DEP_2)
	v_dual_add_f32 v92, v92, v104 :: v_dual_add_f32 v93, v93, v94
	v_dual_add_f32 v42, v42, v94 :: v_dual_add_f32 v41, v41, v104
	v_add_f32_e32 v105, 0x40051340, v92
	s_delay_alu instid0(VALU_DEP_2) | instskip(NEXT) | instid1(VALU_DEP_1)
	v_dual_add_f32 v95, 0x40051340, v93 :: v_dual_add_f32 v94, 0x40051340, v42
	v_max3_num_f32 v35, v35, v105, v95
	ds_bpermute_b32 v95, v96, v35
	s_wait_dscnt 0x0
	v_max_num_f32_e32 v95, v95, v95
	s_delay_alu instid0(VALU_DEP_1) | instskip(SKIP_3) | instid1(VALU_DEP_1)
	v_max_num_f32_e32 v35, v35, v95
	ds_bpermute_b32 v95, v97, v35
	s_wait_dscnt 0x0
	v_max_num_f32_e32 v95, v95, v95
	v_max_num_f32_e32 v35, v35, v95
	ds_bpermute_b32 v95, v98, v35
	s_wait_dscnt 0x0
	v_max_num_f32_e32 v95, v95, v95
	s_delay_alu instid0(VALU_DEP_1) | instskip(SKIP_3) | instid1(VALU_DEP_1)
	v_max_num_f32_e32 v35, v35, v95
	ds_bpermute_b32 v95, v99, v35
	s_wait_dscnt 0x0
	v_max_num_f32_e32 v95, v95, v95
	v_max_num_f32_e32 v35, v35, v95
	ds_bpermute_b32 v95, v100, v35
	s_wait_dscnt 0x0
	v_max_num_f32_e32 v95, v95, v95
	s_delay_alu instid0(VALU_DEP_1) | instskip(SKIP_2) | instid1(VALU_DEP_2)
	v_max_num_f32_e32 v35, v35, v95
	v_add_f32_e32 v95, v36, v101
	v_add_f32_e32 v101, v40, v103
	v_add_f32_e32 v36, 0x40051340, v95
	s_delay_alu instid0(VALU_DEP_2) | instskip(NEXT) | instid1(VALU_DEP_1)
	v_add_f32_e32 v40, 0x40051340, v101
	v_max3_num_f32 v36, v37, v36, v40
	v_add_f32_e32 v40, 0x40051340, v41
	s_delay_alu instid0(VALU_DEP_1)
	v_max3_num_f32 v36, v36, v40, v94
	v_sub_f32_e32 v94, v39, v35
	v_sub_f32_e32 v39, v102, v35
	ds_bpermute_b32 v40, v96, v36
	s_wait_dscnt 0x0
	v_max_num_f32_e32 v40, v40, v40
	s_delay_alu instid0(VALU_DEP_1) | instskip(SKIP_3) | instid1(VALU_DEP_1)
	v_max_num_f32_e32 v36, v36, v40
	ds_bpermute_b32 v40, v97, v36
	s_wait_dscnt 0x0
	v_max_num_f32_e32 v40, v40, v40
	v_max_num_f32_e32 v36, v36, v40
	ds_bpermute_b32 v40, v98, v36
	s_wait_dscnt 0x0
	v_max_num_f32_e32 v40, v40, v40
	s_delay_alu instid0(VALU_DEP_1) | instskip(SKIP_3) | instid1(VALU_DEP_1)
	v_max_num_f32_e32 v36, v36, v40
	ds_bpermute_b32 v40, v99, v36
	s_wait_dscnt 0x0
	v_max_num_f32_e32 v40, v40, v40
	v_max_num_f32_e32 v36, v36, v40
	ds_bpermute_b32 v40, v100, v36
	s_wait_dscnt 0x0
	v_max_num_f32_e32 v40, v40, v40
	s_delay_alu instid0(VALU_DEP_1) | instskip(NEXT) | instid1(VALU_DEP_1)
	v_max_num_f32_e32 v36, v36, v40
	v_dual_mul_f32 v40, 0x3fb8aa3b, v39 :: v_dual_sub_f32 v37, v37, v36
	s_delay_alu instid0(VALU_DEP_1) | instskip(SKIP_2) | instid1(VALU_DEP_3)
	v_fma_f32 v96, 0x3fb8aa3b, v39, -v40
	v_rndne_f32_e32 v97, v40
	v_sub_f32_e32 v42, v42, v36
	v_dual_sub_f32 v41, v41, v36 :: v_dual_fmac_f32 v96, 0x32a5705f, v39
	s_delay_alu instid0(VALU_DEP_3) | instskip(NEXT) | instid1(VALU_DEP_1)
	v_sub_f32_e32 v40, v40, v97
	v_add_f32_e32 v40, v40, v96
	v_cvt_i32_f32_e32 v96, v97
	v_cmp_ngt_f32_e32 vcc_lo, 0xc2ce8ed0, v39
	s_delay_alu instid0(VALU_DEP_3) | instskip(NEXT) | instid1(TRANS32_DEP_1)
	v_exp_f32_e32 v40, v40
	v_ldexp_f32 v40, v40, v96
	s_wait_alu 0xfffd
	s_delay_alu instid0(VALU_DEP_1) | instskip(SKIP_2) | instid1(VALU_DEP_2)
	v_cndmask_b32_e32 v40, 0, v40, vcc_lo
	v_cmp_nlt_f32_e32 vcc_lo, 0x42b17218, v39
	s_wait_alu 0xfffd
	v_dual_cndmask_b32 v39, 0x7f800000, v40 :: v_dual_sub_f32 v40, v89, v35
	s_delay_alu instid0(VALU_DEP_1) | instskip(NEXT) | instid1(VALU_DEP_2)
	v_cvt_f16_f32_e32 v96, v39
	v_mul_f32_e32 v89, 0x3fb8aa3b, v40
	v_cmp_ngt_f32_e32 vcc_lo, 0xc2ce8ed0, v40
	s_delay_alu instid0(VALU_DEP_2) | instskip(SKIP_1) | instid1(VALU_DEP_2)
	v_fma_f32 v97, 0x3fb8aa3b, v40, -v89
	v_rndne_f32_e32 v98, v89
	v_fmac_f32_e32 v97, 0x32a5705f, v40
	s_delay_alu instid0(VALU_DEP_2) | instskip(NEXT) | instid1(VALU_DEP_1)
	v_sub_f32_e32 v89, v89, v98
	v_add_f32_e32 v89, v89, v97
	v_cvt_i32_f32_e32 v97, v98
	s_delay_alu instid0(VALU_DEP_2) | instskip(NEXT) | instid1(TRANS32_DEP_1)
	v_exp_f32_e32 v89, v89
	v_ldexp_f32 v89, v89, v97
	s_wait_alu 0xfffd
	s_delay_alu instid0(VALU_DEP_1) | instskip(SKIP_2) | instid1(VALU_DEP_2)
	v_cndmask_b32_e32 v89, 0, v89, vcc_lo
	v_cmp_nlt_f32_e32 vcc_lo, 0x42b17218, v40
	s_wait_alu 0xfffd
	v_cndmask_b32_e32 v40, 0x7f800000, v89, vcc_lo
	s_delay_alu instid0(VALU_DEP_1) | instskip(SKIP_2) | instid1(VALU_DEP_1)
	v_add_f32_e32 v39, v39, v40
	v_cvt_f16_f32_e32 v97, v40
	v_sub_f32_e32 v40, v92, v35
	v_mul_f32_e32 v89, 0x3fb8aa3b, v40
	v_cmp_ngt_f32_e32 vcc_lo, 0xc2ce8ed0, v40
	s_delay_alu instid0(VALU_DEP_2) | instskip(SKIP_1) | instid1(VALU_DEP_1)
	v_fma_f32 v92, 0x3fb8aa3b, v40, -v89
	v_rndne_f32_e32 v98, v89
	v_dual_fmac_f32 v92, 0x32a5705f, v40 :: v_dual_sub_f32 v89, v89, v98
	s_delay_alu instid0(VALU_DEP_1) | instskip(SKIP_1) | instid1(VALU_DEP_2)
	v_add_f32_e32 v89, v89, v92
	v_cvt_i32_f32_e32 v92, v98
	v_exp_f32_e32 v89, v89
	s_delay_alu instid0(TRANS32_DEP_1) | instskip(SKIP_1) | instid1(VALU_DEP_1)
	v_ldexp_f32 v89, v89, v92
	s_wait_alu 0xfffd
	v_cndmask_b32_e32 v89, 0, v89, vcc_lo
	v_cmp_nlt_f32_e32 vcc_lo, 0x42b17218, v40
	s_wait_alu 0xfffd
	s_delay_alu instid0(VALU_DEP_2) | instskip(NEXT) | instid1(VALU_DEP_1)
	v_cndmask_b32_e32 v40, 0x7f800000, v89, vcc_lo
	v_add_f32_e32 v89, v40, v39
	v_cvt_f16_f32_e32 v39, v40
	v_sub_f32_e32 v40, v93, v35
	s_delay_alu instid0(VALU_DEP_1) | instskip(SKIP_1) | instid1(VALU_DEP_2)
	v_mul_f32_e32 v92, 0x3fb8aa3b, v40
	v_cmp_ngt_f32_e32 vcc_lo, 0xc2ce8ed0, v40
	v_fma_f32 v93, 0x3fb8aa3b, v40, -v92
	v_rndne_f32_e32 v98, v92
	s_delay_alu instid0(VALU_DEP_1) | instskip(NEXT) | instid1(VALU_DEP_1)
	v_dual_fmac_f32 v93, 0x32a5705f, v40 :: v_dual_sub_f32 v92, v92, v98
	v_add_f32_e32 v92, v92, v93
	v_cvt_i32_f32_e32 v93, v98
	s_delay_alu instid0(VALU_DEP_2) | instskip(NEXT) | instid1(TRANS32_DEP_1)
	v_exp_f32_e32 v92, v92
	v_ldexp_f32 v92, v92, v93
	s_wait_alu 0xfffd
	s_delay_alu instid0(VALU_DEP_1) | instskip(SKIP_2) | instid1(VALU_DEP_2)
	v_cndmask_b32_e32 v92, 0, v92, vcc_lo
	v_cmp_nlt_f32_e32 vcc_lo, 0x42b17218, v40
	s_wait_alu 0xfffd
	v_cndmask_b32_e32 v40, 0x7f800000, v92, vcc_lo
	v_mul_f32_e32 v92, 0x3fb8aa3b, v94
	v_cmp_ngt_f32_e32 vcc_lo, 0xc2ce8ed0, v94
	s_delay_alu instid0(VALU_DEP_3) | instskip(NEXT) | instid1(VALU_DEP_3)
	v_add_f32_e32 v89, v40, v89
	v_fma_f32 v93, 0x3fb8aa3b, v94, -v92
	v_rndne_f32_e32 v98, v92
	v_cvt_f16_f32_e32 v40, v40
	s_delay_alu instid0(VALU_DEP_3) | instskip(NEXT) | instid1(VALU_DEP_3)
	v_fmac_f32_e32 v93, 0x32a5705f, v94
	v_sub_f32_e32 v92, v92, v98
	s_delay_alu instid0(VALU_DEP_1) | instskip(SKIP_1) | instid1(VALU_DEP_2)
	v_add_f32_e32 v92, v92, v93
	v_cvt_i32_f32_e32 v93, v98
	v_exp_f32_e32 v92, v92
	s_delay_alu instid0(TRANS32_DEP_1) | instskip(SKIP_1) | instid1(VALU_DEP_1)
	v_ldexp_f32 v92, v92, v93
	s_wait_alu 0xfffd
	v_cndmask_b32_e32 v92, 0, v92, vcc_lo
	v_cmp_nlt_f32_e32 vcc_lo, 0x42b17218, v94
	s_wait_alu 0xfffd
	s_delay_alu instid0(VALU_DEP_2) | instskip(NEXT) | instid1(VALU_DEP_1)
	v_cndmask_b32_e32 v92, 0x7f800000, v92, vcc_lo
	v_fmac_f32_e32 v89, v38, v92
	v_cvt_f16_f32_e32 v38, v92
	s_delay_alu instid0(VALU_DEP_1) | instskip(NEXT) | instid1(VALU_DEP_1)
	v_and_b32_e32 v38, 0xffff, v38
	v_mul_u32_u24_e32 v92, 0x10001, v38
	v_sub_f32_e32 v38, v95, v36
	s_delay_alu instid0(VALU_DEP_1) | instskip(NEXT) | instid1(VALU_DEP_1)
	v_mul_f32_e32 v93, 0x3fb8aa3b, v38
	v_fma_f32 v94, 0x3fb8aa3b, v38, -v93
	v_rndne_f32_e32 v95, v93
	s_delay_alu instid0(VALU_DEP_1) | instskip(NEXT) | instid1(VALU_DEP_1)
	v_dual_fmac_f32 v94, 0x32a5705f, v38 :: v_dual_sub_f32 v93, v93, v95
	v_add_f32_e32 v93, v93, v94
	v_cvt_i32_f32_e32 v94, v95
	v_cmp_ngt_f32_e32 vcc_lo, 0xc2ce8ed0, v38
	s_delay_alu instid0(VALU_DEP_3) | instskip(NEXT) | instid1(TRANS32_DEP_1)
	v_exp_f32_e32 v93, v93
	v_ldexp_f32 v93, v93, v94
	s_wait_alu 0xfffd
	s_delay_alu instid0(VALU_DEP_1) | instskip(SKIP_2) | instid1(VALU_DEP_2)
	v_cndmask_b32_e32 v93, 0, v93, vcc_lo
	v_cmp_nlt_f32_e32 vcc_lo, 0x42b17218, v38
	s_wait_alu 0xfffd
	v_dual_cndmask_b32 v38, 0x7f800000, v93 :: v_dual_sub_f32 v93, v101, v36
	s_delay_alu instid0(VALU_DEP_1) | instskip(NEXT) | instid1(VALU_DEP_2)
	v_cvt_f16_f32_e32 v94, v38
	v_mul_f32_e32 v95, 0x3fb8aa3b, v93
	v_cmp_ngt_f32_e32 vcc_lo, 0xc2ce8ed0, v93
	s_delay_alu instid0(VALU_DEP_2) | instskip(SKIP_1) | instid1(VALU_DEP_1)
	v_fma_f32 v98, 0x3fb8aa3b, v93, -v95
	v_rndne_f32_e32 v99, v95
	v_dual_fmac_f32 v98, 0x32a5705f, v93 :: v_dual_sub_f32 v95, v95, v99
	s_delay_alu instid0(VALU_DEP_1) | instskip(SKIP_1) | instid1(VALU_DEP_2)
	v_add_f32_e32 v95, v95, v98
	v_cvt_i32_f32_e32 v98, v99
	v_exp_f32_e32 v95, v95
	s_delay_alu instid0(TRANS32_DEP_1) | instskip(SKIP_1) | instid1(VALU_DEP_1)
	v_ldexp_f32 v95, v95, v98
	s_wait_alu 0xfffd
	v_cndmask_b32_e32 v95, 0, v95, vcc_lo
	v_cmp_nlt_f32_e32 vcc_lo, 0x42b17218, v93
	s_wait_alu 0xfffd
	s_delay_alu instid0(VALU_DEP_2) | instskip(SKIP_1) | instid1(VALU_DEP_2)
	v_cndmask_b32_e32 v93, 0x7f800000, v95, vcc_lo
	v_cmp_ngt_f32_e32 vcc_lo, 0xc2ce8ed0, v41
	v_add_f32_e32 v38, v38, v93
	v_cvt_f16_f32_e32 v95, v93
	v_mul_f32_e32 v93, 0x3fb8aa3b, v41
	s_delay_alu instid0(VALU_DEP_1) | instskip(SKIP_1) | instid1(VALU_DEP_1)
	v_fma_f32 v98, 0x3fb8aa3b, v41, -v93
	v_rndne_f32_e32 v99, v93
	v_dual_fmac_f32 v98, 0x32a5705f, v41 :: v_dual_sub_f32 v93, v93, v99
	s_delay_alu instid0(VALU_DEP_1) | instskip(SKIP_1) | instid1(VALU_DEP_2)
	v_add_f32_e32 v93, v93, v98
	v_cvt_i32_f32_e32 v98, v99
	v_exp_f32_e32 v93, v93
	s_delay_alu instid0(TRANS32_DEP_1) | instskip(SKIP_1) | instid1(VALU_DEP_1)
	v_ldexp_f32 v93, v93, v98
	s_wait_alu 0xfffd
	v_cndmask_b32_e32 v93, 0, v93, vcc_lo
	v_cmp_nlt_f32_e32 vcc_lo, 0x42b17218, v41
	s_wait_alu 0xfffd
	s_delay_alu instid0(VALU_DEP_2) | instskip(SKIP_2) | instid1(VALU_DEP_3)
	v_cndmask_b32_e32 v41, 0x7f800000, v93, vcc_lo
	v_mul_f32_e32 v93, 0x3fb8aa3b, v42
	v_cmp_ngt_f32_e32 vcc_lo, 0xc2ce8ed0, v42
	v_add_f32_e32 v38, v41, v38
	s_delay_alu instid0(VALU_DEP_3) | instskip(SKIP_2) | instid1(VALU_DEP_2)
	v_fma_f32 v98, 0x3fb8aa3b, v42, -v93
	v_rndne_f32_e32 v99, v93
	v_cvt_f16_f32_e32 v41, v41
	v_dual_fmac_f32 v98, 0x32a5705f, v42 :: v_dual_sub_f32 v93, v93, v99
	s_delay_alu instid0(VALU_DEP_1) | instskip(SKIP_1) | instid1(VALU_DEP_2)
	v_add_f32_e32 v93, v93, v98
	v_cvt_i32_f32_e32 v98, v99
	v_exp_f32_e32 v93, v93
	s_delay_alu instid0(TRANS32_DEP_1) | instskip(SKIP_1) | instid1(VALU_DEP_1)
	v_ldexp_f32 v93, v93, v98
	s_wait_alu 0xfffd
	v_cndmask_b32_e32 v93, 0, v93, vcc_lo
	v_cmp_nlt_f32_e32 vcc_lo, 0x42b17218, v42
	s_wait_alu 0xfffd
	s_delay_alu instid0(VALU_DEP_2) | instskip(SKIP_2) | instid1(VALU_DEP_2)
	v_cndmask_b32_e32 v42, 0x7f800000, v93, vcc_lo
	v_mul_f32_e32 v93, 0x3fb8aa3b, v37
	v_cmp_ngt_f32_e32 vcc_lo, 0xc2ce8ed0, v37
	v_fma_f32 v98, 0x3fb8aa3b, v37, -v93
	v_rndne_f32_e32 v99, v93
	s_delay_alu instid0(VALU_DEP_1) | instskip(SKIP_2) | instid1(VALU_DEP_3)
	v_dual_fmac_f32 v98, 0x32a5705f, v37 :: v_dual_sub_f32 v93, v93, v99
	v_add_f32_e32 v38, v42, v38
	v_cvt_f16_f32_e32 v42, v42
	v_add_f32_e32 v93, v93, v98
	v_cvt_i32_f32_e32 v98, v99
	s_delay_alu instid0(VALU_DEP_2) | instskip(NEXT) | instid1(TRANS32_DEP_1)
	v_exp_f32_e32 v93, v93
	v_ldexp_f32 v93, v93, v98
	s_wait_alu 0xfffd
	s_delay_alu instid0(VALU_DEP_1) | instskip(SKIP_2) | instid1(VALU_DEP_2)
	v_cndmask_b32_e32 v93, 0, v93, vcc_lo
	v_cmp_nlt_f32_e32 vcc_lo, 0x42b17218, v37
	s_wait_alu 0xfffd
	v_cndmask_b32_e32 v37, 0x7f800000, v93, vcc_lo
	v_dual_mov_b32 v93, v64 :: v_dual_mov_b32 v64, v38
	v_pack_b32_f16 v38, v97, v95
	s_delay_alu instid0(VALU_DEP_2) | instskip(SKIP_1) | instid1(VALU_DEP_1)
	v_fmac_f32_e32 v64, v93, v37
	v_cvt_f16_f32_e32 v37, v37
	v_and_b32_e32 v37, 0xffff, v37
	s_delay_alu instid0(VALU_DEP_1)
	v_mul_u32_u24_e32 v93, 0x10001, v37
	v_pack_b32_f16 v37, v96, v94
	ds_store_2addr_b32 v73, v37, v38 offset1:32
	v_pack_b32_f16 v37, v39, v41
	v_pack_b32_f16 v38, v40, v42
	ds_store_2addr_b32 v73, v37, v38 offset0:64 offset1:96
	s_wait_alu 0xfffe
	v_add_co_u32 v37, vcc_lo, s26, v19
	s_wait_alu 0xfffd
	v_add_co_ci_u32_e64 v38, null, s27, v20, vcc_lo
	s_delay_alu instid0(VALU_DEP_2) | instskip(SKIP_1) | instid1(VALU_DEP_2)
	v_add_co_u32 v94, vcc_lo, v37, v72
	s_wait_alu 0xfffd
	v_add_co_ci_u32_e64 v95, null, 0, v38, vcc_lo
	v_add_co_u32 v37, vcc_lo, s26, v21
	s_wait_alu 0xfffd
	v_add_co_ci_u32_e64 v38, null, s27, v22, vcc_lo
	global_load_b128 v[94:97], v[94:95], off
	v_add_co_u32 v98, vcc_lo, v37, v72
	s_wait_alu 0xfffd
	v_add_co_ci_u32_e64 v99, null, 0, v38, vcc_lo
	v_add_co_u32 v37, vcc_lo, s26, v23
	s_wait_alu 0xfffd
	v_add_co_ci_u32_e64 v38, null, s27, v24, vcc_lo
	s_delay_alu instid0(VALU_DEP_2) | instskip(SKIP_1) | instid1(VALU_DEP_2)
	v_add_co_u32 v100, vcc_lo, v37, v72
	s_wait_alu 0xfffd
	v_add_co_ci_u32_e64 v101, null, 0, v38, vcc_lo
	v_add_co_u32 v37, vcc_lo, s26, v25
	s_wait_alu 0xfffd
	v_add_co_ci_u32_e64 v38, null, s27, v26, vcc_lo
	s_delay_alu instid0(VALU_DEP_2) | instskip(SKIP_1) | instid1(VALU_DEP_2)
	;; [unrolled: 7-line block ×6, first 2 shown]
	v_add_co_u32 v37, vcc_lo, v37, v72
	s_wait_alu 0xfffd
	v_add_co_ci_u32_e64 v38, null, 0, v38, vcc_lo
	s_wait_loadcnt 0x0
	ds_store_b128 v62, v[94:97]
	global_load_b128 v[94:97], v[98:99], off
	s_wait_loadcnt 0x0
	ds_store_b128 v65, v[94:97]
	global_load_b128 v[94:97], v[100:101], off
	;; [unrolled: 3-line block ×4, first 2 shown]
	s_wait_loadcnt 0x0
	ds_store_b128 v68, v[94:97]
	s_clause 0x1
	global_load_b128 v[94:97], v[41:42], off
	global_load_b128 v[39:42], v[39:40], off
	s_wait_loadcnt 0x1
	ds_store_b128 v69, v[94:97]
	s_wait_loadcnt 0x0
	ds_store_b128 v70, v[39:42]
	global_load_b128 v[37:40], v[37:38], off
	s_wait_loadcnt 0x0
	ds_store_b128 v71, v[37:40]
	s_wait_dscnt 0x0
	s_barrier_signal -1
	s_barrier_wait -1
	global_inv scope:SCOPE_SE
	ds_load_2addr_b32 v[41:42], v45 offset1:32
	ds_load_b128 v[37:40], v63
	s_wait_dscnt 0x0
	v_lshrrev_b32_e32 v94, 16, v37
	v_and_b32_e32 v37, 0xffff, v37
	s_delay_alu instid0(VALU_DEP_2) | instskip(NEXT) | instid1(VALU_DEP_2)
	v_mul_u32_u24_e32 v94, 0x10001, v94
	v_mul_u32_u24_e32 v37, 0x10001, v37
	s_delay_alu instid0(VALU_DEP_1) | instskip(NEXT) | instid1(VALU_DEP_3)
	v_pk_mul_f16 v37, v41, v37
	v_pk_mul_f16 v41, v41, v94
	s_delay_alu instid0(VALU_DEP_2) | instskip(NEXT) | instid1(VALU_DEP_2)
	v_pk_fma_f16 v37, v91, v92, v37
	v_pk_fma_f16 v41, v90, v93, v41
	v_lshrrev_b32_e32 v90, 16, v38
	v_and_b32_e32 v38, 0xffff, v38
	s_delay_alu instid0(VALU_DEP_2) | instskip(NEXT) | instid1(VALU_DEP_2)
	v_mul_u32_u24_e32 v90, 0x10001, v90
	v_mul_u32_u24_e32 v38, 0x10001, v38
	s_delay_alu instid0(VALU_DEP_2) | instskip(NEXT) | instid1(VALU_DEP_2)
	v_pk_fma_f16 v41, v42, v90, v41
	v_pk_fma_f16 v91, v42, v38, v37
	ds_load_2addr_b32 v[37:38], v45 offset0:64 offset1:96
	v_lshrrev_b32_e32 v42, 16, v39
	v_and_b32_e32 v39, 0xffff, v39
	s_delay_alu instid0(VALU_DEP_2) | instskip(NEXT) | instid1(VALU_DEP_2)
	v_mul_u32_u24_e32 v42, 0x10001, v42
	v_mul_u32_u24_e32 v39, 0x10001, v39
	s_wait_dscnt 0x0
	s_delay_alu instid0(VALU_DEP_1) | instskip(NEXT) | instid1(VALU_DEP_3)
	v_pk_fma_f16 v39, v37, v39, v91
	v_pk_fma_f16 v37, v37, v42, v41
	v_lshrrev_b32_e32 v41, 16, v40
	v_and_b32_e32 v40, 0xffff, v40
	s_delay_alu instid0(VALU_DEP_2) | instskip(NEXT) | instid1(VALU_DEP_2)
	v_mul_u32_u24_e32 v41, 0x10001, v41
	v_mul_u32_u24_e32 v40, 0x10001, v40
	s_delay_alu instid0(VALU_DEP_2) | instskip(NEXT) | instid1(VALU_DEP_2)
	v_pk_fma_f16 v91, v38, v41, v37
	v_pk_fma_f16 v90, v38, v40, v39
	ds_load_2addr_b32 v[41:42], v45 offset0:128 offset1:160
	ds_load_b128 v[37:40], v63 offset:16
	s_wait_dscnt 0x0
	v_lshrrev_b32_e32 v92, 16, v37
	v_and_b32_e32 v37, 0xffff, v37
	s_delay_alu instid0(VALU_DEP_2) | instskip(NEXT) | instid1(VALU_DEP_2)
	v_mul_u32_u24_e32 v92, 0x10001, v92
	v_mul_u32_u24_e32 v37, 0x10001, v37
	s_delay_alu instid0(VALU_DEP_1) | instskip(SKIP_3) | instid1(VALU_DEP_3)
	v_pk_fma_f16 v37, v41, v37, v90
	v_lshrrev_b32_e32 v90, 16, v38
	v_and_b32_e32 v38, 0xffff, v38
	v_pk_fma_f16 v41, v41, v92, v91
	v_mul_u32_u24_e32 v90, 0x10001, v90
	s_delay_alu instid0(VALU_DEP_3) | instskip(NEXT) | instid1(VALU_DEP_2)
	v_mul_u32_u24_e32 v38, 0x10001, v38
	v_pk_fma_f16 v41, v42, v90, v41
	s_delay_alu instid0(VALU_DEP_2) | instskip(SKIP_3) | instid1(VALU_DEP_2)
	v_pk_fma_f16 v91, v42, v38, v37
	ds_load_2addr_b32 v[37:38], v45 offset0:192 offset1:224
	v_lshrrev_b32_e32 v42, 16, v39
	v_and_b32_e32 v39, 0xffff, v39
	v_mul_u32_u24_e32 v42, 0x10001, v42
	s_delay_alu instid0(VALU_DEP_2) | instskip(SKIP_1) | instid1(VALU_DEP_1)
	v_mul_u32_u24_e32 v39, 0x10001, v39
	s_wait_dscnt 0x0
	v_pk_fma_f16 v39, v37, v39, v91
	s_delay_alu instid0(VALU_DEP_3) | instskip(SKIP_2) | instid1(VALU_DEP_2)
	v_pk_fma_f16 v37, v37, v42, v41
	v_lshrrev_b32_e32 v41, 16, v40
	v_and_b32_e32 v40, 0xffff, v40
	v_mul_u32_u24_e32 v41, 0x10001, v41
	s_delay_alu instid0(VALU_DEP_2) | instskip(NEXT) | instid1(VALU_DEP_2)
	v_mul_u32_u24_e32 v40, 0x10001, v40
	v_pk_fma_f16 v91, v38, v41, v37
	s_delay_alu instid0(VALU_DEP_2)
	v_pk_fma_f16 v90, v38, v40, v39
	ds_load_2addr_b32 v[41:42], v74 offset1:32
	ds_load_b128 v[37:40], v63 offset:32
	s_wait_dscnt 0x0
	v_lshrrev_b32_e32 v92, 16, v37
	v_and_b32_e32 v37, 0xffff, v37
	s_delay_alu instid0(VALU_DEP_2) | instskip(NEXT) | instid1(VALU_DEP_2)
	v_mul_u32_u24_e32 v92, 0x10001, v92
	v_mul_u32_u24_e32 v37, 0x10001, v37
	s_delay_alu instid0(VALU_DEP_1) | instskip(SKIP_3) | instid1(VALU_DEP_3)
	v_pk_fma_f16 v37, v41, v37, v90
	v_lshrrev_b32_e32 v90, 16, v38
	v_and_b32_e32 v38, 0xffff, v38
	v_pk_fma_f16 v41, v41, v92, v91
	v_mul_u32_u24_e32 v90, 0x10001, v90
	s_delay_alu instid0(VALU_DEP_3) | instskip(NEXT) | instid1(VALU_DEP_2)
	v_mul_u32_u24_e32 v38, 0x10001, v38
	v_pk_fma_f16 v41, v42, v90, v41
	s_delay_alu instid0(VALU_DEP_2) | instskip(SKIP_3) | instid1(VALU_DEP_2)
	v_pk_fma_f16 v91, v42, v38, v37
	ds_load_2addr_b32 v[37:38], v74 offset0:64 offset1:96
	v_lshrrev_b32_e32 v42, 16, v39
	v_and_b32_e32 v39, 0xffff, v39
	v_mul_u32_u24_e32 v42, 0x10001, v42
	s_delay_alu instid0(VALU_DEP_2) | instskip(SKIP_1) | instid1(VALU_DEP_1)
	v_mul_u32_u24_e32 v39, 0x10001, v39
	s_wait_dscnt 0x0
	v_pk_fma_f16 v39, v37, v39, v91
	s_delay_alu instid0(VALU_DEP_3) | instskip(SKIP_2) | instid1(VALU_DEP_2)
	v_pk_fma_f16 v37, v37, v42, v41
	v_lshrrev_b32_e32 v41, 16, v40
	v_and_b32_e32 v40, 0xffff, v40
	v_mul_u32_u24_e32 v41, 0x10001, v41
	s_delay_alu instid0(VALU_DEP_2) | instskip(NEXT) | instid1(VALU_DEP_2)
	v_mul_u32_u24_e32 v40, 0x10001, v40
	v_pk_fma_f16 v91, v38, v41, v37
	s_delay_alu instid0(VALU_DEP_2)
	v_pk_fma_f16 v90, v38, v40, v39
	ds_load_2addr_b32 v[41:42], v74 offset0:128 offset1:160
	ds_load_b128 v[37:40], v63 offset:48
	s_wait_dscnt 0x0
	v_lshrrev_b32_e32 v92, 16, v37
	v_and_b32_e32 v37, 0xffff, v37
	s_delay_alu instid0(VALU_DEP_2) | instskip(NEXT) | instid1(VALU_DEP_2)
	v_mul_u32_u24_e32 v92, 0x10001, v92
	v_mul_u32_u24_e32 v37, 0x10001, v37
	s_delay_alu instid0(VALU_DEP_1) | instskip(SKIP_3) | instid1(VALU_DEP_3)
	v_pk_fma_f16 v37, v41, v37, v90
	v_lshrrev_b32_e32 v90, 16, v38
	v_and_b32_e32 v38, 0xffff, v38
	v_pk_fma_f16 v41, v41, v92, v91
	v_mul_u32_u24_e32 v90, 0x10001, v90
	s_delay_alu instid0(VALU_DEP_3) | instskip(NEXT) | instid1(VALU_DEP_2)
	v_mul_u32_u24_e32 v38, 0x10001, v38
	v_pk_fma_f16 v41, v42, v90, v41
	s_delay_alu instid0(VALU_DEP_2) | instskip(SKIP_3) | instid1(VALU_DEP_2)
	v_pk_fma_f16 v91, v42, v38, v37
	ds_load_2addr_b32 v[37:38], v74 offset0:192 offset1:224
	v_lshrrev_b32_e32 v42, 16, v39
	v_and_b32_e32 v39, 0xffff, v39
	v_mul_u32_u24_e32 v42, 0x10001, v42
	s_delay_alu instid0(VALU_DEP_2) | instskip(SKIP_1) | instid1(VALU_DEP_1)
	v_mul_u32_u24_e32 v39, 0x10001, v39
	s_wait_dscnt 0x0
	v_pk_fma_f16 v39, v37, v39, v91
	s_delay_alu instid0(VALU_DEP_3) | instskip(SKIP_2) | instid1(VALU_DEP_2)
	v_pk_fma_f16 v37, v37, v42, v41
	v_lshrrev_b32_e32 v41, 16, v40
	v_and_b32_e32 v40, 0xffff, v40
	v_mul_u32_u24_e32 v41, 0x10001, v41
	s_delay_alu instid0(VALU_DEP_2) | instskip(NEXT) | instid1(VALU_DEP_2)
	v_mul_u32_u24_e32 v40, 0x10001, v40
	v_pk_fma_f16 v91, v38, v41, v37
	s_delay_alu instid0(VALU_DEP_2)
	v_pk_fma_f16 v90, v38, v40, v39
	ds_load_2addr_b32 v[41:42], v75 offset1:32
	ds_load_b128 v[37:40], v63 offset:64
	s_wait_dscnt 0x0
	v_lshrrev_b32_e32 v92, 16, v37
	v_and_b32_e32 v37, 0xffff, v37
	s_delay_alu instid0(VALU_DEP_2) | instskip(NEXT) | instid1(VALU_DEP_2)
	v_mul_u32_u24_e32 v92, 0x10001, v92
	v_mul_u32_u24_e32 v37, 0x10001, v37
	s_delay_alu instid0(VALU_DEP_1) | instskip(SKIP_3) | instid1(VALU_DEP_3)
	v_pk_fma_f16 v37, v41, v37, v90
	v_lshrrev_b32_e32 v90, 16, v38
	v_and_b32_e32 v38, 0xffff, v38
	v_pk_fma_f16 v41, v41, v92, v91
	v_mul_u32_u24_e32 v90, 0x10001, v90
	s_delay_alu instid0(VALU_DEP_3) | instskip(NEXT) | instid1(VALU_DEP_2)
	v_mul_u32_u24_e32 v38, 0x10001, v38
	v_pk_fma_f16 v41, v42, v90, v41
	s_delay_alu instid0(VALU_DEP_2) | instskip(SKIP_3) | instid1(VALU_DEP_2)
	v_pk_fma_f16 v91, v42, v38, v37
	ds_load_2addr_b32 v[37:38], v75 offset0:64 offset1:96
	v_lshrrev_b32_e32 v42, 16, v39
	v_and_b32_e32 v39, 0xffff, v39
	v_mul_u32_u24_e32 v42, 0x10001, v42
	s_delay_alu instid0(VALU_DEP_2) | instskip(SKIP_1) | instid1(VALU_DEP_1)
	v_mul_u32_u24_e32 v39, 0x10001, v39
	s_wait_dscnt 0x0
	v_pk_fma_f16 v39, v37, v39, v91
	s_delay_alu instid0(VALU_DEP_3) | instskip(SKIP_2) | instid1(VALU_DEP_2)
	v_pk_fma_f16 v37, v37, v42, v41
	v_lshrrev_b32_e32 v41, 16, v40
	v_and_b32_e32 v40, 0xffff, v40
	v_mul_u32_u24_e32 v41, 0x10001, v41
	s_delay_alu instid0(VALU_DEP_2) | instskip(NEXT) | instid1(VALU_DEP_2)
	v_mul_u32_u24_e32 v40, 0x10001, v40
	v_pk_fma_f16 v91, v38, v41, v37
	s_delay_alu instid0(VALU_DEP_2)
	v_pk_fma_f16 v90, v38, v40, v39
	ds_load_2addr_b32 v[41:42], v75 offset0:128 offset1:160
	ds_load_b128 v[37:40], v63 offset:80
	s_wait_dscnt 0x0
	v_lshrrev_b32_e32 v92, 16, v37
	v_and_b32_e32 v37, 0xffff, v37
	s_delay_alu instid0(VALU_DEP_2) | instskip(NEXT) | instid1(VALU_DEP_2)
	v_mul_u32_u24_e32 v92, 0x10001, v92
	v_mul_u32_u24_e32 v37, 0x10001, v37
	s_delay_alu instid0(VALU_DEP_1) | instskip(SKIP_3) | instid1(VALU_DEP_3)
	v_pk_fma_f16 v37, v41, v37, v90
	v_lshrrev_b32_e32 v90, 16, v38
	v_and_b32_e32 v38, 0xffff, v38
	v_pk_fma_f16 v41, v41, v92, v91
	v_mul_u32_u24_e32 v90, 0x10001, v90
	s_delay_alu instid0(VALU_DEP_3) | instskip(NEXT) | instid1(VALU_DEP_2)
	v_mul_u32_u24_e32 v38, 0x10001, v38
	v_pk_fma_f16 v41, v42, v90, v41
	s_delay_alu instid0(VALU_DEP_2) | instskip(SKIP_3) | instid1(VALU_DEP_2)
	v_pk_fma_f16 v91, v42, v38, v37
	ds_load_2addr_b32 v[37:38], v75 offset0:192 offset1:224
	v_lshrrev_b32_e32 v42, 16, v39
	v_and_b32_e32 v39, 0xffff, v39
	v_mul_u32_u24_e32 v42, 0x10001, v42
	s_delay_alu instid0(VALU_DEP_2) | instskip(SKIP_1) | instid1(VALU_DEP_1)
	v_mul_u32_u24_e32 v39, 0x10001, v39
	s_wait_dscnt 0x0
	v_pk_fma_f16 v39, v37, v39, v91
	s_delay_alu instid0(VALU_DEP_3) | instskip(SKIP_2) | instid1(VALU_DEP_2)
	v_pk_fma_f16 v37, v37, v42, v41
	v_lshrrev_b32_e32 v41, 16, v40
	v_and_b32_e32 v40, 0xffff, v40
	v_mul_u32_u24_e32 v41, 0x10001, v41
	s_delay_alu instid0(VALU_DEP_2) | instskip(NEXT) | instid1(VALU_DEP_2)
	v_mul_u32_u24_e32 v40, 0x10001, v40
	v_pk_fma_f16 v91, v38, v41, v37
	s_delay_alu instid0(VALU_DEP_2)
	v_pk_fma_f16 v90, v38, v40, v39
	ds_load_2addr_b32 v[41:42], v76 offset1:32
	ds_load_b128 v[37:40], v63 offset:96
	s_wait_dscnt 0x0
	v_lshrrev_b32_e32 v92, 16, v37
	v_and_b32_e32 v37, 0xffff, v37
	s_delay_alu instid0(VALU_DEP_2) | instskip(NEXT) | instid1(VALU_DEP_2)
	v_mul_u32_u24_e32 v92, 0x10001, v92
	v_mul_u32_u24_e32 v37, 0x10001, v37
	s_delay_alu instid0(VALU_DEP_1) | instskip(SKIP_3) | instid1(VALU_DEP_3)
	v_pk_fma_f16 v37, v41, v37, v90
	v_lshrrev_b32_e32 v90, 16, v38
	v_and_b32_e32 v38, 0xffff, v38
	v_pk_fma_f16 v41, v41, v92, v91
	v_mul_u32_u24_e32 v90, 0x10001, v90
	s_delay_alu instid0(VALU_DEP_3) | instskip(NEXT) | instid1(VALU_DEP_2)
	v_mul_u32_u24_e32 v38, 0x10001, v38
	v_pk_fma_f16 v41, v42, v90, v41
	s_delay_alu instid0(VALU_DEP_2) | instskip(SKIP_3) | instid1(VALU_DEP_2)
	v_pk_fma_f16 v91, v42, v38, v37
	ds_load_2addr_b32 v[37:38], v76 offset0:64 offset1:96
	v_lshrrev_b32_e32 v42, 16, v39
	v_and_b32_e32 v39, 0xffff, v39
	v_mul_u32_u24_e32 v42, 0x10001, v42
	s_delay_alu instid0(VALU_DEP_2) | instskip(SKIP_1) | instid1(VALU_DEP_1)
	v_mul_u32_u24_e32 v39, 0x10001, v39
	s_wait_dscnt 0x0
	v_pk_fma_f16 v39, v37, v39, v91
	s_delay_alu instid0(VALU_DEP_3) | instskip(SKIP_2) | instid1(VALU_DEP_2)
	v_pk_fma_f16 v37, v37, v42, v41
	v_lshrrev_b32_e32 v41, 16, v40
	v_and_b32_e32 v40, 0xffff, v40
	v_mul_u32_u24_e32 v41, 0x10001, v41
	s_delay_alu instid0(VALU_DEP_2) | instskip(NEXT) | instid1(VALU_DEP_2)
	v_mul_u32_u24_e32 v40, 0x10001, v40
	v_pk_fma_f16 v91, v38, v41, v37
	s_delay_alu instid0(VALU_DEP_2)
	v_pk_fma_f16 v90, v38, v40, v39
	ds_load_2addr_b32 v[41:42], v76 offset0:128 offset1:160
	ds_load_b128 v[37:40], v63 offset:112
	s_wait_dscnt 0x0
	v_lshrrev_b32_e32 v92, 16, v37
	v_and_b32_e32 v37, 0xffff, v37
	s_delay_alu instid0(VALU_DEP_2) | instskip(NEXT) | instid1(VALU_DEP_2)
	v_mul_u32_u24_e32 v92, 0x10001, v92
	v_mul_u32_u24_e32 v37, 0x10001, v37
	s_delay_alu instid0(VALU_DEP_1) | instskip(SKIP_3) | instid1(VALU_DEP_3)
	v_pk_fma_f16 v37, v41, v37, v90
	v_lshrrev_b32_e32 v90, 16, v38
	v_and_b32_e32 v38, 0xffff, v38
	v_pk_fma_f16 v41, v41, v92, v91
	v_mul_u32_u24_e32 v90, 0x10001, v90
	s_delay_alu instid0(VALU_DEP_3) | instskip(NEXT) | instid1(VALU_DEP_2)
	v_mul_u32_u24_e32 v38, 0x10001, v38
	v_pk_fma_f16 v41, v42, v90, v41
	s_delay_alu instid0(VALU_DEP_2) | instskip(SKIP_3) | instid1(VALU_DEP_2)
	v_pk_fma_f16 v91, v42, v38, v37
	ds_load_2addr_b32 v[37:38], v76 offset0:192 offset1:224
	v_lshrrev_b32_e32 v42, 16, v39
	v_and_b32_e32 v39, 0xffff, v39
	v_mul_u32_u24_e32 v42, 0x10001, v42
	s_delay_alu instid0(VALU_DEP_2) | instskip(SKIP_1) | instid1(VALU_DEP_1)
	v_mul_u32_u24_e32 v39, 0x10001, v39
	s_wait_dscnt 0x0
	v_pk_fma_f16 v39, v37, v39, v91
	s_delay_alu instid0(VALU_DEP_3) | instskip(SKIP_2) | instid1(VALU_DEP_2)
	v_pk_fma_f16 v37, v37, v42, v41
	v_lshrrev_b32_e32 v41, 16, v40
	v_and_b32_e32 v40, 0xffff, v40
	v_mul_u32_u24_e32 v41, 0x10001, v41
	s_delay_alu instid0(VALU_DEP_2) | instskip(NEXT) | instid1(VALU_DEP_2)
	v_mul_u32_u24_e32 v40, 0x10001, v40
	v_pk_fma_f16 v91, v38, v41, v37
	s_delay_alu instid0(VALU_DEP_2)
	v_pk_fma_f16 v90, v38, v40, v39
	ds_load_2addr_b32 v[41:42], v77 offset1:32
	ds_load_b128 v[37:40], v63 offset:128
	s_wait_dscnt 0x0
	v_lshrrev_b32_e32 v92, 16, v37
	v_and_b32_e32 v37, 0xffff, v37
	s_delay_alu instid0(VALU_DEP_2) | instskip(NEXT) | instid1(VALU_DEP_2)
	v_mul_u32_u24_e32 v92, 0x10001, v92
	v_mul_u32_u24_e32 v37, 0x10001, v37
	s_delay_alu instid0(VALU_DEP_1) | instskip(SKIP_3) | instid1(VALU_DEP_3)
	v_pk_fma_f16 v37, v41, v37, v90
	v_lshrrev_b32_e32 v90, 16, v38
	v_and_b32_e32 v38, 0xffff, v38
	v_pk_fma_f16 v41, v41, v92, v91
	v_mul_u32_u24_e32 v90, 0x10001, v90
	s_delay_alu instid0(VALU_DEP_3) | instskip(NEXT) | instid1(VALU_DEP_2)
	v_mul_u32_u24_e32 v38, 0x10001, v38
	v_pk_fma_f16 v41, v42, v90, v41
	s_delay_alu instid0(VALU_DEP_2) | instskip(SKIP_3) | instid1(VALU_DEP_2)
	v_pk_fma_f16 v91, v42, v38, v37
	ds_load_2addr_b32 v[37:38], v77 offset0:64 offset1:96
	v_lshrrev_b32_e32 v42, 16, v39
	v_and_b32_e32 v39, 0xffff, v39
	v_mul_u32_u24_e32 v42, 0x10001, v42
	s_delay_alu instid0(VALU_DEP_2) | instskip(SKIP_1) | instid1(VALU_DEP_1)
	v_mul_u32_u24_e32 v39, 0x10001, v39
	s_wait_dscnt 0x0
	v_pk_fma_f16 v39, v37, v39, v91
	s_delay_alu instid0(VALU_DEP_3) | instskip(SKIP_2) | instid1(VALU_DEP_2)
	v_pk_fma_f16 v37, v37, v42, v41
	v_lshrrev_b32_e32 v41, 16, v40
	v_and_b32_e32 v40, 0xffff, v40
	v_mul_u32_u24_e32 v41, 0x10001, v41
	s_delay_alu instid0(VALU_DEP_2) | instskip(NEXT) | instid1(VALU_DEP_2)
	v_mul_u32_u24_e32 v40, 0x10001, v40
	v_pk_fma_f16 v91, v38, v41, v37
	s_delay_alu instid0(VALU_DEP_2)
	v_pk_fma_f16 v90, v38, v40, v39
	ds_load_2addr_b32 v[41:42], v77 offset0:128 offset1:160
	ds_load_b128 v[37:40], v63 offset:144
	s_wait_dscnt 0x0
	v_lshrrev_b32_e32 v92, 16, v37
	v_and_b32_e32 v37, 0xffff, v37
	s_delay_alu instid0(VALU_DEP_2) | instskip(NEXT) | instid1(VALU_DEP_2)
	v_mul_u32_u24_e32 v92, 0x10001, v92
	v_mul_u32_u24_e32 v37, 0x10001, v37
	s_delay_alu instid0(VALU_DEP_1) | instskip(SKIP_3) | instid1(VALU_DEP_3)
	v_pk_fma_f16 v37, v41, v37, v90
	v_lshrrev_b32_e32 v90, 16, v38
	v_and_b32_e32 v38, 0xffff, v38
	v_pk_fma_f16 v41, v41, v92, v91
	v_mul_u32_u24_e32 v90, 0x10001, v90
	s_delay_alu instid0(VALU_DEP_3) | instskip(NEXT) | instid1(VALU_DEP_2)
	v_mul_u32_u24_e32 v38, 0x10001, v38
	v_pk_fma_f16 v41, v42, v90, v41
	s_delay_alu instid0(VALU_DEP_2) | instskip(SKIP_3) | instid1(VALU_DEP_2)
	v_pk_fma_f16 v91, v42, v38, v37
	ds_load_2addr_b32 v[37:38], v77 offset0:192 offset1:224
	v_lshrrev_b32_e32 v42, 16, v39
	v_and_b32_e32 v39, 0xffff, v39
	v_mul_u32_u24_e32 v42, 0x10001, v42
	s_delay_alu instid0(VALU_DEP_2) | instskip(SKIP_1) | instid1(VALU_DEP_1)
	v_mul_u32_u24_e32 v39, 0x10001, v39
	s_wait_dscnt 0x0
	v_pk_fma_f16 v39, v37, v39, v91
	s_delay_alu instid0(VALU_DEP_3) | instskip(SKIP_2) | instid1(VALU_DEP_2)
	v_pk_fma_f16 v37, v37, v42, v41
	v_lshrrev_b32_e32 v41, 16, v40
	v_and_b32_e32 v40, 0xffff, v40
	v_mul_u32_u24_e32 v41, 0x10001, v41
	s_delay_alu instid0(VALU_DEP_2) | instskip(NEXT) | instid1(VALU_DEP_2)
	v_mul_u32_u24_e32 v40, 0x10001, v40
	v_pk_fma_f16 v91, v38, v41, v37
	s_delay_alu instid0(VALU_DEP_2)
	v_pk_fma_f16 v90, v38, v40, v39
	ds_load_2addr_b32 v[41:42], v78 offset1:32
	ds_load_b128 v[37:40], v63 offset:160
	s_wait_dscnt 0x0
	v_lshrrev_b32_e32 v92, 16, v37
	v_and_b32_e32 v37, 0xffff, v37
	s_delay_alu instid0(VALU_DEP_2) | instskip(NEXT) | instid1(VALU_DEP_2)
	v_mul_u32_u24_e32 v92, 0x10001, v92
	v_mul_u32_u24_e32 v37, 0x10001, v37
	s_delay_alu instid0(VALU_DEP_1) | instskip(SKIP_3) | instid1(VALU_DEP_3)
	v_pk_fma_f16 v37, v41, v37, v90
	v_lshrrev_b32_e32 v90, 16, v38
	v_and_b32_e32 v38, 0xffff, v38
	v_pk_fma_f16 v41, v41, v92, v91
	v_mul_u32_u24_e32 v90, 0x10001, v90
	s_delay_alu instid0(VALU_DEP_3) | instskip(NEXT) | instid1(VALU_DEP_2)
	v_mul_u32_u24_e32 v38, 0x10001, v38
	v_pk_fma_f16 v41, v42, v90, v41
	s_delay_alu instid0(VALU_DEP_2) | instskip(SKIP_3) | instid1(VALU_DEP_2)
	v_pk_fma_f16 v91, v42, v38, v37
	ds_load_2addr_b32 v[37:38], v78 offset0:64 offset1:96
	v_lshrrev_b32_e32 v42, 16, v39
	v_and_b32_e32 v39, 0xffff, v39
	v_mul_u32_u24_e32 v42, 0x10001, v42
	s_delay_alu instid0(VALU_DEP_2) | instskip(SKIP_1) | instid1(VALU_DEP_1)
	v_mul_u32_u24_e32 v39, 0x10001, v39
	s_wait_dscnt 0x0
	v_pk_fma_f16 v39, v37, v39, v91
	s_delay_alu instid0(VALU_DEP_3) | instskip(SKIP_2) | instid1(VALU_DEP_2)
	v_pk_fma_f16 v37, v37, v42, v41
	v_lshrrev_b32_e32 v41, 16, v40
	v_and_b32_e32 v40, 0xffff, v40
	v_mul_u32_u24_e32 v41, 0x10001, v41
	s_delay_alu instid0(VALU_DEP_2) | instskip(NEXT) | instid1(VALU_DEP_2)
	v_mul_u32_u24_e32 v40, 0x10001, v40
	v_pk_fma_f16 v91, v38, v41, v37
	s_delay_alu instid0(VALU_DEP_2)
	v_pk_fma_f16 v90, v38, v40, v39
	ds_load_2addr_b32 v[41:42], v78 offset0:128 offset1:160
	ds_load_b128 v[37:40], v63 offset:176
	s_wait_dscnt 0x0
	v_lshrrev_b32_e32 v92, 16, v37
	v_and_b32_e32 v37, 0xffff, v37
	s_delay_alu instid0(VALU_DEP_2) | instskip(NEXT) | instid1(VALU_DEP_2)
	v_mul_u32_u24_e32 v92, 0x10001, v92
	v_mul_u32_u24_e32 v37, 0x10001, v37
	s_delay_alu instid0(VALU_DEP_1) | instskip(SKIP_3) | instid1(VALU_DEP_3)
	v_pk_fma_f16 v37, v41, v37, v90
	v_lshrrev_b32_e32 v90, 16, v38
	v_and_b32_e32 v38, 0xffff, v38
	v_pk_fma_f16 v41, v41, v92, v91
	v_mul_u32_u24_e32 v90, 0x10001, v90
	s_delay_alu instid0(VALU_DEP_3) | instskip(NEXT) | instid1(VALU_DEP_2)
	v_mul_u32_u24_e32 v38, 0x10001, v38
	v_pk_fma_f16 v41, v42, v90, v41
	s_delay_alu instid0(VALU_DEP_2) | instskip(SKIP_3) | instid1(VALU_DEP_2)
	v_pk_fma_f16 v91, v42, v38, v37
	ds_load_2addr_b32 v[37:38], v78 offset0:192 offset1:224
	v_lshrrev_b32_e32 v42, 16, v39
	v_and_b32_e32 v39, 0xffff, v39
	v_mul_u32_u24_e32 v42, 0x10001, v42
	s_delay_alu instid0(VALU_DEP_2) | instskip(SKIP_1) | instid1(VALU_DEP_1)
	v_mul_u32_u24_e32 v39, 0x10001, v39
	s_wait_dscnt 0x0
	v_pk_fma_f16 v39, v37, v39, v91
	s_delay_alu instid0(VALU_DEP_3) | instskip(SKIP_2) | instid1(VALU_DEP_2)
	v_pk_fma_f16 v37, v37, v42, v41
	v_lshrrev_b32_e32 v41, 16, v40
	v_and_b32_e32 v40, 0xffff, v40
	v_mul_u32_u24_e32 v41, 0x10001, v41
	s_delay_alu instid0(VALU_DEP_2) | instskip(NEXT) | instid1(VALU_DEP_2)
	v_mul_u32_u24_e32 v40, 0x10001, v40
	v_pk_fma_f16 v91, v38, v41, v37
	s_delay_alu instid0(VALU_DEP_2)
	v_pk_fma_f16 v90, v38, v40, v39
	ds_load_2addr_b32 v[41:42], v79 offset1:32
	ds_load_b128 v[37:40], v63 offset:192
	s_wait_dscnt 0x0
	v_lshrrev_b32_e32 v92, 16, v37
	v_and_b32_e32 v37, 0xffff, v37
	s_delay_alu instid0(VALU_DEP_2) | instskip(NEXT) | instid1(VALU_DEP_2)
	v_mul_u32_u24_e32 v92, 0x10001, v92
	v_mul_u32_u24_e32 v37, 0x10001, v37
	s_delay_alu instid0(VALU_DEP_1) | instskip(SKIP_3) | instid1(VALU_DEP_3)
	v_pk_fma_f16 v37, v41, v37, v90
	v_lshrrev_b32_e32 v90, 16, v38
	v_and_b32_e32 v38, 0xffff, v38
	v_pk_fma_f16 v41, v41, v92, v91
	v_mul_u32_u24_e32 v90, 0x10001, v90
	s_delay_alu instid0(VALU_DEP_3) | instskip(NEXT) | instid1(VALU_DEP_2)
	v_mul_u32_u24_e32 v38, 0x10001, v38
	v_pk_fma_f16 v41, v42, v90, v41
	s_delay_alu instid0(VALU_DEP_2) | instskip(SKIP_3) | instid1(VALU_DEP_2)
	v_pk_fma_f16 v91, v42, v38, v37
	ds_load_2addr_b32 v[37:38], v79 offset0:64 offset1:96
	v_lshrrev_b32_e32 v42, 16, v39
	v_and_b32_e32 v39, 0xffff, v39
	v_mul_u32_u24_e32 v42, 0x10001, v42
	s_delay_alu instid0(VALU_DEP_2) | instskip(SKIP_1) | instid1(VALU_DEP_1)
	v_mul_u32_u24_e32 v39, 0x10001, v39
	s_wait_dscnt 0x0
	v_pk_fma_f16 v39, v37, v39, v91
	s_delay_alu instid0(VALU_DEP_3) | instskip(SKIP_2) | instid1(VALU_DEP_2)
	v_pk_fma_f16 v37, v37, v42, v41
	v_lshrrev_b32_e32 v41, 16, v40
	v_and_b32_e32 v40, 0xffff, v40
	v_mul_u32_u24_e32 v41, 0x10001, v41
	s_delay_alu instid0(VALU_DEP_2) | instskip(NEXT) | instid1(VALU_DEP_2)
	v_mul_u32_u24_e32 v40, 0x10001, v40
	v_pk_fma_f16 v91, v38, v41, v37
	s_delay_alu instid0(VALU_DEP_2)
	v_pk_fma_f16 v90, v38, v40, v39
	ds_load_2addr_b32 v[41:42], v79 offset0:128 offset1:160
	ds_load_b128 v[37:40], v63 offset:208
	s_wait_dscnt 0x0
	v_lshrrev_b32_e32 v92, 16, v37
	v_and_b32_e32 v37, 0xffff, v37
	s_delay_alu instid0(VALU_DEP_2) | instskip(NEXT) | instid1(VALU_DEP_2)
	v_mul_u32_u24_e32 v92, 0x10001, v92
	v_mul_u32_u24_e32 v37, 0x10001, v37
	s_delay_alu instid0(VALU_DEP_1) | instskip(SKIP_3) | instid1(VALU_DEP_3)
	v_pk_fma_f16 v37, v41, v37, v90
	v_lshrrev_b32_e32 v90, 16, v38
	v_and_b32_e32 v38, 0xffff, v38
	v_pk_fma_f16 v41, v41, v92, v91
	v_mul_u32_u24_e32 v90, 0x10001, v90
	s_delay_alu instid0(VALU_DEP_3) | instskip(NEXT) | instid1(VALU_DEP_2)
	v_mul_u32_u24_e32 v38, 0x10001, v38
	v_pk_fma_f16 v41, v42, v90, v41
	s_delay_alu instid0(VALU_DEP_2) | instskip(SKIP_3) | instid1(VALU_DEP_2)
	v_pk_fma_f16 v91, v42, v38, v37
	ds_load_2addr_b32 v[37:38], v79 offset0:192 offset1:224
	v_lshrrev_b32_e32 v42, 16, v39
	v_and_b32_e32 v39, 0xffff, v39
	v_mul_u32_u24_e32 v42, 0x10001, v42
	s_delay_alu instid0(VALU_DEP_2) | instskip(SKIP_1) | instid1(VALU_DEP_1)
	v_mul_u32_u24_e32 v39, 0x10001, v39
	s_wait_dscnt 0x0
	v_pk_fma_f16 v39, v37, v39, v91
	s_delay_alu instid0(VALU_DEP_3) | instskip(SKIP_2) | instid1(VALU_DEP_2)
	v_pk_fma_f16 v37, v37, v42, v41
	v_lshrrev_b32_e32 v41, 16, v40
	v_and_b32_e32 v40, 0xffff, v40
	v_mul_u32_u24_e32 v41, 0x10001, v41
	s_delay_alu instid0(VALU_DEP_2) | instskip(NEXT) | instid1(VALU_DEP_2)
	v_mul_u32_u24_e32 v40, 0x10001, v40
	v_pk_fma_f16 v91, v38, v41, v37
	s_delay_alu instid0(VALU_DEP_2)
	v_pk_fma_f16 v90, v38, v40, v39
	ds_load_2addr_b32 v[41:42], v80 offset1:32
	ds_load_b128 v[37:40], v63 offset:224
	s_wait_dscnt 0x0
	v_lshrrev_b32_e32 v92, 16, v37
	v_and_b32_e32 v37, 0xffff, v37
	s_delay_alu instid0(VALU_DEP_2) | instskip(NEXT) | instid1(VALU_DEP_2)
	v_mul_u32_u24_e32 v92, 0x10001, v92
	v_mul_u32_u24_e32 v37, 0x10001, v37
	s_delay_alu instid0(VALU_DEP_1) | instskip(SKIP_3) | instid1(VALU_DEP_3)
	v_pk_fma_f16 v37, v41, v37, v90
	v_lshrrev_b32_e32 v90, 16, v38
	v_and_b32_e32 v38, 0xffff, v38
	v_pk_fma_f16 v41, v41, v92, v91
	v_mul_u32_u24_e32 v90, 0x10001, v90
	s_delay_alu instid0(VALU_DEP_3) | instskip(NEXT) | instid1(VALU_DEP_2)
	v_mul_u32_u24_e32 v38, 0x10001, v38
	v_pk_fma_f16 v41, v42, v90, v41
	s_delay_alu instid0(VALU_DEP_2) | instskip(SKIP_3) | instid1(VALU_DEP_2)
	v_pk_fma_f16 v91, v42, v38, v37
	ds_load_2addr_b32 v[37:38], v80 offset0:64 offset1:96
	v_lshrrev_b32_e32 v42, 16, v39
	v_and_b32_e32 v39, 0xffff, v39
	v_mul_u32_u24_e32 v42, 0x10001, v42
	s_delay_alu instid0(VALU_DEP_2) | instskip(SKIP_1) | instid1(VALU_DEP_1)
	v_mul_u32_u24_e32 v39, 0x10001, v39
	s_wait_dscnt 0x0
	v_pk_fma_f16 v39, v37, v39, v91
	s_delay_alu instid0(VALU_DEP_3) | instskip(SKIP_2) | instid1(VALU_DEP_2)
	v_pk_fma_f16 v37, v37, v42, v41
	v_lshrrev_b32_e32 v41, 16, v40
	v_and_b32_e32 v40, 0xffff, v40
	v_mul_u32_u24_e32 v41, 0x10001, v41
	s_delay_alu instid0(VALU_DEP_2) | instskip(NEXT) | instid1(VALU_DEP_2)
	v_mul_u32_u24_e32 v40, 0x10001, v40
	v_pk_fma_f16 v91, v38, v41, v37
	s_delay_alu instid0(VALU_DEP_2)
	v_pk_fma_f16 v90, v38, v40, v39
	ds_load_2addr_b32 v[41:42], v80 offset0:128 offset1:160
	ds_load_b128 v[37:40], v63 offset:240
	s_wait_dscnt 0x0
	v_lshrrev_b32_e32 v92, 16, v37
	v_and_b32_e32 v37, 0xffff, v37
	s_delay_alu instid0(VALU_DEP_2) | instskip(NEXT) | instid1(VALU_DEP_2)
	v_mul_u32_u24_e32 v92, 0x10001, v92
	v_mul_u32_u24_e32 v37, 0x10001, v37
	s_delay_alu instid0(VALU_DEP_1) | instskip(SKIP_3) | instid1(VALU_DEP_3)
	v_pk_fma_f16 v37, v41, v37, v90
	v_lshrrev_b32_e32 v90, 16, v38
	v_and_b32_e32 v38, 0xffff, v38
	v_pk_fma_f16 v41, v41, v92, v91
	v_mul_u32_u24_e32 v90, 0x10001, v90
	s_delay_alu instid0(VALU_DEP_3) | instskip(NEXT) | instid1(VALU_DEP_2)
	v_mul_u32_u24_e32 v38, 0x10001, v38
	v_pk_fma_f16 v41, v42, v90, v41
	s_delay_alu instid0(VALU_DEP_2) | instskip(SKIP_3) | instid1(VALU_DEP_2)
	v_pk_fma_f16 v91, v42, v38, v37
	ds_load_2addr_b32 v[37:38], v80 offset0:192 offset1:224
	v_lshrrev_b32_e32 v42, 16, v39
	v_and_b32_e32 v39, 0xffff, v39
	v_mul_u32_u24_e32 v42, 0x10001, v42
	s_delay_alu instid0(VALU_DEP_2) | instskip(SKIP_1) | instid1(VALU_DEP_1)
	v_mul_u32_u24_e32 v39, 0x10001, v39
	s_wait_dscnt 0x0
	v_pk_fma_f16 v39, v37, v39, v91
	s_delay_alu instid0(VALU_DEP_3) | instskip(SKIP_2) | instid1(VALU_DEP_2)
	v_pk_fma_f16 v37, v37, v42, v41
	v_lshrrev_b32_e32 v41, 16, v40
	v_and_b32_e32 v40, 0xffff, v40
	v_mul_u32_u24_e32 v41, 0x10001, v41
	s_delay_alu instid0(VALU_DEP_2) | instskip(NEXT) | instid1(VALU_DEP_2)
	v_mul_u32_u24_e32 v40, 0x10001, v40
	v_pk_fma_f16 v91, v38, v41, v37
	s_delay_alu instid0(VALU_DEP_2)
	v_pk_fma_f16 v90, v38, v40, v39
	ds_load_2addr_b32 v[41:42], v81 offset1:32
	ds_load_b128 v[37:40], v63 offset:256
	s_wait_dscnt 0x0
	v_lshrrev_b32_e32 v92, 16, v37
	v_and_b32_e32 v37, 0xffff, v37
	s_delay_alu instid0(VALU_DEP_2) | instskip(NEXT) | instid1(VALU_DEP_2)
	v_mul_u32_u24_e32 v92, 0x10001, v92
	v_mul_u32_u24_e32 v37, 0x10001, v37
	s_delay_alu instid0(VALU_DEP_1) | instskip(SKIP_3) | instid1(VALU_DEP_3)
	v_pk_fma_f16 v37, v41, v37, v90
	v_lshrrev_b32_e32 v90, 16, v38
	v_and_b32_e32 v38, 0xffff, v38
	v_pk_fma_f16 v41, v41, v92, v91
	v_mul_u32_u24_e32 v90, 0x10001, v90
	s_delay_alu instid0(VALU_DEP_3) | instskip(NEXT) | instid1(VALU_DEP_2)
	v_mul_u32_u24_e32 v38, 0x10001, v38
	v_pk_fma_f16 v41, v42, v90, v41
	s_delay_alu instid0(VALU_DEP_2) | instskip(SKIP_3) | instid1(VALU_DEP_2)
	v_pk_fma_f16 v91, v42, v38, v37
	ds_load_2addr_b32 v[37:38], v81 offset0:64 offset1:96
	v_lshrrev_b32_e32 v42, 16, v39
	v_and_b32_e32 v39, 0xffff, v39
	v_mul_u32_u24_e32 v42, 0x10001, v42
	s_delay_alu instid0(VALU_DEP_2) | instskip(SKIP_1) | instid1(VALU_DEP_1)
	v_mul_u32_u24_e32 v39, 0x10001, v39
	s_wait_dscnt 0x0
	v_pk_fma_f16 v39, v37, v39, v91
	s_delay_alu instid0(VALU_DEP_3) | instskip(SKIP_2) | instid1(VALU_DEP_2)
	v_pk_fma_f16 v37, v37, v42, v41
	v_lshrrev_b32_e32 v41, 16, v40
	v_and_b32_e32 v40, 0xffff, v40
	v_mul_u32_u24_e32 v41, 0x10001, v41
	s_delay_alu instid0(VALU_DEP_2) | instskip(NEXT) | instid1(VALU_DEP_2)
	v_mul_u32_u24_e32 v40, 0x10001, v40
	v_pk_fma_f16 v91, v38, v41, v37
	s_delay_alu instid0(VALU_DEP_2)
	v_pk_fma_f16 v90, v38, v40, v39
	ds_load_2addr_b32 v[41:42], v81 offset0:128 offset1:160
	ds_load_b128 v[37:40], v63 offset:272
	s_wait_dscnt 0x0
	v_lshrrev_b32_e32 v92, 16, v37
	v_and_b32_e32 v37, 0xffff, v37
	s_delay_alu instid0(VALU_DEP_2) | instskip(NEXT) | instid1(VALU_DEP_2)
	v_mul_u32_u24_e32 v92, 0x10001, v92
	v_mul_u32_u24_e32 v37, 0x10001, v37
	s_delay_alu instid0(VALU_DEP_1) | instskip(SKIP_3) | instid1(VALU_DEP_3)
	v_pk_fma_f16 v37, v41, v37, v90
	v_lshrrev_b32_e32 v90, 16, v38
	v_and_b32_e32 v38, 0xffff, v38
	v_pk_fma_f16 v41, v41, v92, v91
	v_mul_u32_u24_e32 v90, 0x10001, v90
	s_delay_alu instid0(VALU_DEP_3) | instskip(NEXT) | instid1(VALU_DEP_2)
	v_mul_u32_u24_e32 v38, 0x10001, v38
	v_pk_fma_f16 v41, v42, v90, v41
	s_delay_alu instid0(VALU_DEP_2) | instskip(SKIP_3) | instid1(VALU_DEP_2)
	v_pk_fma_f16 v91, v42, v38, v37
	ds_load_2addr_b32 v[37:38], v81 offset0:192 offset1:224
	v_lshrrev_b32_e32 v42, 16, v39
	v_and_b32_e32 v39, 0xffff, v39
	v_mul_u32_u24_e32 v42, 0x10001, v42
	s_delay_alu instid0(VALU_DEP_2) | instskip(SKIP_1) | instid1(VALU_DEP_1)
	v_mul_u32_u24_e32 v39, 0x10001, v39
	s_wait_dscnt 0x0
	v_pk_fma_f16 v39, v37, v39, v91
	s_delay_alu instid0(VALU_DEP_3) | instskip(SKIP_2) | instid1(VALU_DEP_2)
	v_pk_fma_f16 v37, v37, v42, v41
	v_lshrrev_b32_e32 v41, 16, v40
	v_and_b32_e32 v40, 0xffff, v40
	v_mul_u32_u24_e32 v41, 0x10001, v41
	s_delay_alu instid0(VALU_DEP_2) | instskip(NEXT) | instid1(VALU_DEP_2)
	v_mul_u32_u24_e32 v40, 0x10001, v40
	v_pk_fma_f16 v91, v38, v41, v37
	s_delay_alu instid0(VALU_DEP_2)
	v_pk_fma_f16 v90, v38, v40, v39
	ds_load_2addr_b32 v[41:42], v82 offset1:32
	ds_load_b128 v[37:40], v63 offset:288
	s_wait_dscnt 0x0
	v_lshrrev_b32_e32 v92, 16, v37
	v_and_b32_e32 v37, 0xffff, v37
	s_delay_alu instid0(VALU_DEP_2) | instskip(NEXT) | instid1(VALU_DEP_2)
	v_mul_u32_u24_e32 v92, 0x10001, v92
	v_mul_u32_u24_e32 v37, 0x10001, v37
	s_delay_alu instid0(VALU_DEP_1) | instskip(SKIP_3) | instid1(VALU_DEP_3)
	v_pk_fma_f16 v37, v41, v37, v90
	v_lshrrev_b32_e32 v90, 16, v38
	v_and_b32_e32 v38, 0xffff, v38
	v_pk_fma_f16 v41, v41, v92, v91
	v_mul_u32_u24_e32 v90, 0x10001, v90
	s_delay_alu instid0(VALU_DEP_3) | instskip(NEXT) | instid1(VALU_DEP_2)
	v_mul_u32_u24_e32 v38, 0x10001, v38
	v_pk_fma_f16 v41, v42, v90, v41
	s_delay_alu instid0(VALU_DEP_2) | instskip(SKIP_3) | instid1(VALU_DEP_2)
	v_pk_fma_f16 v91, v42, v38, v37
	ds_load_2addr_b32 v[37:38], v82 offset0:64 offset1:96
	v_lshrrev_b32_e32 v42, 16, v39
	v_and_b32_e32 v39, 0xffff, v39
	v_mul_u32_u24_e32 v42, 0x10001, v42
	s_delay_alu instid0(VALU_DEP_2) | instskip(SKIP_1) | instid1(VALU_DEP_1)
	v_mul_u32_u24_e32 v39, 0x10001, v39
	s_wait_dscnt 0x0
	v_pk_fma_f16 v39, v37, v39, v91
	s_delay_alu instid0(VALU_DEP_3) | instskip(SKIP_2) | instid1(VALU_DEP_2)
	v_pk_fma_f16 v37, v37, v42, v41
	v_lshrrev_b32_e32 v41, 16, v40
	v_and_b32_e32 v40, 0xffff, v40
	v_mul_u32_u24_e32 v41, 0x10001, v41
	s_delay_alu instid0(VALU_DEP_2) | instskip(NEXT) | instid1(VALU_DEP_2)
	v_mul_u32_u24_e32 v40, 0x10001, v40
	v_pk_fma_f16 v91, v38, v41, v37
	s_delay_alu instid0(VALU_DEP_2)
	v_pk_fma_f16 v90, v38, v40, v39
	ds_load_2addr_b32 v[41:42], v82 offset0:128 offset1:160
	ds_load_b128 v[37:40], v63 offset:304
	s_wait_dscnt 0x0
	v_lshrrev_b32_e32 v92, 16, v37
	v_and_b32_e32 v37, 0xffff, v37
	s_delay_alu instid0(VALU_DEP_2) | instskip(NEXT) | instid1(VALU_DEP_2)
	v_mul_u32_u24_e32 v92, 0x10001, v92
	v_mul_u32_u24_e32 v37, 0x10001, v37
	s_delay_alu instid0(VALU_DEP_1) | instskip(SKIP_3) | instid1(VALU_DEP_3)
	v_pk_fma_f16 v37, v41, v37, v90
	v_lshrrev_b32_e32 v90, 16, v38
	v_and_b32_e32 v38, 0xffff, v38
	v_pk_fma_f16 v41, v41, v92, v91
	v_mul_u32_u24_e32 v90, 0x10001, v90
	s_delay_alu instid0(VALU_DEP_3) | instskip(NEXT) | instid1(VALU_DEP_2)
	v_mul_u32_u24_e32 v38, 0x10001, v38
	v_pk_fma_f16 v41, v42, v90, v41
	s_delay_alu instid0(VALU_DEP_2) | instskip(SKIP_3) | instid1(VALU_DEP_2)
	v_pk_fma_f16 v91, v42, v38, v37
	ds_load_2addr_b32 v[37:38], v82 offset0:192 offset1:224
	v_lshrrev_b32_e32 v42, 16, v39
	v_and_b32_e32 v39, 0xffff, v39
	v_mul_u32_u24_e32 v42, 0x10001, v42
	s_delay_alu instid0(VALU_DEP_2) | instskip(SKIP_1) | instid1(VALU_DEP_1)
	v_mul_u32_u24_e32 v39, 0x10001, v39
	s_wait_dscnt 0x0
	v_pk_fma_f16 v39, v37, v39, v91
	s_delay_alu instid0(VALU_DEP_3) | instskip(SKIP_2) | instid1(VALU_DEP_2)
	v_pk_fma_f16 v37, v37, v42, v41
	v_lshrrev_b32_e32 v41, 16, v40
	v_and_b32_e32 v40, 0xffff, v40
	v_mul_u32_u24_e32 v41, 0x10001, v41
	s_delay_alu instid0(VALU_DEP_2) | instskip(NEXT) | instid1(VALU_DEP_2)
	v_mul_u32_u24_e32 v40, 0x10001, v40
	v_pk_fma_f16 v91, v38, v41, v37
	s_delay_alu instid0(VALU_DEP_2)
	v_pk_fma_f16 v90, v38, v40, v39
	ds_load_2addr_b32 v[41:42], v83 offset1:32
	ds_load_b128 v[37:40], v63 offset:320
	s_wait_dscnt 0x0
	v_lshrrev_b32_e32 v92, 16, v37
	v_and_b32_e32 v37, 0xffff, v37
	s_delay_alu instid0(VALU_DEP_2) | instskip(NEXT) | instid1(VALU_DEP_2)
	v_mul_u32_u24_e32 v92, 0x10001, v92
	v_mul_u32_u24_e32 v37, 0x10001, v37
	s_delay_alu instid0(VALU_DEP_1) | instskip(SKIP_3) | instid1(VALU_DEP_3)
	v_pk_fma_f16 v37, v41, v37, v90
	v_lshrrev_b32_e32 v90, 16, v38
	v_and_b32_e32 v38, 0xffff, v38
	v_pk_fma_f16 v41, v41, v92, v91
	v_mul_u32_u24_e32 v90, 0x10001, v90
	s_delay_alu instid0(VALU_DEP_3) | instskip(NEXT) | instid1(VALU_DEP_2)
	v_mul_u32_u24_e32 v38, 0x10001, v38
	v_pk_fma_f16 v41, v42, v90, v41
	s_delay_alu instid0(VALU_DEP_2) | instskip(SKIP_3) | instid1(VALU_DEP_2)
	v_pk_fma_f16 v91, v42, v38, v37
	ds_load_2addr_b32 v[37:38], v83 offset0:64 offset1:96
	v_lshrrev_b32_e32 v42, 16, v39
	v_and_b32_e32 v39, 0xffff, v39
	v_mul_u32_u24_e32 v42, 0x10001, v42
	s_delay_alu instid0(VALU_DEP_2) | instskip(SKIP_1) | instid1(VALU_DEP_1)
	v_mul_u32_u24_e32 v39, 0x10001, v39
	s_wait_dscnt 0x0
	v_pk_fma_f16 v39, v37, v39, v91
	s_delay_alu instid0(VALU_DEP_3) | instskip(SKIP_2) | instid1(VALU_DEP_2)
	v_pk_fma_f16 v37, v37, v42, v41
	v_lshrrev_b32_e32 v41, 16, v40
	v_and_b32_e32 v40, 0xffff, v40
	v_mul_u32_u24_e32 v41, 0x10001, v41
	s_delay_alu instid0(VALU_DEP_2) | instskip(NEXT) | instid1(VALU_DEP_2)
	v_mul_u32_u24_e32 v40, 0x10001, v40
	v_pk_fma_f16 v91, v38, v41, v37
	s_delay_alu instid0(VALU_DEP_2)
	v_pk_fma_f16 v90, v38, v40, v39
	ds_load_2addr_b32 v[41:42], v83 offset0:128 offset1:160
	ds_load_b128 v[37:40], v63 offset:336
	s_wait_dscnt 0x0
	v_lshrrev_b32_e32 v92, 16, v37
	v_and_b32_e32 v37, 0xffff, v37
	s_delay_alu instid0(VALU_DEP_2) | instskip(NEXT) | instid1(VALU_DEP_2)
	v_mul_u32_u24_e32 v92, 0x10001, v92
	v_mul_u32_u24_e32 v37, 0x10001, v37
	s_delay_alu instid0(VALU_DEP_1) | instskip(SKIP_3) | instid1(VALU_DEP_3)
	v_pk_fma_f16 v37, v41, v37, v90
	v_lshrrev_b32_e32 v90, 16, v38
	v_and_b32_e32 v38, 0xffff, v38
	v_pk_fma_f16 v41, v41, v92, v91
	v_mul_u32_u24_e32 v90, 0x10001, v90
	s_delay_alu instid0(VALU_DEP_3) | instskip(NEXT) | instid1(VALU_DEP_2)
	v_mul_u32_u24_e32 v38, 0x10001, v38
	v_pk_fma_f16 v41, v42, v90, v41
	s_delay_alu instid0(VALU_DEP_2) | instskip(SKIP_3) | instid1(VALU_DEP_2)
	v_pk_fma_f16 v91, v42, v38, v37
	ds_load_2addr_b32 v[37:38], v83 offset0:192 offset1:224
	v_lshrrev_b32_e32 v42, 16, v39
	v_and_b32_e32 v39, 0xffff, v39
	v_mul_u32_u24_e32 v42, 0x10001, v42
	s_delay_alu instid0(VALU_DEP_2) | instskip(SKIP_1) | instid1(VALU_DEP_1)
	v_mul_u32_u24_e32 v39, 0x10001, v39
	s_wait_dscnt 0x0
	v_pk_fma_f16 v39, v37, v39, v91
	s_delay_alu instid0(VALU_DEP_3) | instskip(SKIP_2) | instid1(VALU_DEP_2)
	v_pk_fma_f16 v37, v37, v42, v41
	v_lshrrev_b32_e32 v41, 16, v40
	v_and_b32_e32 v40, 0xffff, v40
	v_mul_u32_u24_e32 v41, 0x10001, v41
	s_delay_alu instid0(VALU_DEP_2) | instskip(NEXT) | instid1(VALU_DEP_2)
	v_mul_u32_u24_e32 v40, 0x10001, v40
	v_pk_fma_f16 v91, v38, v41, v37
	s_delay_alu instid0(VALU_DEP_2)
	v_pk_fma_f16 v90, v38, v40, v39
	ds_load_2addr_b32 v[41:42], v84 offset1:32
	ds_load_b128 v[37:40], v63 offset:352
	s_wait_dscnt 0x0
	v_lshrrev_b32_e32 v92, 16, v37
	v_and_b32_e32 v37, 0xffff, v37
	s_delay_alu instid0(VALU_DEP_2) | instskip(NEXT) | instid1(VALU_DEP_2)
	v_mul_u32_u24_e32 v92, 0x10001, v92
	v_mul_u32_u24_e32 v37, 0x10001, v37
	s_delay_alu instid0(VALU_DEP_1) | instskip(SKIP_3) | instid1(VALU_DEP_3)
	v_pk_fma_f16 v37, v41, v37, v90
	v_lshrrev_b32_e32 v90, 16, v38
	v_and_b32_e32 v38, 0xffff, v38
	v_pk_fma_f16 v41, v41, v92, v91
	v_mul_u32_u24_e32 v90, 0x10001, v90
	s_delay_alu instid0(VALU_DEP_3) | instskip(NEXT) | instid1(VALU_DEP_2)
	v_mul_u32_u24_e32 v38, 0x10001, v38
	v_pk_fma_f16 v41, v42, v90, v41
	s_delay_alu instid0(VALU_DEP_2) | instskip(SKIP_3) | instid1(VALU_DEP_2)
	v_pk_fma_f16 v91, v42, v38, v37
	ds_load_2addr_b32 v[37:38], v84 offset0:64 offset1:96
	v_lshrrev_b32_e32 v42, 16, v39
	v_and_b32_e32 v39, 0xffff, v39
	v_mul_u32_u24_e32 v42, 0x10001, v42
	s_delay_alu instid0(VALU_DEP_2) | instskip(SKIP_1) | instid1(VALU_DEP_1)
	v_mul_u32_u24_e32 v39, 0x10001, v39
	s_wait_dscnt 0x0
	v_pk_fma_f16 v39, v37, v39, v91
	s_delay_alu instid0(VALU_DEP_3) | instskip(SKIP_2) | instid1(VALU_DEP_2)
	v_pk_fma_f16 v37, v37, v42, v41
	v_lshrrev_b32_e32 v41, 16, v40
	v_and_b32_e32 v40, 0xffff, v40
	v_mul_u32_u24_e32 v41, 0x10001, v41
	s_delay_alu instid0(VALU_DEP_2) | instskip(NEXT) | instid1(VALU_DEP_2)
	v_mul_u32_u24_e32 v40, 0x10001, v40
	v_pk_fma_f16 v91, v38, v41, v37
	s_delay_alu instid0(VALU_DEP_2)
	v_pk_fma_f16 v90, v38, v40, v39
	ds_load_2addr_b32 v[41:42], v84 offset0:128 offset1:160
	ds_load_b128 v[37:40], v63 offset:368
	s_wait_dscnt 0x0
	v_lshrrev_b32_e32 v92, 16, v37
	v_and_b32_e32 v37, 0xffff, v37
	s_delay_alu instid0(VALU_DEP_2) | instskip(NEXT) | instid1(VALU_DEP_2)
	v_mul_u32_u24_e32 v92, 0x10001, v92
	v_mul_u32_u24_e32 v37, 0x10001, v37
	s_delay_alu instid0(VALU_DEP_1) | instskip(SKIP_3) | instid1(VALU_DEP_3)
	v_pk_fma_f16 v37, v41, v37, v90
	v_lshrrev_b32_e32 v90, 16, v38
	v_and_b32_e32 v38, 0xffff, v38
	v_pk_fma_f16 v41, v41, v92, v91
	v_mul_u32_u24_e32 v90, 0x10001, v90
	s_delay_alu instid0(VALU_DEP_3) | instskip(NEXT) | instid1(VALU_DEP_2)
	v_mul_u32_u24_e32 v38, 0x10001, v38
	v_pk_fma_f16 v41, v42, v90, v41
	s_delay_alu instid0(VALU_DEP_2) | instskip(SKIP_3) | instid1(VALU_DEP_2)
	v_pk_fma_f16 v91, v42, v38, v37
	ds_load_2addr_b32 v[37:38], v84 offset0:192 offset1:224
	v_lshrrev_b32_e32 v42, 16, v39
	v_and_b32_e32 v39, 0xffff, v39
	v_mul_u32_u24_e32 v42, 0x10001, v42
	s_delay_alu instid0(VALU_DEP_2) | instskip(SKIP_1) | instid1(VALU_DEP_1)
	v_mul_u32_u24_e32 v39, 0x10001, v39
	s_wait_dscnt 0x0
	v_pk_fma_f16 v39, v37, v39, v91
	s_delay_alu instid0(VALU_DEP_3) | instskip(SKIP_2) | instid1(VALU_DEP_2)
	v_pk_fma_f16 v37, v37, v42, v41
	v_lshrrev_b32_e32 v41, 16, v40
	v_and_b32_e32 v40, 0xffff, v40
	v_mul_u32_u24_e32 v41, 0x10001, v41
	s_delay_alu instid0(VALU_DEP_2) | instskip(NEXT) | instid1(VALU_DEP_2)
	v_mul_u32_u24_e32 v40, 0x10001, v40
	v_pk_fma_f16 v91, v38, v41, v37
	s_delay_alu instid0(VALU_DEP_2)
	v_pk_fma_f16 v90, v38, v40, v39
	ds_load_2addr_b32 v[41:42], v85 offset1:32
	ds_load_b128 v[37:40], v63 offset:384
	s_wait_dscnt 0x0
	v_lshrrev_b32_e32 v92, 16, v37
	v_and_b32_e32 v37, 0xffff, v37
	s_delay_alu instid0(VALU_DEP_2) | instskip(NEXT) | instid1(VALU_DEP_2)
	v_mul_u32_u24_e32 v92, 0x10001, v92
	v_mul_u32_u24_e32 v37, 0x10001, v37
	s_delay_alu instid0(VALU_DEP_1) | instskip(SKIP_3) | instid1(VALU_DEP_3)
	v_pk_fma_f16 v37, v41, v37, v90
	v_lshrrev_b32_e32 v90, 16, v38
	v_and_b32_e32 v38, 0xffff, v38
	v_pk_fma_f16 v41, v41, v92, v91
	v_mul_u32_u24_e32 v90, 0x10001, v90
	s_delay_alu instid0(VALU_DEP_3) | instskip(NEXT) | instid1(VALU_DEP_2)
	v_mul_u32_u24_e32 v38, 0x10001, v38
	v_pk_fma_f16 v41, v42, v90, v41
	s_delay_alu instid0(VALU_DEP_2) | instskip(SKIP_3) | instid1(VALU_DEP_2)
	v_pk_fma_f16 v91, v42, v38, v37
	ds_load_2addr_b32 v[37:38], v85 offset0:64 offset1:96
	v_lshrrev_b32_e32 v42, 16, v39
	v_and_b32_e32 v39, 0xffff, v39
	v_mul_u32_u24_e32 v42, 0x10001, v42
	s_delay_alu instid0(VALU_DEP_2) | instskip(SKIP_1) | instid1(VALU_DEP_1)
	v_mul_u32_u24_e32 v39, 0x10001, v39
	s_wait_dscnt 0x0
	v_pk_fma_f16 v39, v37, v39, v91
	s_delay_alu instid0(VALU_DEP_3) | instskip(SKIP_2) | instid1(VALU_DEP_2)
	v_pk_fma_f16 v37, v37, v42, v41
	v_lshrrev_b32_e32 v41, 16, v40
	v_and_b32_e32 v40, 0xffff, v40
	v_mul_u32_u24_e32 v41, 0x10001, v41
	s_delay_alu instid0(VALU_DEP_2) | instskip(NEXT) | instid1(VALU_DEP_2)
	v_mul_u32_u24_e32 v40, 0x10001, v40
	v_pk_fma_f16 v91, v38, v41, v37
	s_delay_alu instid0(VALU_DEP_2)
	v_pk_fma_f16 v90, v38, v40, v39
	ds_load_2addr_b32 v[41:42], v85 offset0:128 offset1:160
	ds_load_b128 v[37:40], v63 offset:400
	s_wait_dscnt 0x0
	v_lshrrev_b32_e32 v92, 16, v37
	v_and_b32_e32 v37, 0xffff, v37
	s_delay_alu instid0(VALU_DEP_2) | instskip(NEXT) | instid1(VALU_DEP_2)
	v_mul_u32_u24_e32 v92, 0x10001, v92
	v_mul_u32_u24_e32 v37, 0x10001, v37
	s_delay_alu instid0(VALU_DEP_1) | instskip(SKIP_3) | instid1(VALU_DEP_3)
	v_pk_fma_f16 v37, v41, v37, v90
	v_lshrrev_b32_e32 v90, 16, v38
	v_and_b32_e32 v38, 0xffff, v38
	v_pk_fma_f16 v41, v41, v92, v91
	v_mul_u32_u24_e32 v90, 0x10001, v90
	s_delay_alu instid0(VALU_DEP_3) | instskip(NEXT) | instid1(VALU_DEP_2)
	v_mul_u32_u24_e32 v38, 0x10001, v38
	v_pk_fma_f16 v41, v42, v90, v41
	s_delay_alu instid0(VALU_DEP_2) | instskip(SKIP_3) | instid1(VALU_DEP_2)
	v_pk_fma_f16 v91, v42, v38, v37
	ds_load_2addr_b32 v[37:38], v85 offset0:192 offset1:224
	v_lshrrev_b32_e32 v42, 16, v39
	v_and_b32_e32 v39, 0xffff, v39
	v_mul_u32_u24_e32 v42, 0x10001, v42
	s_delay_alu instid0(VALU_DEP_2) | instskip(SKIP_1) | instid1(VALU_DEP_1)
	v_mul_u32_u24_e32 v39, 0x10001, v39
	s_wait_dscnt 0x0
	v_pk_fma_f16 v39, v37, v39, v91
	s_delay_alu instid0(VALU_DEP_3) | instskip(SKIP_2) | instid1(VALU_DEP_2)
	v_pk_fma_f16 v37, v37, v42, v41
	v_lshrrev_b32_e32 v41, 16, v40
	v_and_b32_e32 v40, 0xffff, v40
	v_mul_u32_u24_e32 v41, 0x10001, v41
	s_delay_alu instid0(VALU_DEP_2) | instskip(NEXT) | instid1(VALU_DEP_2)
	v_mul_u32_u24_e32 v40, 0x10001, v40
	v_pk_fma_f16 v91, v38, v41, v37
	s_delay_alu instid0(VALU_DEP_2)
	v_pk_fma_f16 v90, v38, v40, v39
	ds_load_2addr_b32 v[41:42], v86 offset1:32
	ds_load_b128 v[37:40], v63 offset:416
	s_wait_dscnt 0x0
	v_lshrrev_b32_e32 v92, 16, v37
	v_and_b32_e32 v37, 0xffff, v37
	s_delay_alu instid0(VALU_DEP_2) | instskip(NEXT) | instid1(VALU_DEP_2)
	v_mul_u32_u24_e32 v92, 0x10001, v92
	v_mul_u32_u24_e32 v37, 0x10001, v37
	s_delay_alu instid0(VALU_DEP_1) | instskip(SKIP_3) | instid1(VALU_DEP_3)
	v_pk_fma_f16 v37, v41, v37, v90
	v_lshrrev_b32_e32 v90, 16, v38
	v_and_b32_e32 v38, 0xffff, v38
	v_pk_fma_f16 v41, v41, v92, v91
	v_mul_u32_u24_e32 v90, 0x10001, v90
	s_delay_alu instid0(VALU_DEP_3) | instskip(NEXT) | instid1(VALU_DEP_2)
	v_mul_u32_u24_e32 v38, 0x10001, v38
	v_pk_fma_f16 v41, v42, v90, v41
	s_delay_alu instid0(VALU_DEP_2) | instskip(SKIP_3) | instid1(VALU_DEP_2)
	v_pk_fma_f16 v91, v42, v38, v37
	ds_load_2addr_b32 v[37:38], v86 offset0:64 offset1:96
	v_lshrrev_b32_e32 v42, 16, v39
	v_and_b32_e32 v39, 0xffff, v39
	v_mul_u32_u24_e32 v42, 0x10001, v42
	s_delay_alu instid0(VALU_DEP_2) | instskip(SKIP_1) | instid1(VALU_DEP_1)
	v_mul_u32_u24_e32 v39, 0x10001, v39
	s_wait_dscnt 0x0
	v_pk_fma_f16 v39, v37, v39, v91
	s_delay_alu instid0(VALU_DEP_3) | instskip(SKIP_2) | instid1(VALU_DEP_2)
	v_pk_fma_f16 v37, v37, v42, v41
	v_lshrrev_b32_e32 v41, 16, v40
	v_and_b32_e32 v40, 0xffff, v40
	v_mul_u32_u24_e32 v41, 0x10001, v41
	s_delay_alu instid0(VALU_DEP_2) | instskip(NEXT) | instid1(VALU_DEP_2)
	v_mul_u32_u24_e32 v40, 0x10001, v40
	v_pk_fma_f16 v91, v38, v41, v37
	s_delay_alu instid0(VALU_DEP_2)
	v_pk_fma_f16 v90, v38, v40, v39
	ds_load_2addr_b32 v[41:42], v86 offset0:128 offset1:160
	ds_load_b128 v[37:40], v63 offset:432
	s_wait_dscnt 0x0
	v_lshrrev_b32_e32 v92, 16, v37
	v_and_b32_e32 v37, 0xffff, v37
	s_delay_alu instid0(VALU_DEP_2) | instskip(NEXT) | instid1(VALU_DEP_2)
	v_mul_u32_u24_e32 v92, 0x10001, v92
	v_mul_u32_u24_e32 v37, 0x10001, v37
	s_delay_alu instid0(VALU_DEP_1) | instskip(SKIP_3) | instid1(VALU_DEP_3)
	v_pk_fma_f16 v37, v41, v37, v90
	v_lshrrev_b32_e32 v90, 16, v38
	v_and_b32_e32 v38, 0xffff, v38
	v_pk_fma_f16 v41, v41, v92, v91
	v_mul_u32_u24_e32 v90, 0x10001, v90
	s_delay_alu instid0(VALU_DEP_3) | instskip(NEXT) | instid1(VALU_DEP_2)
	v_mul_u32_u24_e32 v38, 0x10001, v38
	v_pk_fma_f16 v41, v42, v90, v41
	s_delay_alu instid0(VALU_DEP_2) | instskip(SKIP_3) | instid1(VALU_DEP_2)
	v_pk_fma_f16 v91, v42, v38, v37
	ds_load_2addr_b32 v[37:38], v86 offset0:192 offset1:224
	v_lshrrev_b32_e32 v42, 16, v39
	v_and_b32_e32 v39, 0xffff, v39
	v_mul_u32_u24_e32 v42, 0x10001, v42
	s_delay_alu instid0(VALU_DEP_2) | instskip(SKIP_1) | instid1(VALU_DEP_1)
	v_mul_u32_u24_e32 v39, 0x10001, v39
	s_wait_dscnt 0x0
	v_pk_fma_f16 v39, v37, v39, v91
	s_delay_alu instid0(VALU_DEP_3) | instskip(SKIP_2) | instid1(VALU_DEP_2)
	v_pk_fma_f16 v37, v37, v42, v41
	v_lshrrev_b32_e32 v41, 16, v40
	v_and_b32_e32 v40, 0xffff, v40
	v_mul_u32_u24_e32 v41, 0x10001, v41
	s_delay_alu instid0(VALU_DEP_2) | instskip(NEXT) | instid1(VALU_DEP_2)
	v_mul_u32_u24_e32 v40, 0x10001, v40
	v_pk_fma_f16 v91, v38, v41, v37
	s_delay_alu instid0(VALU_DEP_2)
	v_pk_fma_f16 v90, v38, v40, v39
	ds_load_2addr_b32 v[41:42], v87 offset1:32
	ds_load_b128 v[37:40], v63 offset:448
	s_wait_dscnt 0x0
	v_lshrrev_b32_e32 v92, 16, v37
	v_and_b32_e32 v37, 0xffff, v37
	s_delay_alu instid0(VALU_DEP_2) | instskip(NEXT) | instid1(VALU_DEP_2)
	v_mul_u32_u24_e32 v92, 0x10001, v92
	v_mul_u32_u24_e32 v37, 0x10001, v37
	s_delay_alu instid0(VALU_DEP_1) | instskip(SKIP_3) | instid1(VALU_DEP_3)
	v_pk_fma_f16 v37, v41, v37, v90
	v_lshrrev_b32_e32 v90, 16, v38
	v_and_b32_e32 v38, 0xffff, v38
	v_pk_fma_f16 v41, v41, v92, v91
	v_mul_u32_u24_e32 v90, 0x10001, v90
	s_delay_alu instid0(VALU_DEP_3) | instskip(NEXT) | instid1(VALU_DEP_2)
	v_mul_u32_u24_e32 v38, 0x10001, v38
	v_pk_fma_f16 v41, v42, v90, v41
	s_delay_alu instid0(VALU_DEP_2) | instskip(SKIP_3) | instid1(VALU_DEP_2)
	v_pk_fma_f16 v91, v42, v38, v37
	ds_load_2addr_b32 v[37:38], v87 offset0:64 offset1:96
	v_lshrrev_b32_e32 v42, 16, v39
	v_and_b32_e32 v39, 0xffff, v39
	v_mul_u32_u24_e32 v42, 0x10001, v42
	s_delay_alu instid0(VALU_DEP_2) | instskip(SKIP_1) | instid1(VALU_DEP_1)
	v_mul_u32_u24_e32 v39, 0x10001, v39
	s_wait_dscnt 0x0
	v_pk_fma_f16 v39, v37, v39, v91
	s_delay_alu instid0(VALU_DEP_3) | instskip(SKIP_2) | instid1(VALU_DEP_2)
	v_pk_fma_f16 v37, v37, v42, v41
	v_lshrrev_b32_e32 v41, 16, v40
	v_and_b32_e32 v40, 0xffff, v40
	v_mul_u32_u24_e32 v41, 0x10001, v41
	s_delay_alu instid0(VALU_DEP_2) | instskip(NEXT) | instid1(VALU_DEP_2)
	v_mul_u32_u24_e32 v40, 0x10001, v40
	v_pk_fma_f16 v91, v38, v41, v37
	s_delay_alu instid0(VALU_DEP_2)
	v_pk_fma_f16 v90, v38, v40, v39
	ds_load_2addr_b32 v[41:42], v87 offset0:128 offset1:160
	ds_load_b128 v[37:40], v63 offset:464
	s_wait_dscnt 0x0
	v_lshrrev_b32_e32 v92, 16, v37
	v_and_b32_e32 v37, 0xffff, v37
	s_delay_alu instid0(VALU_DEP_2) | instskip(NEXT) | instid1(VALU_DEP_2)
	v_mul_u32_u24_e32 v92, 0x10001, v92
	v_mul_u32_u24_e32 v37, 0x10001, v37
	s_delay_alu instid0(VALU_DEP_1) | instskip(SKIP_3) | instid1(VALU_DEP_3)
	v_pk_fma_f16 v37, v41, v37, v90
	v_lshrrev_b32_e32 v90, 16, v38
	v_and_b32_e32 v38, 0xffff, v38
	v_pk_fma_f16 v41, v41, v92, v91
	v_mul_u32_u24_e32 v90, 0x10001, v90
	s_delay_alu instid0(VALU_DEP_3) | instskip(NEXT) | instid1(VALU_DEP_2)
	v_mul_u32_u24_e32 v38, 0x10001, v38
	v_pk_fma_f16 v41, v42, v90, v41
	s_delay_alu instid0(VALU_DEP_2) | instskip(SKIP_3) | instid1(VALU_DEP_2)
	v_pk_fma_f16 v91, v42, v38, v37
	ds_load_2addr_b32 v[37:38], v87 offset0:192 offset1:224
	v_lshrrev_b32_e32 v42, 16, v39
	v_and_b32_e32 v39, 0xffff, v39
	v_mul_u32_u24_e32 v42, 0x10001, v42
	s_delay_alu instid0(VALU_DEP_2) | instskip(SKIP_1) | instid1(VALU_DEP_1)
	v_mul_u32_u24_e32 v39, 0x10001, v39
	s_wait_dscnt 0x0
	v_pk_fma_f16 v39, v37, v39, v91
	s_delay_alu instid0(VALU_DEP_3) | instskip(SKIP_2) | instid1(VALU_DEP_2)
	v_pk_fma_f16 v37, v37, v42, v41
	v_lshrrev_b32_e32 v41, 16, v40
	v_and_b32_e32 v40, 0xffff, v40
	v_mul_u32_u24_e32 v41, 0x10001, v41
	s_delay_alu instid0(VALU_DEP_2) | instskip(NEXT) | instid1(VALU_DEP_2)
	v_mul_u32_u24_e32 v40, 0x10001, v40
	v_pk_fma_f16 v91, v38, v41, v37
	s_delay_alu instid0(VALU_DEP_2)
	v_pk_fma_f16 v90, v38, v40, v39
	ds_load_2addr_b32 v[41:42], v88 offset1:32
	ds_load_b128 v[37:40], v63 offset:480
	s_wait_dscnt 0x0
	v_lshrrev_b32_e32 v92, 16, v37
	v_and_b32_e32 v37, 0xffff, v37
	s_delay_alu instid0(VALU_DEP_2) | instskip(NEXT) | instid1(VALU_DEP_2)
	v_mul_u32_u24_e32 v92, 0x10001, v92
	v_mul_u32_u24_e32 v37, 0x10001, v37
	s_delay_alu instid0(VALU_DEP_1) | instskip(SKIP_3) | instid1(VALU_DEP_3)
	v_pk_fma_f16 v37, v41, v37, v90
	v_lshrrev_b32_e32 v90, 16, v38
	v_and_b32_e32 v38, 0xffff, v38
	v_pk_fma_f16 v41, v41, v92, v91
	v_mul_u32_u24_e32 v90, 0x10001, v90
	s_delay_alu instid0(VALU_DEP_3) | instskip(NEXT) | instid1(VALU_DEP_2)
	v_mul_u32_u24_e32 v38, 0x10001, v38
	v_pk_fma_f16 v41, v42, v90, v41
	s_delay_alu instid0(VALU_DEP_2) | instskip(SKIP_3) | instid1(VALU_DEP_2)
	v_pk_fma_f16 v91, v42, v38, v37
	ds_load_2addr_b32 v[37:38], v88 offset0:64 offset1:96
	v_lshrrev_b32_e32 v42, 16, v39
	v_and_b32_e32 v39, 0xffff, v39
	v_mul_u32_u24_e32 v42, 0x10001, v42
	s_delay_alu instid0(VALU_DEP_2) | instskip(SKIP_1) | instid1(VALU_DEP_1)
	v_mul_u32_u24_e32 v39, 0x10001, v39
	s_wait_dscnt 0x0
	v_pk_fma_f16 v39, v37, v39, v91
	s_delay_alu instid0(VALU_DEP_3) | instskip(SKIP_2) | instid1(VALU_DEP_2)
	v_pk_fma_f16 v37, v37, v42, v41
	v_lshrrev_b32_e32 v41, 16, v40
	v_and_b32_e32 v40, 0xffff, v40
	v_mul_u32_u24_e32 v41, 0x10001, v41
	s_delay_alu instid0(VALU_DEP_2) | instskip(NEXT) | instid1(VALU_DEP_2)
	v_mul_u32_u24_e32 v40, 0x10001, v40
	v_pk_fma_f16 v37, v38, v41, v37
	s_delay_alu instid0(VALU_DEP_2)
	v_pk_fma_f16 v42, v38, v40, v39
	ds_load_2addr_b32 v[90:91], v88 offset0:128 offset1:160
	ds_load_b128 v[38:41], v63 offset:496
	s_wait_dscnt 0x0
	v_lshrrev_b32_e32 v92, 16, v38
	v_and_b32_e32 v38, 0xffff, v38
	s_delay_alu instid0(VALU_DEP_2) | instskip(NEXT) | instid1(VALU_DEP_2)
	v_mul_u32_u24_e32 v92, 0x10001, v92
	v_mul_u32_u24_e32 v38, 0x10001, v38
	s_delay_alu instid0(VALU_DEP_2) | instskip(NEXT) | instid1(VALU_DEP_2)
	v_pk_fma_f16 v37, v90, v92, v37
	v_pk_fma_f16 v38, v90, v38, v42
	v_lshrrev_b32_e32 v42, 16, v39
	v_and_b32_e32 v39, 0xffff, v39
	v_lshrrev_b32_e32 v90, 16, v40
	v_and_b32_e32 v40, 0xffff, v40
	s_delay_alu instid0(VALU_DEP_4) | instskip(NEXT) | instid1(VALU_DEP_4)
	v_mul_u32_u24_e32 v42, 0x10001, v42
	v_mul_u32_u24_e32 v39, 0x10001, v39
	s_delay_alu instid0(VALU_DEP_4) | instskip(NEXT) | instid1(VALU_DEP_4)
	v_mul_u32_u24_e32 v90, 0x10001, v90
	v_mul_u32_u24_e32 v40, 0x10001, v40
	s_delay_alu instid0(VALU_DEP_4) | instskip(NEXT) | instid1(VALU_DEP_4)
	v_pk_fma_f16 v42, v91, v42, v37
	v_pk_fma_f16 v39, v91, v39, v38
	ds_load_2addr_b32 v[37:38], v88 offset0:192 offset1:224
	s_wait_loadcnt_dscnt 0x0
	s_barrier_signal -1
	s_barrier_wait -1
	global_inv scope:SCOPE_SE
	s_load_b32 s3, s[24:25], 0x4
	v_pk_fma_f16 v39, v37, v40, v39
	v_lshrrev_b32_e32 v40, 16, v41
	v_and_b32_e32 v41, 0xffff, v41
	v_pk_fma_f16 v37, v37, v90, v42
	s_wait_kmcnt 0x0
	s_lshl_b32 s3, s3, 7
	v_mul_u32_u24_e32 v40, 0x10001, v40
	v_mul_u32_u24_e32 v41, 0x10001, v41
	s_wait_alu 0xfffe
	s_add_co_i32 s10, s3, s10
	s_wait_alu 0xfffe
	s_cmp_ge_i32 s10, s28
	v_pk_fma_f16 v90, v38, v40, v37
	v_pk_fma_f16 v91, v38, v41, v39
	s_cbranch_scc0 .LBB27_9
; %bb.10:
	v_mov_b32_e32 v5, v44
.LBB27_11:
	v_lshlrev_b32_e32 v6, 1, v0
	v_cmp_lt_i32_e32 vcc_lo, v53, v46
	s_cmp_lg_u64 s[12:13], 0
	s_cselect_b32 s3, -1, 0
	s_cmp_eq_u32 s4, 0
	s_wait_alu 0xfffd
	v_cndmask_b32_e32 v2, v5, v53, vcc_lo
	v_cmp_lt_i32_e32 vcc_lo, v52, v46
	s_cselect_b32 s5, -1, 0
	s_wait_alu 0xfffe
	s_and_b32 s3, s5, s3
	v_lshlrev_b32_e32 v2, 2, v2
	s_wait_alu 0xfffd
	v_cndmask_b32_e32 v4, v5, v52, vcc_lo
	v_cmp_lt_i32_e32 vcc_lo, v51, v46
	ds_bpermute_b32 v3, v2, v89
	v_lshlrev_b32_e32 v4, 2, v4
	s_wait_alu 0xfffd
	v_cndmask_b32_e32 v8, v5, v51, vcc_lo
	v_cmp_lt_i32_e32 vcc_lo, v50, v46
	s_wait_dscnt 0x0
	s_delay_alu instid0(VALU_DEP_2)
	v_dual_add_f32 v3, v89, v3 :: v_dual_lshlrev_b32 v8, 2, v8
	ds_bpermute_b32 v2, v2, v64
	ds_bpermute_b32 v7, v4, v3
	s_wait_dscnt 0x0
	v_dual_add_f32 v3, v3, v7 :: v_dual_add_f32 v2, v64, v2
	ds_bpermute_b32 v4, v4, v2
	s_wait_dscnt 0x0
	v_add_f32_e32 v2, v2, v4
	ds_bpermute_b32 v4, v8, v3
	ds_bpermute_b32 v7, v8, v2
	s_wait_alu 0xfffd
	v_cndmask_b32_e32 v8, v5, v50, vcc_lo
	v_cmp_lt_i32_e32 vcc_lo, v48, v46
	s_delay_alu instid0(VALU_DEP_2) | instskip(SKIP_4) | instid1(VALU_DEP_1)
	v_lshlrev_b32_e32 v8, 2, v8
	s_wait_alu 0xfffd
	v_cndmask_b32_e32 v5, v5, v48, vcc_lo
	s_wait_alu 0xfffe
	s_and_b32 vcc_lo, exec_lo, s3
	v_lshlrev_b32_e32 v5, 2, v5
	s_wait_dscnt 0x0
	v_dual_add_f32 v3, v3, v4 :: v_dual_add_f32 v2, v2, v7
	ds_bpermute_b32 v4, v8, v3
	ds_bpermute_b32 v7, v8, v2
	s_wait_dscnt 0x0
	v_dual_add_f32 v3, v3, v4 :: v_dual_add_f32 v4, v2, v7
	ds_bpermute_b32 v2, v5, v3
	ds_bpermute_b32 v5, v5, v4
	s_wait_dscnt 0x0
	v_dual_add_f32 v2, v3, v2 :: v_dual_add_f32 v3, v4, v5
	s_wait_alu 0xfffe
	s_cbranch_vccz .LBB27_13
; %bb.12:
	v_dual_max_num_f32 v9, v36, v36 :: v_dual_add_nc_u32 v4, s33, v43
	s_delay_alu instid0(VALU_DEP_1) | instskip(NEXT) | instid1(VALU_DEP_1)
	v_ashrrev_i32_e32 v5, 31, v4
	v_lshlrev_b64_e32 v[4:5], 2, v[4:5]
	s_delay_alu instid0(VALU_DEP_1) | instskip(SKIP_1) | instid1(VALU_DEP_2)
	v_add_co_u32 v4, vcc_lo, s12, v4
	s_wait_alu 0xfffd
	v_add_co_ci_u32_e64 v5, null, s13, v5, vcc_lo
	global_load_b64 v[4:5], v[4:5], off
	s_wait_loadcnt 0x0
	v_dual_max_num_f32 v7, v35, v35 :: v_dual_max_num_f32 v8, v4, v4
	s_delay_alu instid0(VALU_DEP_1) | instskip(NEXT) | instid1(VALU_DEP_1)
	v_dual_max_num_f32 v10, v5, v5 :: v_dual_max_num_f32 v7, v7, v8
	v_dual_max_num_f32 v8, v9, v10 :: v_dual_sub_f32 v9, v35, v7
	s_delay_alu instid0(VALU_DEP_1) | instskip(SKIP_1) | instid1(VALU_DEP_3)
	v_dual_sub_f32 v4, v4, v7 :: v_dual_sub_f32 v5, v5, v8
	v_sub_f32_e32 v10, v36, v8
	v_dual_mov_b32 v36, v8 :: v_dual_mul_f32 v11, 0x3fb8aa3b, v9
	s_delay_alu instid0(VALU_DEP_3) | instskip(SKIP_1) | instid1(VALU_DEP_4)
	v_mul_f32_e32 v12, 0x3fb8aa3b, v4
	v_cmp_ngt_f32_e32 vcc_lo, 0xc2ce8ed0, v9
	v_mul_f32_e32 v13, 0x3fb8aa3b, v10
	v_mov_b32_e32 v35, v7
	v_fma_f32 v15, 0x3fb8aa3b, v9, -v11
	v_rndne_f32_e32 v16, v11
	v_mul_f32_e32 v14, 0x3fb8aa3b, v5
	v_fma_f32 v18, 0x3fb8aa3b, v10, -v13
	v_rndne_f32_e32 v19, v13
	v_fmac_f32_e32 v15, 0x32a5705f, v9
	v_sub_f32_e32 v11, v11, v16
	v_fma_f32 v21, 0x3fb8aa3b, v5, -v14
	v_rndne_f32_e32 v22, v14
	v_fma_f32 v17, 0x3fb8aa3b, v4, -v12
	v_rndne_f32_e32 v20, v12
	v_dual_fmac_f32 v18, 0x32a5705f, v10 :: v_dual_sub_f32 v13, v13, v19
	s_delay_alu instid0(VALU_DEP_4) | instskip(SKIP_3) | instid1(VALU_DEP_4)
	v_dual_add_f32 v11, v11, v15 :: v_dual_sub_f32 v14, v14, v22
	v_fmac_f32_e32 v21, 0x32a5705f, v5
	v_fmac_f32_e32 v17, 0x32a5705f, v4
	v_sub_f32_e32 v12, v12, v20
	v_exp_f32_e32 v11, v11
	v_cvt_i32_f32_e32 v15, v16
	v_dual_add_f32 v14, v14, v21 :: v_dual_add_f32 v13, v13, v18
	s_delay_alu instid0(VALU_DEP_3) | instskip(SKIP_2) | instid1(VALU_DEP_4)
	v_add_f32_e32 v12, v12, v17
	v_cvt_i32_f32_e32 v16, v19
	v_cvt_i32_f32_e32 v17, v20
	v_exp_f32_e32 v14, v14
	v_exp_f32_e32 v13, v13
	;; [unrolled: 1-line block ×3, first 2 shown]
	v_ldexp_f32 v11, v11, v15
	v_cvt_i32_f32_e32 v15, v22
	s_wait_alu 0xfffd
	s_delay_alu instid0(VALU_DEP_2) | instskip(SKIP_1) | instid1(TRANS32_DEP_2)
	v_cndmask_b32_e32 v11, 0, v11, vcc_lo
	v_cmp_ngt_f32_e32 vcc_lo, 0xc2ce8ed0, v10
	v_ldexp_f32 v13, v13, v16
	s_delay_alu instid0(TRANS32_DEP_1) | instskip(SKIP_1) | instid1(VALU_DEP_2)
	v_ldexp_f32 v12, v12, v17
	s_wait_alu 0xfffd
	v_cndmask_b32_e32 v13, 0, v13, vcc_lo
	v_cmp_nlt_f32_e32 vcc_lo, 0x42b17218, v9
	s_wait_alu 0xfffd
	v_cndmask_b32_e32 v9, 0x7f800000, v11, vcc_lo
	v_cmp_nlt_f32_e32 vcc_lo, 0x42b17218, v10
	v_ldexp_f32 v11, v14, v15
	s_wait_alu 0xfffd
	v_cndmask_b32_e32 v10, 0x7f800000, v13, vcc_lo
	v_cmp_ngt_f32_e32 vcc_lo, 0xc2ce8ed0, v4
	s_delay_alu instid0(VALU_DEP_2)
	v_cvt_f16_f32_e32 v14, v10
	s_wait_alu 0xfffd
	v_cndmask_b32_e32 v12, 0, v12, vcc_lo
	v_cmp_ngt_f32_e32 vcc_lo, 0xc2ce8ed0, v5
	s_wait_alu 0xfffd
	v_cndmask_b32_e32 v11, 0, v11, vcc_lo
	v_cmp_nlt_f32_e32 vcc_lo, 0x42b17218, v4
	s_wait_alu 0xfffd
	v_cndmask_b32_e32 v4, 0x7f800000, v12, vcc_lo
	v_cmp_nlt_f32_e32 vcc_lo, 0x42b17218, v5
	s_wait_alu 0xfffd
	s_delay_alu instid0(VALU_DEP_2) | instskip(NEXT) | instid1(VALU_DEP_1)
	v_dual_fmac_f32 v4, v2, v9 :: v_dual_cndmask_b32 v5, 0x7f800000, v11
	v_mov_b32_e32 v2, v4
	v_cvt_f16_f32_e32 v13, v9
	s_delay_alu instid0(VALU_DEP_1) | instskip(SKIP_1) | instid1(VALU_DEP_2)
	v_dual_fmac_f32 v5, v3, v10 :: v_dual_and_b32 v12, 0xffff, v13
	v_and_b32_e32 v13, 0xffff, v14
	v_mov_b32_e32 v3, v5
	s_delay_alu instid0(VALU_DEP_3) | instskip(NEXT) | instid1(VALU_DEP_3)
	v_mul_u32_u24_e32 v9, 0x10001, v12
	v_mul_u32_u24_e32 v11, 0x10001, v13
	s_delay_alu instid0(VALU_DEP_2) | instskip(NEXT) | instid1(VALU_DEP_2)
	v_pk_mul_f16 v91, v91, v9
	v_pk_mul_f16 v90, v90, v11
	s_mov_b32 s3, exec_lo
	v_cmpx_gt_i32_e64 s22, v1
	s_cbranch_execnz .LBB27_14
	s_branch .LBB27_22
.LBB27_13:
	s_delay_alu instid0(VALU_DEP_1)
	v_dual_mov_b32 v5, v3 :: v_dual_mov_b32 v4, v2
	s_mov_b32 s3, exec_lo
	v_cmpx_gt_i32_e64 s22, v1
	s_cbranch_execz .LBB27_22
.LBB27_14:
	s_load_b32 s1, s[0:1], 0xd4
	v_mov_b32_e32 v7, 1.0
	s_wait_kmcnt 0x0
	s_cmp_lg_u32 s1, 1
	s_cselect_b32 s5, -1, 0
	s_cmp_eq_u32 s1, 1
	s_cselect_b32 s3, -1, 0
	s_wait_alu 0xfffe
	s_and_b32 vcc_lo, exec_lo, s5
	s_wait_alu 0xfffe
	s_cbranch_vccnz .LBB27_16
; %bb.15:
	v_div_scale_f32 v7, null, v2, v2, 1.0
	s_delay_alu instid0(VALU_DEP_1) | instskip(NEXT) | instid1(TRANS32_DEP_1)
	v_rcp_f32_e32 v8, v7
	v_fma_f32 v9, -v7, v8, 1.0
	s_delay_alu instid0(VALU_DEP_1) | instskip(SKIP_1) | instid1(VALU_DEP_1)
	v_fmac_f32_e32 v8, v9, v8
	v_div_scale_f32 v9, vcc_lo, 1.0, v2, 1.0
	v_mul_f32_e32 v10, v9, v8
	s_delay_alu instid0(VALU_DEP_1) | instskip(NEXT) | instid1(VALU_DEP_1)
	v_fma_f32 v11, -v7, v10, v9
	v_fmac_f32_e32 v10, v11, v8
	s_delay_alu instid0(VALU_DEP_1) | instskip(SKIP_1) | instid1(VALU_DEP_1)
	v_fma_f32 v7, -v7, v10, v9
	s_wait_alu 0xfffd
	v_div_fmas_f32 v7, v7, v8, v10
	s_delay_alu instid0(VALU_DEP_1)
	v_div_fixup_f32 v7, v7, v2, 1.0
.LBB27_16:
	v_mad_co_u64_u32 v[1:2], null, s2, s22, v[1:2]
	v_cvt_f32_f16_e32 v10, v91
	v_mov_b32_e32 v9, 0
	v_cmp_eq_u32_e32 vcc_lo, 0, v0
	s_delay_alu instid0(VALU_DEP_3) | instskip(SKIP_1) | instid1(VALU_DEP_1)
	v_mul_f32_e32 v10, v7, v10
	v_mul_lo_u32 v1, v1, s23
	v_add3_u32 v1, s33, v43, v1
	s_delay_alu instid0(VALU_DEP_1) | instskip(SKIP_1) | instid1(VALU_DEP_1)
	v_mad_co_u64_u32 v[1:2], null, s1, v1, s[4:5]
	v_lshrrev_b32_e32 v2, 16, v91
	v_cvt_f32_f16_e32 v2, v2
	s_delay_alu instid0(VALU_DEP_3) | instskip(NEXT) | instid1(VALU_DEP_2)
	v_lshl_add_u32 v8, v1, 6, v6
	v_mul_f32_e32 v11, v7, v2
	s_delay_alu instid0(VALU_DEP_2) | instskip(NEXT) | instid1(VALU_DEP_1)
	v_lshlrev_b64_e32 v[8:9], 2, v[8:9]
	v_add_co_u32 v7, s0, s16, v8
	s_wait_alu 0xf1ff
	s_delay_alu instid0(VALU_DEP_2)
	v_add_co_ci_u32_e64 v8, null, s17, v9, s0
	s_and_b32 s0, vcc_lo, s5
	global_store_b64 v[7:8], v[10:11], off
	s_wait_alu 0xfffe
	s_and_saveexec_b32 s2, s0
	s_cbranch_execz .LBB27_18
; %bb.17:
	v_ashrrev_i32_e32 v2, 31, v1
	v_dual_mov_b32 v9, v35 :: v_dual_mov_b32 v10, v4
	s_delay_alu instid0(VALU_DEP_2) | instskip(NEXT) | instid1(VALU_DEP_1)
	v_lshlrev_b64_e32 v[7:8], 3, v[1:2]
	v_add_co_u32 v7, vcc_lo, s18, v7
	s_wait_alu 0xfffd
	s_delay_alu instid0(VALU_DEP_2)
	v_add_co_ci_u32_e64 v8, null, s19, v8, vcc_lo
	global_store_b64 v[7:8], v[9:10], off
.LBB27_18:
	s_wait_alu 0xfffe
	s_or_b32 exec_lo, exec_lo, s2
	v_mov_b32_e32 v2, 1.0
	s_and_not1_b32 vcc_lo, exec_lo, s3
	s_wait_alu 0xfffe
	s_cbranch_vccnz .LBB27_20
; %bb.19:
	v_div_scale_f32 v0, null, v3, v3, 1.0
	s_delay_alu instid0(VALU_DEP_1) | instskip(NEXT) | instid1(TRANS32_DEP_1)
	v_rcp_f32_e32 v2, v0
	v_fma_f32 v4, -v0, v2, 1.0
	s_delay_alu instid0(VALU_DEP_1) | instskip(SKIP_1) | instid1(VALU_DEP_1)
	v_fmac_f32_e32 v2, v4, v2
	v_div_scale_f32 v4, vcc_lo, 1.0, v3, 1.0
	v_mul_f32_e32 v7, v4, v2
	s_delay_alu instid0(VALU_DEP_1) | instskip(NEXT) | instid1(VALU_DEP_1)
	v_fma_f32 v8, -v0, v7, v4
	v_fmac_f32_e32 v7, v8, v2
	s_delay_alu instid0(VALU_DEP_1) | instskip(SKIP_1) | instid1(VALU_DEP_1)
	v_fma_f32 v0, -v0, v7, v4
	s_wait_alu 0xfffd
	v_div_fmas_f32 v0, v0, v2, v7
	s_delay_alu instid0(VALU_DEP_1)
	v_div_fixup_f32 v2, v0, v3, 1.0
.LBB27_20:
	v_add_nc_u32_e32 v0, s1, v1
	v_mov_b32_e32 v4, 0
	v_lshrrev_b32_e32 v1, 16, v90
	s_delay_alu instid0(VALU_DEP_3) | instskip(SKIP_1) | instid1(VALU_DEP_3)
	v_lshl_add_u32 v3, v0, 6, v6
	v_cvt_f32_f16_e32 v6, v90
	v_cvt_f32_f16_e32 v7, v1
	s_delay_alu instid0(VALU_DEP_3) | instskip(NEXT) | instid1(VALU_DEP_3)
	v_lshlrev_b64_e32 v[3:4], 2, v[3:4]
	v_mul_f32_e32 v1, v2, v6
	s_delay_alu instid0(VALU_DEP_3) | instskip(NEXT) | instid1(VALU_DEP_3)
	v_mul_f32_e32 v2, v2, v7
	v_add_co_u32 v3, vcc_lo, s16, v3
	s_wait_alu 0xfffd
	s_delay_alu instid0(VALU_DEP_4)
	v_add_co_ci_u32_e64 v4, null, s17, v4, vcc_lo
	global_store_b64 v[3:4], v[1:2], off
	s_and_b32 exec_lo, exec_lo, s0
	s_cbranch_execz .LBB27_22
; %bb.21:
	v_ashrrev_i32_e32 v1, 31, v0
	v_mov_b32_e32 v4, v36
	s_delay_alu instid0(VALU_DEP_2) | instskip(NEXT) | instid1(VALU_DEP_1)
	v_lshlrev_b64_e32 v[0:1], 3, v[0:1]
	v_add_co_u32 v0, vcc_lo, s18, v0
	s_wait_alu 0xfffd
	s_delay_alu instid0(VALU_DEP_2)
	v_add_co_ci_u32_e64 v1, null, s19, v1, vcc_lo
	global_store_b64 v[0:1], v[4:5], off
	s_nop 0
	s_sendmsg sendmsg(MSG_DEALLOC_VGPRS)
	s_endpgm
.LBB27_22:
	s_nop 0
	s_sendmsg sendmsg(MSG_DEALLOC_VGPRS)
	s_endpgm
	.section	.rodata,"a",@progbits
	.p2align	6, 0x0
	.amdhsa_kernel _ZL15flash_attn_tileILi64ELi64ELi2ELi4ELb0EEvPKcS1_S1_S1_S1_PKiPfP15HIP_vector_typeIfLj2EEffffjfiS5_IjLj3EEiiiiiiiiiiiliiliiiiil
		.amdhsa_group_segment_fixed_size 21504
		.amdhsa_private_segment_fixed_size 0
		.amdhsa_kernarg_size 464
		.amdhsa_user_sgpr_count 2
		.amdhsa_user_sgpr_dispatch_ptr 0
		.amdhsa_user_sgpr_queue_ptr 0
		.amdhsa_user_sgpr_kernarg_segment_ptr 1
		.amdhsa_user_sgpr_dispatch_id 0
		.amdhsa_user_sgpr_private_segment_size 0
		.amdhsa_wavefront_size32 1
		.amdhsa_uses_dynamic_stack 0
		.amdhsa_enable_private_segment 0
		.amdhsa_system_sgpr_workgroup_id_x 1
		.amdhsa_system_sgpr_workgroup_id_y 1
		.amdhsa_system_sgpr_workgroup_id_z 1
		.amdhsa_system_sgpr_workgroup_info 0
		.amdhsa_system_vgpr_workitem_id 1
		.amdhsa_next_free_vgpr 217
		.amdhsa_next_free_sgpr 42
		.amdhsa_reserve_vcc 1
		.amdhsa_float_round_mode_32 0
		.amdhsa_float_round_mode_16_64 0
		.amdhsa_float_denorm_mode_32 3
		.amdhsa_float_denorm_mode_16_64 3
		.amdhsa_fp16_overflow 0
		.amdhsa_workgroup_processor_mode 1
		.amdhsa_memory_ordered 1
		.amdhsa_forward_progress 1
		.amdhsa_inst_pref_size 118
		.amdhsa_round_robin_scheduling 0
		.amdhsa_exception_fp_ieee_invalid_op 0
		.amdhsa_exception_fp_denorm_src 0
		.amdhsa_exception_fp_ieee_div_zero 0
		.amdhsa_exception_fp_ieee_overflow 0
		.amdhsa_exception_fp_ieee_underflow 0
		.amdhsa_exception_fp_ieee_inexact 0
		.amdhsa_exception_int_div_zero 0
	.end_amdhsa_kernel
	.section	.text._ZL15flash_attn_tileILi64ELi64ELi2ELi4ELb0EEvPKcS1_S1_S1_S1_PKiPfP15HIP_vector_typeIfLj2EEffffjfiS5_IjLj3EEiiiiiiiiiiiliiliiiiil,"axG",@progbits,_ZL15flash_attn_tileILi64ELi64ELi2ELi4ELb0EEvPKcS1_S1_S1_S1_PKiPfP15HIP_vector_typeIfLj2EEffffjfiS5_IjLj3EEiiiiiiiiiiiliiliiiiil,comdat
.Lfunc_end27:
	.size	_ZL15flash_attn_tileILi64ELi64ELi2ELi4ELb0EEvPKcS1_S1_S1_S1_PKiPfP15HIP_vector_typeIfLj2EEffffjfiS5_IjLj3EEiiiiiiiiiiiliiliiiiil, .Lfunc_end27-_ZL15flash_attn_tileILi64ELi64ELi2ELi4ELb0EEvPKcS1_S1_S1_S1_PKiPfP15HIP_vector_typeIfLj2EEffffjfiS5_IjLj3EEiiiiiiiiiiiliiliiiiil
                                        ; -- End function
	.set _ZL15flash_attn_tileILi64ELi64ELi2ELi4ELb0EEvPKcS1_S1_S1_S1_PKiPfP15HIP_vector_typeIfLj2EEffffjfiS5_IjLj3EEiiiiiiiiiiiliiliiiiil.num_vgpr, 118
	.set _ZL15flash_attn_tileILi64ELi64ELi2ELi4ELb0EEvPKcS1_S1_S1_S1_PKiPfP15HIP_vector_typeIfLj2EEffffjfiS5_IjLj3EEiiiiiiiiiiiliiliiiiil.num_agpr, 0
	.set _ZL15flash_attn_tileILi64ELi64ELi2ELi4ELb0EEvPKcS1_S1_S1_S1_PKiPfP15HIP_vector_typeIfLj2EEffffjfiS5_IjLj3EEiiiiiiiiiiiliiliiiiil.numbered_sgpr, 42
	.set _ZL15flash_attn_tileILi64ELi64ELi2ELi4ELb0EEvPKcS1_S1_S1_S1_PKiPfP15HIP_vector_typeIfLj2EEffffjfiS5_IjLj3EEiiiiiiiiiiiliiliiiiil.num_named_barrier, 0
	.set _ZL15flash_attn_tileILi64ELi64ELi2ELi4ELb0EEvPKcS1_S1_S1_S1_PKiPfP15HIP_vector_typeIfLj2EEffffjfiS5_IjLj3EEiiiiiiiiiiiliiliiiiil.private_seg_size, 0
	.set _ZL15flash_attn_tileILi64ELi64ELi2ELi4ELb0EEvPKcS1_S1_S1_S1_PKiPfP15HIP_vector_typeIfLj2EEffffjfiS5_IjLj3EEiiiiiiiiiiiliiliiiiil.uses_vcc, 1
	.set _ZL15flash_attn_tileILi64ELi64ELi2ELi4ELb0EEvPKcS1_S1_S1_S1_PKiPfP15HIP_vector_typeIfLj2EEffffjfiS5_IjLj3EEiiiiiiiiiiiliiliiiiil.uses_flat_scratch, 0
	.set _ZL15flash_attn_tileILi64ELi64ELi2ELi4ELb0EEvPKcS1_S1_S1_S1_PKiPfP15HIP_vector_typeIfLj2EEffffjfiS5_IjLj3EEiiiiiiiiiiiliiliiiiil.has_dyn_sized_stack, 0
	.set _ZL15flash_attn_tileILi64ELi64ELi2ELi4ELb0EEvPKcS1_S1_S1_S1_PKiPfP15HIP_vector_typeIfLj2EEffffjfiS5_IjLj3EEiiiiiiiiiiiliiliiiiil.has_recursion, 0
	.set _ZL15flash_attn_tileILi64ELi64ELi2ELi4ELb0EEvPKcS1_S1_S1_S1_PKiPfP15HIP_vector_typeIfLj2EEffffjfiS5_IjLj3EEiiiiiiiiiiiliiliiiiil.has_indirect_call, 0
	.section	.AMDGPU.csdata,"",@progbits
; Kernel info:
; codeLenInByte = 14988
; TotalNumSgprs: 44
; NumVgprs: 118
; ScratchSize: 0
; MemoryBound: 0
; FloatMode: 240
; IeeeMode: 1
; LDSByteSize: 21504 bytes/workgroup (compile time only)
; SGPRBlocks: 0
; VGPRBlocks: 27
; NumSGPRsForWavesPerEU: 44
; NumVGPRsForWavesPerEU: 217
; Occupancy: 6
; WaveLimiterHint : 1
; COMPUTE_PGM_RSRC2:SCRATCH_EN: 0
; COMPUTE_PGM_RSRC2:USER_SGPR: 2
; COMPUTE_PGM_RSRC2:TRAP_HANDLER: 0
; COMPUTE_PGM_RSRC2:TGID_X_EN: 1
; COMPUTE_PGM_RSRC2:TGID_Y_EN: 1
; COMPUTE_PGM_RSRC2:TGID_Z_EN: 1
; COMPUTE_PGM_RSRC2:TIDIG_COMP_CNT: 1
	.section	.text._ZL33flash_attn_stream_k_fixup_uniformILi64ELi2ELi4EEvPfPK15HIP_vector_typeIfLj2EEiiiiiiS1_IjLj3EES5_S5_,"axG",@progbits,_ZL33flash_attn_stream_k_fixup_uniformILi64ELi2ELi4EEvPfPK15HIP_vector_typeIfLj2EEiiiiiiS1_IjLj3EES5_S5_,comdat
	.globl	_ZL33flash_attn_stream_k_fixup_uniformILi64ELi2ELi4EEvPfPK15HIP_vector_typeIfLj2EEiiiiiiS1_IjLj3EES5_S5_ ; -- Begin function _ZL33flash_attn_stream_k_fixup_uniformILi64ELi2ELi4EEvPfPK15HIP_vector_typeIfLj2EEiiiiiiS1_IjLj3EES5_S5_
	.p2align	8
	.type	_ZL33flash_attn_stream_k_fixup_uniformILi64ELi2ELi4EEvPfPK15HIP_vector_typeIfLj2EEiiiiiiS1_IjLj3EES5_S5_,@function
_ZL33flash_attn_stream_k_fixup_uniformILi64ELi2ELi4EEvPfPK15HIP_vector_typeIfLj2EEiiiiiiS1_IjLj3EES5_S5_: ; @_ZL33flash_attn_stream_k_fixup_uniformILi64ELi2ELi4EEvPfPK15HIP_vector_typeIfLj2EEiiiiiiS1_IjLj3EES5_S5_
; %bb.0:
	s_clause 0x1
	s_load_b256 s[4:11], s[0:1], 0x1c
	s_load_b128 s[12:15], s[0:1], 0x3c
	s_wait_kmcnt 0x0
	s_mul_hi_u32 s2, s7, ttmp9
	s_delay_alu instid0(SALU_CYCLE_1) | instskip(NEXT) | instid1(SALU_CYCLE_1)
	s_add_co_i32 s2, ttmp9, s2
	s_lshr_b32 s2, s2, s8
	s_delay_alu instid0(SALU_CYCLE_1) | instskip(SKIP_2) | instid1(SALU_CYCLE_1)
	s_mul_i32 s3, s2, s9
	s_load_b64 s[8:9], s[0:1], 0x10
	s_sub_co_i32 s7, ttmp9, s3
	s_mul_hi_u32 s3, s7, s10
	s_delay_alu instid0(SALU_CYCLE_1) | instskip(NEXT) | instid1(SALU_CYCLE_1)
	s_add_co_i32 s3, s7, s3
	s_lshr_b32 s3, s3, s11
	s_delay_alu instid0(SALU_CYCLE_1) | instskip(NEXT) | instid1(SALU_CYCLE_1)
	s_mul_i32 s10, s3, s12
	s_sub_co_i32 s7, s7, s10
	s_delay_alu instid0(SALU_CYCLE_1) | instskip(NEXT) | instid1(SALU_CYCLE_1)
	s_mul_hi_u32 s10, s7, s13
	s_add_co_i32 s10, s7, s10
	s_delay_alu instid0(SALU_CYCLE_1) | instskip(NEXT) | instid1(SALU_CYCLE_1)
	s_lshr_b32 s12, s10, s14
	s_mul_i32 s10, s12, s15
	s_lshl_b32 s12, s12, 2
	s_sub_co_i32 s11, s7, s10
	s_and_b32 s7, ttmp7, 0xffff
	s_lshl_b32 s13, s11, 1
	s_lshr_b32 s10, ttmp7, 16
	s_add_co_i32 s13, s13, s7
	s_wait_kmcnt 0x0
	s_cmp_lt_i32 s13, s8
	s_cselect_b32 s13, -1, 0
	s_add_co_i32 s14, s12, s10
	s_delay_alu instid0(SALU_CYCLE_1) | instskip(SKIP_1) | instid1(SALU_CYCLE_1)
	s_cmp_lt_i32 s14, s5
	s_cselect_b32 s14, -1, 0
	s_and_b32 s13, s13, s14
	s_delay_alu instid0(SALU_CYCLE_1)
	s_and_not1_b32 vcc_lo, exec_lo, s13
	s_cbranch_vccnz .LBB28_6
; %bb.1:
	s_mul_i32 s2, s2, s8
	s_mul_i32 s5, s3, s5
	s_add_co_i32 s2, s2, s7
	s_delay_alu instid0(SALU_CYCLE_1) | instskip(NEXT) | instid1(SALU_CYCLE_1)
	s_mul_i32 s2, s2, s9
	s_add_co_i32 s8, s2, s10
	s_load_b128 s[0:3], s[0:1], 0x0
	s_add_co_i32 s5, s8, s5
	s_mul_i32 s8, s9, s11
	s_add_co_i32 s5, s5, s12
	s_lshl_b32 s8, s8, 7
	s_lshl_b32 s5, s5, 6
	s_delay_alu instid0(SALU_CYCLE_1)
	s_add_co_i32 s8, s8, s5
	s_lshl_b32 s5, s7, 2
	v_or_b32_e32 v1, s8, v0
	s_mul_i32 s8, s6, ttmp9
	s_wait_alu 0xfffe
	s_add_co_i32 s9, s8, s6
	s_wait_alu 0xfffe
	s_add_co_i32 s12, s9, -2
	v_ashrrev_i32_e32 v2, 31, v1
	s_delay_alu instid0(VALU_DEP_1) | instskip(SKIP_1) | instid1(VALU_DEP_1)
	v_lshlrev_b64_e32 v[1:2], 2, v[1:2]
	s_wait_kmcnt 0x0
	v_add_co_u32 v1, vcc_lo, s0, v1
	s_delay_alu instid0(VALU_DEP_1)
	v_add_co_ci_u32_e64 v2, null, s1, v2, vcc_lo
	s_add_co_i32 s0, s5, s10
	s_lshl_b32 s1, s9, 3
	global_load_b32 v5, v[1:2], off
	s_wait_alu 0xfffe
	s_add_co_i32 s0, s0, s1
	s_wait_alu 0xfffe
	s_add_co_i32 s0, s0, -8
	s_wait_alu 0xfffe
	s_ashr_i32 s1, s0, 31
	s_wait_alu 0xfffe
	s_lshl_b64 s[0:1], s[0:1], 3
	s_cmp_lt_i32 s12, s8
	s_wait_alu 0xfffe
	s_add_nc_u64 s[0:1], s[2:3], s[0:1]
	s_load_b32 s11, s[0:1], 0x4
	s_cbranch_scc1 .LBB28_4
; %bb.2:
	s_load_b32 s0, s[0:1], 0x0
	s_add_co_i32 s13, ttmp9, 1
	s_lshl_b32 s12, s4, 5
	s_mul_i32 s1, s6, s13
	s_lshl_b32 s6, s7, 8
	s_lshl_b32 s7, s10, 6
	s_wait_alu 0xfffe
	s_lshl_b32 s14, s1, 9
	s_add_co_i32 s6, s7, s6
	s_lshl_b32 s1, s1, 3
	s_add_co_i32 s14, s6, s14
	s_wait_alu 0xfffe
	s_add_co_i32 s1, s10, s1
	v_or_b32_e32 v0, s14, v0
	s_lshl_b32 s4, s4, 3
	s_ashr_i32 s13, s12, 31
	s_wait_alu 0xfffe
	s_add_co_i32 s1, s1, s4
	s_wait_kmcnt 0x0
	v_dual_mov_b32 v6, s11 :: v_dual_add_nc_u32 v3, 0xfffffc00, v0
	s_lshl_b64 s[6:7], s[12:13], 2
	s_wait_alu 0xfffe
	s_add_co_i32 s4, s1, s5
	s_add_nc_u64 s[6:7], s[2:3], s[6:7]
	s_add_co_i32 s1, s9, -1
	s_add_co_i32 s4, s4, -16
.LBB28_3:                               ; =>This Inner Loop Header: Depth=1
	v_ashrrev_i32_e32 v4, 31, v3
	s_ashr_i32 s5, s4, 31
	v_mov_b32_e32 v10, v6
	s_lshl_b64 s[10:11], s[4:5], 3
	s_wait_loadcnt 0x0
	v_mov_b32_e32 v9, v5
	v_lshlrev_b64_e32 v[7:8], 2, v[3:4]
	s_wait_alu 0xfffe
	s_add_nc_u64 s[10:11], s[2:3], s[10:11]
	v_max_num_f32_e64 v4, s0, s0
	s_load_b64 s[10:11], s[10:11], 0x0
	v_add_nc_u32_e32 v3, 0xfffffe00, v3
	v_add_co_u32 v7, vcc_lo, s6, v7
	s_wait_alu 0xfffd
	v_add_co_ci_u32_e64 v8, null, s7, v8, vcc_lo
	v_readfirstlane_b32 s5, v4
	global_load_b32 v0, v[7:8], off
	s_wait_kmcnt 0x0
	v_max_num_f32_e64 v4, s10, s10
	s_delay_alu instid0(VALU_DEP_1) | instskip(SKIP_1) | instid1(SALU_CYCLE_3)
	v_readfirstlane_b32 s9, v4
	s_max_num_f32 s5, s5, s9
	s_sub_f32 s0, s0, s5
	s_sub_f32 s9, s10, s5
	s_wait_alu 0xfffe
	s_delay_alu instid0(SALU_CYCLE_1) | instskip(NEXT) | instid1(SALU_CYCLE_1)
	s_mul_f32 s10, s0, 0x3fb8aa3b
	s_mul_f32 s12, s9, 0x3fb8aa3b
	s_wait_alu 0xfffe
	s_delay_alu instid0(SALU_CYCLE_1)
	s_xor_b32 s13, s10, 0x80000000
	s_rndne_f32 s14, s10
	s_fmamk_f32 s13, s0, 0x3fb8aa3b, s13
	s_cmp_nlt_f32 s0, 0xc2ce8ed0
	s_rndne_f32 s15, s12
	s_wait_alu 0xfffe
	s_sub_f32 s10, s10, s14
	s_fmamk_f32 s13, s0, 0x32a5705f, s13
	s_cvt_i32_f32 s14, s14
	s_cselect_b32 vcc_lo, -1, 0
	s_cmp_ngt_f32 s0, 0x42b17218
	s_wait_alu 0xfffe
	s_add_f32 s10, s10, s13
	s_sub_f32 s13, s12, s15
	s_wait_alu 0xfffe
	s_delay_alu instid0(SALU_CYCLE_1) | instskip(SKIP_1) | instid1(TRANS32_DEP_1)
	v_s_exp_f32 s10, s10
	s_wait_alu 0xf1ff
	v_ldexp_f32 v4, s10, s14
	s_cvt_i32_f32 s10, s15
	s_delay_alu instid0(VALU_DEP_1) | instskip(SKIP_3) | instid1(VALU_DEP_1)
	v_cndmask_b32_e32 v4, 0, v4, vcc_lo
	s_cselect_b32 vcc_lo, -1, 0
	s_cmp_ge_f32 s0, 0xc1a00000
	s_wait_alu 0xfffe
	v_cndmask_b32_e32 v4, 0x7f800000, v4, vcc_lo
	s_cselect_b32 vcc_lo, -1, 0
	s_xor_b32 s0, s12, 0x80000000
	s_cmp_nlt_f32 s9, 0xc2ce8ed0
	s_wait_alu 0xfffe
	s_fmamk_f32 s0, s9, 0x3fb8aa3b, s0
	s_wait_alu 0xfffe
	s_delay_alu instid0(SALU_CYCLE_2) | instskip(SKIP_1) | instid1(SALU_CYCLE_2)
	s_fmamk_f32 s0, s9, 0x32a5705f, s0
	s_wait_alu 0xfffe
	s_add_f32 s0, s13, s0
	s_wait_alu 0xfffe
	s_delay_alu instid0(SALU_CYCLE_2) | instskip(SKIP_1) | instid1(TRANS32_DEP_1)
	v_s_exp_f32 s0, s0
	s_wait_alu 0xf1ff
	v_ldexp_f32 v7, s0, s10
	s_cselect_b32 s0, -1, 0
	s_cmp_ngt_f32 s9, 0x42b17218
	s_wait_alu 0xfffe
	s_delay_alu instid0(VALU_DEP_1) | instskip(SKIP_3) | instid1(VALU_DEP_1)
	v_cndmask_b32_e64 v7, 0, v7, s0
	s_cselect_b32 s0, -1, 0
	s_cmp_ge_f32 s9, 0xc1a00000
	s_wait_alu 0xfffe
	v_cndmask_b32_e64 v7, 0x7f800000, v7, s0
	s_cselect_b32 s0, -1, 0
	s_add_co_i32 s1, s1, -1
	s_add_co_i32 s4, s4, -8
	s_wait_alu 0xfffe
	s_cmp_le_i32 s1, s8
	v_cndmask_b32_e64 v7, 0, v7, s0
	s_mov_b32 s0, s5
	s_wait_loadcnt 0x0
	s_delay_alu instid0(VALU_DEP_1) | instskip(NEXT) | instid1(VALU_DEP_1)
	v_dual_mul_f32 v5, v0, v7 :: v_dual_cndmask_b32 v4, 0, v4
	v_dual_mul_f32 v8, s11, v7 :: v_dual_fmac_f32 v5, v9, v4
	s_delay_alu instid0(VALU_DEP_1) | instskip(NEXT) | instid1(VALU_DEP_1)
	v_mov_b32_e32 v6, v8
	v_fmac_f32_e32 v6, v10, v4
	s_cbranch_scc0 .LBB28_3
	s_branch .LBB28_5
.LBB28_4:
	s_wait_kmcnt 0x0
	v_mov_b32_e32 v6, s11
.LBB28_5:
	s_wait_loadcnt 0x0
	s_delay_alu instid0(VALU_DEP_1) | instskip(NEXT) | instid1(VALU_DEP_1)
	v_div_scale_f32 v0, null, v6, v6, v5
	v_rcp_f32_e32 v3, v0
	s_delay_alu instid0(TRANS32_DEP_1) | instskip(NEXT) | instid1(VALU_DEP_1)
	v_fma_f32 v4, -v0, v3, 1.0
	v_fmac_f32_e32 v3, v4, v3
	v_div_scale_f32 v4, vcc_lo, v5, v6, v5
	s_delay_alu instid0(VALU_DEP_1) | instskip(NEXT) | instid1(VALU_DEP_1)
	v_mul_f32_e32 v7, v4, v3
	v_fma_f32 v8, -v0, v7, v4
	s_delay_alu instid0(VALU_DEP_1) | instskip(NEXT) | instid1(VALU_DEP_1)
	v_fmac_f32_e32 v7, v8, v3
	v_fma_f32 v0, -v0, v7, v4
	s_wait_alu 0xfffd
	s_delay_alu instid0(VALU_DEP_1) | instskip(NEXT) | instid1(VALU_DEP_1)
	v_div_fmas_f32 v0, v0, v3, v7
	v_div_fixup_f32 v0, v0, v6, v5
	global_store_b32 v[1:2], v0, off
.LBB28_6:
	s_endpgm
	.section	.rodata,"a",@progbits
	.p2align	6, 0x0
	.amdhsa_kernel _ZL33flash_attn_stream_k_fixup_uniformILi64ELi2ELi4EEvPfPK15HIP_vector_typeIfLj2EEiiiiiiS1_IjLj3EES5_S5_
		.amdhsa_group_segment_fixed_size 0
		.amdhsa_private_segment_fixed_size 0
		.amdhsa_kernarg_size 76
		.amdhsa_user_sgpr_count 2
		.amdhsa_user_sgpr_dispatch_ptr 0
		.amdhsa_user_sgpr_queue_ptr 0
		.amdhsa_user_sgpr_kernarg_segment_ptr 1
		.amdhsa_user_sgpr_dispatch_id 0
		.amdhsa_user_sgpr_private_segment_size 0
		.amdhsa_wavefront_size32 1
		.amdhsa_uses_dynamic_stack 0
		.amdhsa_enable_private_segment 0
		.amdhsa_system_sgpr_workgroup_id_x 1
		.amdhsa_system_sgpr_workgroup_id_y 1
		.amdhsa_system_sgpr_workgroup_id_z 1
		.amdhsa_system_sgpr_workgroup_info 0
		.amdhsa_system_vgpr_workitem_id 0
		.amdhsa_next_free_vgpr 11
		.amdhsa_next_free_sgpr 16
		.amdhsa_reserve_vcc 1
		.amdhsa_float_round_mode_32 0
		.amdhsa_float_round_mode_16_64 0
		.amdhsa_float_denorm_mode_32 3
		.amdhsa_float_denorm_mode_16_64 3
		.amdhsa_fp16_overflow 0
		.amdhsa_workgroup_processor_mode 1
		.amdhsa_memory_ordered 1
		.amdhsa_forward_progress 1
		.amdhsa_inst_pref_size 9
		.amdhsa_round_robin_scheduling 0
		.amdhsa_exception_fp_ieee_invalid_op 0
		.amdhsa_exception_fp_denorm_src 0
		.amdhsa_exception_fp_ieee_div_zero 0
		.amdhsa_exception_fp_ieee_overflow 0
		.amdhsa_exception_fp_ieee_underflow 0
		.amdhsa_exception_fp_ieee_inexact 0
		.amdhsa_exception_int_div_zero 0
	.end_amdhsa_kernel
	.section	.text._ZL33flash_attn_stream_k_fixup_uniformILi64ELi2ELi4EEvPfPK15HIP_vector_typeIfLj2EEiiiiiiS1_IjLj3EES5_S5_,"axG",@progbits,_ZL33flash_attn_stream_k_fixup_uniformILi64ELi2ELi4EEvPfPK15HIP_vector_typeIfLj2EEiiiiiiS1_IjLj3EES5_S5_,comdat
.Lfunc_end28:
	.size	_ZL33flash_attn_stream_k_fixup_uniformILi64ELi2ELi4EEvPfPK15HIP_vector_typeIfLj2EEiiiiiiS1_IjLj3EES5_S5_, .Lfunc_end28-_ZL33flash_attn_stream_k_fixup_uniformILi64ELi2ELi4EEvPfPK15HIP_vector_typeIfLj2EEiiiiiiS1_IjLj3EES5_S5_
                                        ; -- End function
	.set _ZL33flash_attn_stream_k_fixup_uniformILi64ELi2ELi4EEvPfPK15HIP_vector_typeIfLj2EEiiiiiiS1_IjLj3EES5_S5_.num_vgpr, 11
	.set _ZL33flash_attn_stream_k_fixup_uniformILi64ELi2ELi4EEvPfPK15HIP_vector_typeIfLj2EEiiiiiiS1_IjLj3EES5_S5_.num_agpr, 0
	.set _ZL33flash_attn_stream_k_fixup_uniformILi64ELi2ELi4EEvPfPK15HIP_vector_typeIfLj2EEiiiiiiS1_IjLj3EES5_S5_.numbered_sgpr, 16
	.set _ZL33flash_attn_stream_k_fixup_uniformILi64ELi2ELi4EEvPfPK15HIP_vector_typeIfLj2EEiiiiiiS1_IjLj3EES5_S5_.num_named_barrier, 0
	.set _ZL33flash_attn_stream_k_fixup_uniformILi64ELi2ELi4EEvPfPK15HIP_vector_typeIfLj2EEiiiiiiS1_IjLj3EES5_S5_.private_seg_size, 0
	.set _ZL33flash_attn_stream_k_fixup_uniformILi64ELi2ELi4EEvPfPK15HIP_vector_typeIfLj2EEiiiiiiS1_IjLj3EES5_S5_.uses_vcc, 1
	.set _ZL33flash_attn_stream_k_fixup_uniformILi64ELi2ELi4EEvPfPK15HIP_vector_typeIfLj2EEiiiiiiS1_IjLj3EES5_S5_.uses_flat_scratch, 0
	.set _ZL33flash_attn_stream_k_fixup_uniformILi64ELi2ELi4EEvPfPK15HIP_vector_typeIfLj2EEiiiiiiS1_IjLj3EES5_S5_.has_dyn_sized_stack, 0
	.set _ZL33flash_attn_stream_k_fixup_uniformILi64ELi2ELi4EEvPfPK15HIP_vector_typeIfLj2EEiiiiiiS1_IjLj3EES5_S5_.has_recursion, 0
	.set _ZL33flash_attn_stream_k_fixup_uniformILi64ELi2ELi4EEvPfPK15HIP_vector_typeIfLj2EEiiiiiiS1_IjLj3EES5_S5_.has_indirect_call, 0
	.section	.AMDGPU.csdata,"",@progbits
; Kernel info:
; codeLenInByte = 1140
; TotalNumSgprs: 18
; NumVgprs: 11
; ScratchSize: 0
; MemoryBound: 0
; FloatMode: 240
; IeeeMode: 1
; LDSByteSize: 0 bytes/workgroup (compile time only)
; SGPRBlocks: 0
; VGPRBlocks: 1
; NumSGPRsForWavesPerEU: 18
; NumVGPRsForWavesPerEU: 11
; Occupancy: 16
; WaveLimiterHint : 0
; COMPUTE_PGM_RSRC2:SCRATCH_EN: 0
; COMPUTE_PGM_RSRC2:USER_SGPR: 2
; COMPUTE_PGM_RSRC2:TRAP_HANDLER: 0
; COMPUTE_PGM_RSRC2:TGID_X_EN: 1
; COMPUTE_PGM_RSRC2:TGID_Y_EN: 1
; COMPUTE_PGM_RSRC2:TGID_Z_EN: 1
; COMPUTE_PGM_RSRC2:TIDIG_COMP_CNT: 0
	.section	.text._ZL33flash_attn_stream_k_fixup_generalILi64ELi2ELi4EEvPfPK15HIP_vector_typeIfLj2EEiiiiS1_IjLj3EES5_S5_S5_,"axG",@progbits,_ZL33flash_attn_stream_k_fixup_generalILi64ELi2ELi4EEvPfPK15HIP_vector_typeIfLj2EEiiiiS1_IjLj3EES5_S5_S5_,comdat
	.globl	_ZL33flash_attn_stream_k_fixup_generalILi64ELi2ELi4EEvPfPK15HIP_vector_typeIfLj2EEiiiiS1_IjLj3EES5_S5_S5_ ; -- Begin function _ZL33flash_attn_stream_k_fixup_generalILi64ELi2ELi4EEvPfPK15HIP_vector_typeIfLj2EEiiiiS1_IjLj3EES5_S5_S5_
	.p2align	8
	.type	_ZL33flash_attn_stream_k_fixup_generalILi64ELi2ELi4EEvPfPK15HIP_vector_typeIfLj2EEiiiiS1_IjLj3EES5_S5_S5_,@function
_ZL33flash_attn_stream_k_fixup_generalILi64ELi2ELi4EEvPfPK15HIP_vector_typeIfLj2EEiiiiS1_IjLj3EES5_S5_S5_: ; @_ZL33flash_attn_stream_k_fixup_generalILi64ELi2ELi4EEvPfPK15HIP_vector_typeIfLj2EEiiiiS1_IjLj3EES5_S5_S5_
; %bb.0:
	s_clause 0x1
	s_load_b128 s[4:7], s[0:1], 0x10
	s_load_b32 s16, s[0:1], 0x50
	s_mov_b32 s2, ttmp9
	s_ashr_i32 s3, ttmp9, 31
	s_mov_b32 s17, 0
	s_delay_alu instid0(SALU_CYCLE_1) | instskip(SKIP_3) | instid1(SALU_CYCLE_1)
	s_mov_b32 s8, s17
	s_wait_kmcnt 0x0
	s_ashr_i32 s19, s7, 31
	s_mov_b32 s18, s7
	s_mul_u64 s[2:3], s[18:19], s[2:3]
	s_delay_alu instid0(SALU_CYCLE_1) | instskip(NEXT) | instid1(SALU_CYCLE_1)
	s_mov_b32 s9, s3
	s_cmp_lg_u64 s[8:9], 0
	s_cbranch_scc0 .LBB29_21
; %bb.1:
	s_add_nc_u64 s[8:9], s[16:17], 0
	s_mov_b32 s15, s17
	s_xor_b64 s[8:9], s[8:9], 0
	s_mov_b32 s23, s17
	s_cvt_f32_u32 s7, s8
	s_cvt_f32_u32 s10, s9
	s_sub_nc_u64 s[12:13], 0, s[8:9]
	s_delay_alu instid0(SALU_CYCLE_2) | instskip(NEXT) | instid1(SALU_CYCLE_3)
	s_fmamk_f32 s7, s10, 0x4f800000, s7
	v_s_rcp_f32 s7, s7
	s_delay_alu instid0(TRANS32_DEP_1) | instskip(SKIP_1) | instid1(SALU_CYCLE_2)
	s_mul_f32 s7, s7, 0x5f7ffffc
	s_wait_alu 0xfffe
	s_mul_f32 s10, s7, 0x2f800000
	s_delay_alu instid0(SALU_CYCLE_3) | instskip(NEXT) | instid1(SALU_CYCLE_3)
	s_trunc_f32 s10, s10
	s_fmamk_f32 s7, s10, 0xcf800000, s7
	s_cvt_u32_f32 s11, s10
	s_wait_alu 0xfffe
	s_delay_alu instid0(SALU_CYCLE_1) | instskip(NEXT) | instid1(SALU_CYCLE_3)
	s_cvt_u32_f32 s10, s7
	s_mul_u64 s[20:21], s[12:13], s[10:11]
	s_delay_alu instid0(SALU_CYCLE_1)
	s_mul_hi_u32 s25, s10, s21
	s_mul_i32 s24, s10, s21
	s_mul_hi_u32 s14, s10, s20
	s_mul_i32 s22, s11, s20
	s_add_nc_u64 s[14:15], s[14:15], s[24:25]
	s_mul_hi_u32 s7, s11, s20
	s_mul_hi_u32 s26, s11, s21
	s_add_co_u32 s14, s14, s22
	s_wait_alu 0xfffe
	s_add_co_ci_u32 s22, s15, s7
	s_mul_i32 s20, s11, s21
	s_add_co_ci_u32 s21, s26, 0
	s_delay_alu instid0(SALU_CYCLE_1)
	s_add_nc_u64 s[14:15], s[22:23], s[20:21]
	s_mov_b32 s21, s17
	s_add_co_u32 s10, s10, s14
	s_cselect_b32 s7, -1, 0
	s_wait_alu 0xfffe
	s_cmp_lg_u32 s7, 0
	s_add_co_ci_u32 s11, s11, s15
	s_mov_b32 s15, s17
	s_mul_u64 s[12:13], s[12:13], s[10:11]
	s_delay_alu instid0(SALU_CYCLE_1)
	s_mul_hi_u32 s23, s10, s13
	s_mul_i32 s22, s10, s13
	s_mul_hi_u32 s14, s10, s12
	s_mul_i32 s20, s11, s12
	s_add_nc_u64 s[14:15], s[14:15], s[22:23]
	s_mul_hi_u32 s7, s11, s12
	s_mul_hi_u32 s24, s11, s13
	s_mul_i32 s12, s11, s13
	s_add_co_u32 s13, s14, s20
	s_wait_alu 0xfffe
	s_add_co_ci_u32 s20, s15, s7
	s_add_co_ci_u32 s13, s24, 0
	s_mov_b32 s15, s17
	s_add_nc_u64 s[12:13], s[20:21], s[12:13]
	s_delay_alu instid0(SALU_CYCLE_1) | instskip(SKIP_1) | instid1(SALU_CYCLE_1)
	s_add_co_u32 s7, s10, s12
	s_cselect_b32 s10, -1, 0
	s_cmp_lg_u32 s10, 0
	s_add_co_ci_u32 s20, s11, s13
	s_ashr_i32 s10, s3, 31
	s_delay_alu instid0(SALU_CYCLE_1) | instskip(NEXT) | instid1(SALU_CYCLE_1)
	s_mov_b32 s11, s10
	s_add_nc_u64 s[12:13], s[2:3], s[10:11]
	s_delay_alu instid0(SALU_CYCLE_1) | instskip(NEXT) | instid1(SALU_CYCLE_1)
	s_xor_b64 s[12:13], s[12:13], s[10:11]
	s_mul_hi_u32 s23, s12, s20
	s_mul_i32 s22, s12, s20
	s_wait_alu 0xfffe
	s_mul_hi_u32 s14, s12, s7
	s_mul_hi_u32 s24, s13, s7
	s_mul_i32 s7, s13, s7
	s_add_nc_u64 s[14:15], s[14:15], s[22:23]
	s_mul_hi_u32 s3, s13, s20
	s_wait_alu 0xfffe
	s_add_co_u32 s7, s14, s7
	s_mul_i32 s22, s13, s20
	s_add_co_ci_u32 s20, s15, s24
	s_add_co_ci_u32 s23, s3, 0
	s_delay_alu instid0(SALU_CYCLE_1) | instskip(NEXT) | instid1(SALU_CYCLE_1)
	s_add_nc_u64 s[14:15], s[20:21], s[22:23]
	s_mul_u64 s[20:21], s[8:9], s[14:15]
	s_delay_alu instid0(SALU_CYCLE_1)
	s_sub_co_u32 s3, s12, s20
	s_cselect_b32 s7, -1, 0
	s_sub_co_i32 s12, s13, s21
	s_wait_alu 0xfffe
	s_cmp_lg_u32 s7, 0
	s_sub_co_ci_u32 s12, s12, s9
	s_sub_co_u32 s20, s3, s8
	s_cselect_b32 s22, -1, 0
	s_delay_alu instid0(SALU_CYCLE_1) | instskip(SKIP_2) | instid1(SALU_CYCLE_1)
	s_cmp_lg_u32 s22, 0
	s_add_nc_u64 s[22:23], s[14:15], 1
	s_sub_co_ci_u32 s12, s12, 0
	s_cmp_ge_u32 s12, s9
	s_cselect_b32 s24, -1, 0
	s_cmp_ge_u32 s20, s8
	s_cselect_b32 s20, -1, 0
	s_cmp_eq_u32 s12, s9
	s_cselect_b32 s12, s20, s24
	s_add_nc_u64 s[24:25], s[14:15], 2
	s_cmp_lg_u32 s12, 0
	s_cselect_b32 s12, s24, s22
	s_cselect_b32 s20, s25, s23
	s_cmp_lg_u32 s7, 0
	s_sub_co_ci_u32 s7, s13, s21
	s_wait_alu 0xfffe
	s_cmp_ge_u32 s7, s9
	s_cselect_b32 s13, -1, 0
	s_cmp_ge_u32 s3, s8
	s_cselect_b32 s3, -1, 0
	s_cmp_eq_u32 s7, s9
	s_cselect_b32 s3, s3, s13
	s_delay_alu instid0(SALU_CYCLE_1) | instskip(SKIP_4) | instid1(SALU_CYCLE_1)
	s_cmp_lg_u32 s3, 0
	s_mov_b32 s3, s17
	s_cselect_b32 s9, s20, s15
	s_cselect_b32 s8, s12, s14
	s_xor_b64 s[10:11], s[10:11], 0
	s_xor_b64 s[8:9], s[8:9], s[10:11]
	s_delay_alu instid0(SALU_CYCLE_1)
	s_sub_nc_u64 s[20:21], s[8:9], s[10:11]
	s_and_not1_b32 vcc_lo, exec_lo, s3
	s_cbranch_vccnz .LBB29_3
.LBB29_2:
	v_cvt_f32_u32_e32 v1, s16
	s_sub_co_i32 s7, 0, s16
	s_delay_alu instid0(VALU_DEP_1) | instskip(NEXT) | instid1(TRANS32_DEP_1)
	v_rcp_iflag_f32_e32 v1, v1
	v_mul_f32_e32 v1, 0x4f7ffffe, v1
	s_delay_alu instid0(VALU_DEP_1) | instskip(NEXT) | instid1(VALU_DEP_1)
	v_cvt_u32_f32_e32 v1, v1
	v_readfirstlane_b32 s3, v1
	s_wait_alu 0xfffe
	s_mul_i32 s7, s7, s3
	s_wait_alu 0xfffe
	s_mul_hi_u32 s7, s3, s7
	s_wait_alu 0xfffe
	s_add_co_i32 s3, s3, s7
	s_delay_alu instid0(SALU_CYCLE_1) | instskip(NEXT) | instid1(SALU_CYCLE_1)
	s_mul_hi_u32 s3, s2, s3
	s_mul_i32 s7, s3, s16
	s_wait_alu 0xfffe
	s_sub_co_i32 s2, s2, s7
	s_add_co_i32 s7, s3, 1
	s_sub_co_i32 s8, s2, s16
	s_cmp_ge_u32 s2, s16
	s_wait_alu 0xfffe
	s_cselect_b32 s3, s7, s3
	s_cselect_b32 s2, s8, s2
	s_add_co_i32 s7, s3, 1
	s_cmp_ge_u32 s2, s16
	s_wait_alu 0xfffe
	s_cselect_b32 s20, s7, s3
.LBB29_3:
	s_add_co_i32 s2, ttmp9, 1
	s_mov_b32 s8, 0
	s_ashr_i32 s3, s2, 31
	s_delay_alu instid0(SALU_CYCLE_1) | instskip(NEXT) | instid1(SALU_CYCLE_1)
	s_mul_u64 s[2:3], s[18:19], s[2:3]
	s_mov_b32 s9, s3
	s_delay_alu instid0(SALU_CYCLE_1)
	s_cmp_lg_u64 s[8:9], 0
	s_cbranch_scc0 .LBB29_22
; %bb.4:
	s_add_nc_u64 s[10:11], s[16:17], 0
	s_mov_b32 s23, s8
	s_xor_b64 s[10:11], s[10:11], 0
	s_mov_b32 s27, s8
	s_cvt_f32_u32 s7, s10
	s_cvt_f32_u32 s9, s11
	s_sub_nc_u64 s[14:15], 0, s[10:11]
	s_wait_alu 0xfffe
	s_delay_alu instid0(SALU_CYCLE_1) | instskip(SKIP_1) | instid1(SALU_CYCLE_2)
	s_fmamk_f32 s7, s9, 0x4f800000, s7
	s_wait_alu 0xfffe
	v_s_rcp_f32 s7, s7
	s_delay_alu instid0(TRANS32_DEP_1) | instskip(SKIP_1) | instid1(SALU_CYCLE_2)
	s_mul_f32 s7, s7, 0x5f7ffffc
	s_wait_alu 0xfffe
	s_mul_f32 s9, s7, 0x2f800000
	s_delay_alu instid0(SALU_CYCLE_3) | instskip(NEXT) | instid1(SALU_CYCLE_3)
	s_trunc_f32 s9, s9
	s_fmamk_f32 s7, s9, 0xcf800000, s7
	s_cvt_u32_f32 s13, s9
	s_wait_alu 0xfffe
	s_delay_alu instid0(SALU_CYCLE_1) | instskip(NEXT) | instid1(SALU_CYCLE_3)
	s_cvt_u32_f32 s12, s7
	s_mul_u64 s[24:25], s[14:15], s[12:13]
	s_delay_alu instid0(SALU_CYCLE_1)
	s_mul_hi_u32 s29, s12, s25
	s_mul_i32 s28, s12, s25
	s_mul_hi_u32 s22, s12, s24
	s_mul_i32 s9, s13, s24
	s_add_nc_u64 s[22:23], s[22:23], s[28:29]
	s_mul_hi_u32 s7, s13, s24
	s_mul_hi_u32 s21, s13, s25
	s_add_co_u32 s9, s22, s9
	s_wait_alu 0xfffe
	s_add_co_ci_u32 s26, s23, s7
	s_mul_i32 s24, s13, s25
	s_add_co_ci_u32 s25, s21, 0
	s_delay_alu instid0(SALU_CYCLE_1)
	s_add_nc_u64 s[22:23], s[26:27], s[24:25]
	s_mov_b32 s25, s8
	s_add_co_u32 s12, s12, s22
	s_cselect_b32 s7, -1, 0
	s_wait_alu 0xfffe
	s_cmp_lg_u32 s7, 0
	s_add_co_ci_u32 s13, s13, s23
	s_mov_b32 s23, s8
	s_mul_u64 s[14:15], s[14:15], s[12:13]
	s_delay_alu instid0(SALU_CYCLE_1)
	s_mul_hi_u32 s27, s12, s15
	s_mul_i32 s26, s12, s15
	s_mul_hi_u32 s22, s12, s14
	s_mul_i32 s9, s13, s14
	s_add_nc_u64 s[22:23], s[22:23], s[26:27]
	s_mul_hi_u32 s7, s13, s14
	s_mul_hi_u32 s21, s13, s15
	s_add_co_u32 s9, s22, s9
	s_wait_alu 0xfffe
	s_add_co_ci_u32 s24, s23, s7
	s_mul_i32 s14, s13, s15
	s_add_co_ci_u32 s15, s21, 0
	s_mov_b32 s23, s8
	s_add_nc_u64 s[14:15], s[24:25], s[14:15]
	s_delay_alu instid0(SALU_CYCLE_1) | instskip(SKIP_1) | instid1(SALU_CYCLE_1)
	s_add_co_u32 s7, s12, s14
	s_cselect_b32 s9, -1, 0
	s_cmp_lg_u32 s9, 0
	s_add_co_ci_u32 s9, s13, s15
	s_ashr_i32 s12, s3, 31
	s_delay_alu instid0(SALU_CYCLE_1) | instskip(NEXT) | instid1(SALU_CYCLE_1)
	s_mov_b32 s13, s12
	s_add_nc_u64 s[14:15], s[2:3], s[12:13]
	s_delay_alu instid0(SALU_CYCLE_1) | instskip(NEXT) | instid1(SALU_CYCLE_1)
	s_xor_b64 s[14:15], s[14:15], s[12:13]
	s_mul_hi_u32 s27, s14, s9
	s_mul_i32 s26, s14, s9
	s_wait_alu 0xfffe
	s_mul_hi_u32 s22, s14, s7
	s_mul_hi_u32 s21, s15, s7
	s_mul_i32 s7, s15, s7
	s_add_nc_u64 s[22:23], s[22:23], s[26:27]
	s_mul_hi_u32 s3, s15, s9
	s_wait_alu 0xfffe
	s_add_co_u32 s7, s22, s7
	s_add_co_ci_u32 s24, s23, s21
	s_mul_i32 s26, s15, s9
	s_add_co_ci_u32 s27, s3, 0
	s_delay_alu instid0(SALU_CYCLE_1) | instskip(NEXT) | instid1(SALU_CYCLE_1)
	s_add_nc_u64 s[22:23], s[24:25], s[26:27]
	s_mul_u64 s[24:25], s[10:11], s[22:23]
	s_add_nc_u64 s[26:27], s[22:23], 1
	s_sub_co_u32 s3, s14, s24
	s_cselect_b32 s7, -1, 0
	s_sub_co_i32 s9, s15, s25
	s_wait_alu 0xfffe
	s_cmp_lg_u32 s7, 0
	s_add_nc_u64 s[28:29], s[22:23], 2
	s_sub_co_ci_u32 s9, s9, s11
	s_sub_co_u32 s14, s3, s10
	s_cselect_b32 s21, -1, 0
	s_delay_alu instid0(SALU_CYCLE_1) | instskip(SKIP_1) | instid1(SALU_CYCLE_1)
	s_cmp_lg_u32 s21, 0
	s_sub_co_ci_u32 s9, s9, 0
	s_cmp_ge_u32 s9, s11
	s_cselect_b32 s21, -1, 0
	s_cmp_ge_u32 s14, s10
	s_cselect_b32 s14, -1, 0
	s_cmp_eq_u32 s9, s11
	s_cselect_b32 s9, s14, s21
	s_delay_alu instid0(SALU_CYCLE_1)
	s_cmp_lg_u32 s9, 0
	s_cselect_b32 s9, s28, s26
	s_cselect_b32 s14, s29, s27
	s_cmp_lg_u32 s7, 0
	s_sub_co_ci_u32 s7, s15, s25
	s_wait_alu 0xfffe
	s_cmp_ge_u32 s7, s11
	s_cselect_b32 s15, -1, 0
	s_cmp_ge_u32 s3, s10
	s_cselect_b32 s3, -1, 0
	s_cmp_eq_u32 s7, s11
	s_cselect_b32 s3, s3, s15
	s_delay_alu instid0(SALU_CYCLE_1) | instskip(SKIP_3) | instid1(SALU_CYCLE_1)
	s_cmp_lg_u32 s3, 0
	s_cselect_b32 s11, s14, s23
	s_cselect_b32 s10, s9, s22
	s_xor_b64 s[12:13], s[12:13], 0
	s_xor_b64 s[10:11], s[10:11], s[12:13]
	s_delay_alu instid0(SALU_CYCLE_1)
	s_sub_nc_u64 s[10:11], s[10:11], s[12:13]
	s_load_b96 s[12:14], s[0:1], 0x44
	s_and_not1_b32 vcc_lo, exec_lo, s8
	s_cbranch_vccnz .LBB29_6
.LBB29_5:
	v_cvt_f32_u32_e32 v1, s16
	s_sub_co_i32 s7, 0, s16
	s_delay_alu instid0(VALU_DEP_1) | instskip(NEXT) | instid1(TRANS32_DEP_1)
	v_rcp_iflag_f32_e32 v1, v1
	v_mul_f32_e32 v1, 0x4f7ffffe, v1
	s_delay_alu instid0(VALU_DEP_1) | instskip(NEXT) | instid1(VALU_DEP_1)
	v_cvt_u32_f32_e32 v1, v1
	v_readfirstlane_b32 s3, v1
	s_wait_alu 0xfffe
	s_mul_i32 s7, s7, s3
	s_wait_alu 0xfffe
	s_mul_hi_u32 s7, s3, s7
	s_wait_alu 0xfffe
	s_add_co_i32 s3, s3, s7
	s_delay_alu instid0(SALU_CYCLE_1) | instskip(NEXT) | instid1(SALU_CYCLE_1)
	s_mul_hi_u32 s3, s2, s3
	s_mul_i32 s7, s3, s16
	s_wait_alu 0xfffe
	s_sub_co_i32 s2, s2, s7
	s_add_co_i32 s7, s3, 1
	s_sub_co_i32 s8, s2, s16
	s_cmp_ge_u32 s2, s16
	s_wait_alu 0xfffe
	s_cselect_b32 s3, s7, s3
	s_cselect_b32 s2, s8, s2
	s_add_co_i32 s7, s3, 1
	s_cmp_ge_u32 s2, s16
	s_wait_alu 0xfffe
	s_cselect_b32 s10, s7, s3
.LBB29_6:
	s_mov_b32 s21, 0
	s_wait_kmcnt 0x0
	s_mov_b32 s22, s12
	s_mov_b32 s23, s21
	s_cmp_eq_u32 s20, s10
	s_mul_u64 s[2:3], s[20:21], s[22:23]
	s_cselect_b32 s7, -1, 0
	s_add_co_i32 s2, s3, s20
	s_mov_b32 s11, s21
	s_lshr_b32 s12, s2, s13
	s_mul_u64 s[2:3], s[10:11], s[22:23]
	s_mul_i32 s2, s12, s14
	s_delay_alu instid0(SALU_CYCLE_1) | instskip(SKIP_2) | instid1(SALU_CYCLE_1)
	s_cmp_eq_u32 s2, s20
	s_cselect_b32 s2, -1, 0
	s_add_co_i32 s3, s3, s10
	s_lshr_b32 s3, s3, s13
	s_delay_alu instid0(SALU_CYCLE_1)
	s_cmp_eq_u32 s12, s3
	s_mul_i32 s3, s3, s14
	s_cselect_b32 s8, -1, 0
	s_cmp_lg_u32 s3, s10
	s_cselect_b32 s3, -1, 0
	s_wait_alu 0xfffe
	s_or_b32 s2, s7, s2
	s_and_b32 s3, s8, s3
	s_delay_alu instid0(SALU_CYCLE_1) | instskip(NEXT) | instid1(SALU_CYCLE_1)
	s_or_b32 s2, s2, s3
	s_and_b32 vcc_lo, exec_lo, s2
	s_cbranch_vccnz .LBB29_24
; %bb.7:
	s_load_b256 s[24:31], s[0:1], 0x20
	s_mov_b32 s3, s21
	s_wait_kmcnt 0x0
	s_mov_b32 s2, s24
	s_delay_alu instid0(SALU_CYCLE_1) | instskip(NEXT) | instid1(SALU_CYCLE_1)
	s_mul_u64 s[2:3], s[20:21], s[2:3]
	s_add_co_i32 s2, s3, s20
	s_delay_alu instid0(SALU_CYCLE_1) | instskip(SKIP_2) | instid1(SALU_CYCLE_1)
	s_lshr_b32 s7, s2, s25
	s_load_b32 s2, s[0:1], 0x40
	s_mul_i32 s3, s7, s26
	s_sub_co_i32 s3, s20, s3
	s_delay_alu instid0(SALU_CYCLE_1) | instskip(NEXT) | instid1(SALU_CYCLE_1)
	s_mul_hi_u32 s8, s3, s27
	s_add_co_i32 s8, s3, s8
	s_delay_alu instid0(SALU_CYCLE_1) | instskip(NEXT) | instid1(SALU_CYCLE_1)
	s_lshr_b32 s8, s8, s28
	s_mul_i32 s9, s8, s29
	s_delay_alu instid0(SALU_CYCLE_1) | instskip(NEXT) | instid1(SALU_CYCLE_1)
	s_sub_co_i32 s9, s3, s9
	s_mul_hi_u32 s3, s9, s30
	s_delay_alu instid0(SALU_CYCLE_1) | instskip(NEXT) | instid1(SALU_CYCLE_1)
	s_add_co_i32 s3, s9, s3
	s_lshr_b32 s24, s3, s31
	s_mov_b32 s3, s21
	s_wait_kmcnt 0x0
	s_mul_i32 s2, s24, s2
	s_lshl_b32 s21, s24, 2
	s_sub_co_i32 s2, s9, s2
	s_delay_alu instid0(SALU_CYCLE_1) | instskip(SKIP_2) | instid1(SALU_CYCLE_1)
	s_mul_u64 s[10:11], s[2:3], s[22:23]
	s_lshr_b32 s3, ttmp7, 16
	s_add_co_i32 s2, s2, s11
	s_lshr_b32 s15, s2, s13
	s_and_b32 s2, ttmp7, 0xffff
	s_lshl_b32 s9, s15, 1
	s_delay_alu instid0(SALU_CYCLE_1) | instskip(NEXT) | instid1(SALU_CYCLE_1)
	s_add_co_i32 s9, s9, s2
	s_cmp_lt_i32 s9, s4
	s_cselect_b32 s9, -1, 0
	s_add_co_i32 s10, s21, s3
	s_delay_alu instid0(SALU_CYCLE_1) | instskip(SKIP_1) | instid1(SALU_CYCLE_1)
	s_cmp_lt_i32 s10, s6
	s_cselect_b32 s10, -1, 0
	s_and_b32 s9, s9, s10
	s_delay_alu instid0(SALU_CYCLE_1)
	s_and_not1_b32 vcc_lo, exec_lo, s9
	s_cbranch_vccnz .LBB29_24
; %bb.8:
	s_mul_i32 s4, s7, s4
	s_mul_i32 s6, s8, s6
	s_add_co_i32 s4, s4, s2
	s_load_b128 s[8:11], s[0:1], 0x0
	s_mul_i32 s4, s4, s5
	s_mul_i32 s1, s5, s15
	s_add_co_i32 s4, s4, s3
	s_lshl_b32 s1, s1, 7
	s_add_co_i32 s0, s4, s6
	s_lshl_b32 s15, s2, 2
	s_add_co_i32 s0, s0, s21
	s_add_co_i32 s15, s15, s3
	s_lshl_b32 s0, s0, 6
	v_cvt_f32_u32_e32 v4, s16
	s_add_co_i32 s1, s1, s0
	s_add_co_i32 s34, ttmp9, -1
	v_or_b32_e32 v1, s1, v0
	s_add_nc_u64 s[0:1], s[16:17], 0
	v_rcp_iflag_f32_e32 v4, v4
	s_wait_alu 0xfffe
	s_xor_b64 s[6:7], s[0:1], 0
	s_lshl_b32 s0, ttmp9, 3
	v_ashrrev_i32_e32 v2, 31, v1
	s_wait_alu 0xfffe
	s_cvt_f32_u32 s1, s6
	s_cvt_f32_u32 s2, s7
	s_add_co_i32 s0, s15, s0
	v_lshl_or_b32 v0, s15, 6, v0
	v_lshlrev_b64_e32 v[1:2], 2, v[1:2]
	s_wait_alu 0xfffe
	s_fmamk_f32 s2, s2, 0x4f800000, s1
	s_ashr_i32 s1, s0, 31
	s_sub_nc_u64 s[30:31], 0, s[6:7]
	s_wait_alu 0xfffe
	s_lshl_b64 s[0:1], s[0:1], 3
	v_s_rcp_f32 s2, s2
	s_wait_kmcnt 0x0
	v_add_co_u32 v1, vcc_lo, s8, v1
	s_delay_alu instid0(VALU_DEP_1)
	v_add_co_ci_u32_e64 v2, null, s9, v2, vcc_lo
	s_wait_alu 0xfffe
	s_add_nc_u64 s[0:1], s[10:11], s[0:1]
	s_mov_b32 s8, 0
	s_load_b64 s[26:27], s[0:1], 0x0
	global_load_b32 v3, v[1:2], off
	s_mul_f32 s2, s2, 0x5f7ffffc
	v_mul_f32_e32 v4, 0x4f7ffffe, v4
	s_lshl_b32 s0, s16, 5
	s_wait_alu 0xfffe
	s_mul_f32 s1, s2, 0x2f800000
	s_wait_alu 0xfffe
	s_delay_alu instid0(SALU_CYCLE_2)
	s_trunc_f32 s3, s1
	s_mov_b32 s1, s8
	s_wait_alu 0xfffe
	s_lshl_b64 s[0:1], s[0:1], 2
	s_fmamk_f32 s2, s3, 0xcf800000, s2
	s_cvt_u32_f32 s29, s3
	s_wait_alu 0xfffe
	s_add_nc_u64 s[24:25], s[10:11], s[0:1]
	s_cvt_u32_f32 s28, s2
	s_wait_kmcnt 0x0
	v_mov_b32_e32 v5, s27
	v_cvt_u32_f32_e32 v4, v4
.LBB29_9:                               ; =>This Inner Loop Header: Depth=1
	s_wait_alu 0xfffe
	s_ashr_i32 s35, s34, 31
	s_mov_b32 s2, -1
	s_wait_alu 0xfffe
	s_mul_u64 s[0:1], s[34:35], s[18:19]
                                        ; implicit-def: $sgpr38_sgpr39
	s_wait_alu 0xfffe
	s_mov_b32 s9, s1
	s_wait_alu 0xfffe
	s_cmp_lg_u64 s[8:9], 0
	s_cbranch_scc0 .LBB29_11
; %bb.10:                               ;   in Loop: Header=BB29_9 Depth=1
	s_mul_u64 s[2:3], s[30:31], s[28:29]
	s_mov_b32 s37, s8
	s_wait_alu 0xfffe
	s_mul_hi_u32 s5, s28, s3
	s_mul_i32 s4, s28, s3
	s_mul_hi_u32 s36, s28, s2
	s_mul_hi_u32 s9, s29, s2
	s_wait_alu 0xfffe
	s_add_nc_u64 s[4:5], s[36:37], s[4:5]
	s_mul_i32 s2, s29, s2
	s_mul_hi_u32 s17, s29, s3
	s_wait_alu 0xfffe
	s_add_co_u32 s2, s4, s2
	s_add_co_ci_u32 s2, s5, s9
	s_add_co_ci_u32 s5, s17, 0
	s_mul_i32 s4, s29, s3
	s_mov_b32 s3, s8
	s_mov_b32 s39, s8
	s_wait_alu 0xfffe
	s_add_nc_u64 s[2:3], s[2:3], s[4:5]
	s_wait_alu 0xfffe
	s_add_co_u32 s2, s28, s2
	s_cselect_b32 s4, -1, 0
	s_wait_alu 0xfffe
	s_cmp_lg_u32 s4, 0
	s_add_co_ci_u32 s3, s29, s3
	s_wait_alu 0xfffe
	s_mul_u64 s[4:5], s[30:31], s[2:3]
	s_wait_alu 0xfffe
	s_mul_hi_u32 s37, s2, s5
	s_mul_i32 s36, s2, s5
	s_mul_hi_u32 s38, s2, s4
	s_mul_hi_u32 s9, s3, s4
	s_mul_i32 s4, s3, s4
	s_wait_alu 0xfffe
	s_add_nc_u64 s[36:37], s[38:39], s[36:37]
	s_mul_hi_u32 s17, s3, s5
	s_wait_alu 0xfffe
	s_add_co_u32 s4, s36, s4
	s_add_co_ci_u32 s4, s37, s9
	s_add_co_ci_u32 s37, s17, 0
	s_mul_i32 s36, s3, s5
	s_mov_b32 s5, s8
	s_wait_alu 0xfffe
	s_add_nc_u64 s[4:5], s[4:5], s[36:37]
	s_mov_b32 s37, s8
	s_wait_alu 0xfffe
	s_add_co_u32 s9, s2, s4
	s_cselect_b32 s2, -1, 0
	s_wait_alu 0xfffe
	s_cmp_lg_u32 s2, 0
	s_add_co_ci_u32 s17, s3, s5
	s_ashr_i32 s2, s1, 31
	s_wait_alu 0xfffe
	s_mov_b32 s3, s2
	s_wait_alu 0xfffe
	s_add_nc_u64 s[4:5], s[0:1], s[2:3]
	s_wait_alu 0xfffe
	s_xor_b64 s[4:5], s[4:5], s[2:3]
	s_wait_alu 0xfffe
	s_mul_hi_u32 s39, s4, s17
	s_mul_i32 s38, s4, s17
	s_mul_hi_u32 s36, s4, s9
	s_mul_i32 s21, s5, s9
	s_wait_alu 0xfffe
	s_add_nc_u64 s[36:37], s[36:37], s[38:39]
	s_mul_hi_u32 s9, s5, s9
	s_mul_hi_u32 s1, s5, s17
	s_wait_alu 0xfffe
	s_add_co_u32 s21, s36, s21
	s_add_co_ci_u32 s36, s37, s9
	s_add_co_ci_u32 s39, s1, 0
	s_mul_i32 s38, s5, s17
	s_mov_b32 s37, s8
	s_wait_alu 0xfffe
	s_add_nc_u64 s[36:37], s[36:37], s[38:39]
	s_wait_alu 0xfffe
	s_mul_u64 s[38:39], s[6:7], s[36:37]
	s_add_nc_u64 s[40:41], s[36:37], 1
	s_sub_co_u32 s1, s4, s38
	s_cselect_b32 s4, -1, 0
	s_sub_co_i32 s9, s5, s39
	s_wait_alu 0xfffe
	s_cmp_lg_u32 s4, 0
	s_add_nc_u64 s[42:43], s[36:37], 2
	s_sub_co_ci_u32 s9, s9, s7
	s_sub_co_u32 s17, s1, s6
	s_cselect_b32 s21, -1, 0
	s_delay_alu instid0(SALU_CYCLE_1)
	s_cmp_lg_u32 s21, 0
	s_wait_alu 0xfffe
	s_sub_co_ci_u32 s9, s9, 0
	s_wait_alu 0xfffe
	s_cmp_ge_u32 s9, s7
	s_cselect_b32 s21, -1, 0
	s_cmp_ge_u32 s17, s6
	s_cselect_b32 s17, -1, 0
	s_cmp_eq_u32 s9, s7
	s_wait_alu 0xfffe
	s_cselect_b32 s9, s17, s21
	s_wait_alu 0xfffe
	s_cmp_lg_u32 s9, 0
	s_cselect_b32 s9, s42, s40
	s_cselect_b32 s17, s43, s41
	s_cmp_lg_u32 s4, 0
	s_sub_co_ci_u32 s4, s5, s39
	s_wait_alu 0xfffe
	s_cmp_ge_u32 s4, s7
	s_cselect_b32 s5, -1, 0
	s_cmp_ge_u32 s1, s6
	s_cselect_b32 s1, -1, 0
	s_cmp_eq_u32 s4, s7
	s_wait_alu 0xfffe
	s_cselect_b32 s1, s1, s5
	s_wait_alu 0xfffe
	s_cmp_lg_u32 s1, 0
	s_cselect_b32 s5, s17, s37
	s_cselect_b32 s4, s9, s36
	s_xor_b64 s[2:3], s[2:3], 0
	s_wait_alu 0xfffe
	s_xor_b64 s[4:5], s[4:5], s[2:3]
	s_wait_alu 0xfffe
	s_sub_nc_u64 s[38:39], s[4:5], s[2:3]
	s_mov_b32 s2, 0
.LBB29_11:                              ;   in Loop: Header=BB29_9 Depth=1
	s_wait_alu 0xfffe
	s_and_not1_b32 vcc_lo, exec_lo, s2
	s_wait_alu 0xfffe
	s_cbranch_vccnz .LBB29_13
; %bb.12:                               ;   in Loop: Header=BB29_9 Depth=1
	v_readfirstlane_b32 s1, v4
	s_sub_co_i32 s2, 0, s16
	s_wait_alu 0xfffe
	s_mul_i32 s2, s2, s1
	s_wait_alu 0xfffe
	s_mul_hi_u32 s2, s1, s2
	s_wait_alu 0xfffe
	s_add_co_i32 s1, s1, s2
	s_wait_alu 0xfffe
	s_mul_hi_u32 s1, s0, s1
	s_wait_alu 0xfffe
	s_mul_i32 s2, s1, s16
	s_wait_alu 0xfffe
	s_sub_co_i32 s0, s0, s2
	s_add_co_i32 s2, s1, 1
	s_wait_alu 0xfffe
	s_sub_co_i32 s3, s0, s16
	s_cmp_ge_u32 s0, s16
	s_cselect_b32 s1, s2, s1
	s_wait_alu 0xfffe
	s_cselect_b32 s0, s3, s0
	s_add_co_i32 s2, s1, 1
	s_wait_alu 0xfffe
	s_cmp_ge_u32 s0, s16
	s_cselect_b32 s38, s2, s1
.LBB29_13:                              ;   in Loop: Header=BB29_9 Depth=1
	v_readfirstlane_b32 s9, v0
	s_cmp_lg_u32 s20, s38
	s_mov_b32 s0, -1
                                        ; implicit-def: $sgpr21
                                        ; implicit-def: $vgpr6
                                        ; implicit-def: $vgpr7
                                        ; implicit-def: $sgpr17
                                        ; implicit-def: $sgpr27
	s_cbranch_scc1 .LBB29_16
; %bb.14:                               ;   in Loop: Header=BB29_9 Depth=1
	s_wait_alu 0xfffe
	s_and_not1_b32 vcc_lo, exec_lo, s0
	s_wait_alu 0xfffe
	s_cbranch_vccz .LBB29_19
.LBB29_15:                              ;   in Loop: Header=BB29_9 Depth=1
	s_and_not1_b32 vcc_lo, exec_lo, s21
	s_wait_alu 0xfffe
	s_cbranch_vccnz .LBB29_20
	s_branch .LBB29_23
.LBB29_16:                              ;   in Loop: Header=BB29_9 Depth=1
	s_add_co_i32 s0, s34, s16
	s_mov_b32 s1, s8
	s_wait_alu 0xfffe
	s_lshl_b32 s0, s0, 3
	v_max_num_f32_e64 v6, s26, s26
	s_wait_alu 0xfffe
	s_add_co_i32 s0, s0, s15
	s_mov_b32 s39, s8
	s_wait_alu 0xfffe
	s_lshl_b64 s[0:1], s[0:1], 3
	s_mul_u64 s[40:41], s[38:39], s[22:23]
	s_wait_alu 0xfffe
	s_add_nc_u64 s[0:1], s[10:11], s[0:1]
	s_mov_b32 s27, s20
	s_load_b64 s[36:37], s[0:1], 0x0
	v_readfirstlane_b32 s0, v6
	s_wait_kmcnt 0x0
	v_max_num_f32_e64 v7, s36, s36
	s_delay_alu instid0(VALU_DEP_1) | instskip(SKIP_2) | instid1(SALU_CYCLE_2)
	v_readfirstlane_b32 s1, v7
	s_max_num_f32 s9, s0, s1
	s_wait_alu 0xfffe
	s_sub_f32 s33, s26, s9
	s_sub_f32 s35, s36, s9
	s_wait_alu 0xfffe
	s_delay_alu instid0(SALU_CYCLE_1)
	s_cmp_nlt_f32 s33, 0xc2ce8ed0
	s_cselect_b32 s0, -1, 0
	s_cmp_ngt_f32 s33, 0x42b17218
	s_cselect_b32 s1, -1, 0
	s_cmp_ge_f32 s33, 0xc1a00000
	s_cselect_b32 s2, -1, 0
	s_cmp_nlt_f32 s35, 0xc2ce8ed0
	s_cselect_b32 s3, -1, 0
	s_cmp_ngt_f32 s35, 0x42b17218
	s_cselect_b32 s4, -1, 0
	s_cmp_ge_f32 s35, 0xc1a00000
	s_cselect_b32 s5, -1, 0
	s_add_co_i32 s17, s41, s38
	s_wait_alu 0xfffe
	s_lshr_b32 s17, s17, s13
	s_wait_alu 0xfffe
	s_mul_i32 s21, s17, s14
	s_delay_alu instid0(SALU_CYCLE_1)
	s_cmp_eq_u32 s21, s38
	s_cselect_b32 s21, -1, 0
	s_cmp_lt_u32 s17, s12
	s_cselect_b32 s17, -1, 0
	s_wait_alu 0xfffe
	s_or_b32 s17, s17, s21
	s_mov_b32 s21, -1
	s_wait_alu 0xfffe
	s_and_b32 vcc_lo, exec_lo, s17
	s_mov_b32 s17, s34
	s_wait_alu 0xfffe
	s_cbranch_vccnz .LBB29_18
; %bb.17:                               ;   in Loop: Header=BB29_9 Depth=1
	s_add_co_i32 s17, s34, -1
	s_mov_b32 s21, 0
	s_mov_b32 s27, s38
.LBB29_18:                              ;   in Loop: Header=BB29_9 Depth=1
	v_lshl_add_u32 v6, s34, 9, v0
	s_mul_f32 s36, s35, 0x3fb8aa3b
	s_mul_f32 s38, s33, 0x3fb8aa3b
	s_wait_alu 0xfffe
	s_delay_alu instid0(SALU_CYCLE_1)
	s_xor_b32 s39, s36, 0x80000000
	v_ashrrev_i32_e32 v7, 31, v6
	s_rndne_f32 s40, s36
	s_fmamk_f32 s39, s35, 0x3fb8aa3b, s39
	s_xor_b32 s41, s38, 0x80000000
	s_rndne_f32 s42, s38
	v_lshlrev_b64_e32 v[6:7], 2, v[6:7]
	s_sub_f32 s36, s36, s40
	s_fmamk_f32 s35, s35, 0x32a5705f, s39
	s_fmamk_f32 s39, s33, 0x3fb8aa3b, s41
	s_sub_f32 s38, s38, s42
	s_delay_alu instid0(VALU_DEP_1)
	v_add_co_u32 v6, vcc_lo, s24, v6
	s_wait_alu 0xfffd
	v_add_co_ci_u32_e64 v7, null, s25, v7, vcc_lo
	s_wait_alu 0xfffe
	s_add_f32 s35, s36, s35
	s_fmamk_f32 s33, s33, 0x32a5705f, s39
	s_cvt_i32_f32 s36, s40
	global_load_b32 v6, v[6:7], off
	s_wait_alu 0xfffe
	v_s_exp_f32 s35, s35
	s_add_f32 s33, s38, s33
	s_wait_alu 0xfffe
	s_delay_alu instid0(SALU_CYCLE_2) | instskip(NEXT) | instid1(TRANS32_DEP_2)
	v_s_exp_f32 s33, s33
	v_ldexp_f32 v7, s35, s36
	s_cvt_i32_f32 s35, s42
	s_wait_alu 0xf1fe
	s_delay_alu instid0(TRANS32_DEP_1) | instid1(SALU_CYCLE_2)
	v_ldexp_f32 v8, s33, s35
	s_delay_alu instid0(VALU_DEP_2) | instskip(NEXT) | instid1(VALU_DEP_2)
	v_cndmask_b32_e64 v7, 0, v7, s3
	v_cndmask_b32_e64 v8, 0, v8, s0
	s_delay_alu instid0(VALU_DEP_2) | instskip(NEXT) | instid1(VALU_DEP_2)
	v_cndmask_b32_e64 v7, 0x7f800000, v7, s4
	v_cndmask_b32_e64 v8, 0x7f800000, v8, s1
	;; [unrolled: 3-line block ×3, first 2 shown]
	s_wait_loadcnt 0x0
	s_delay_alu instid0(VALU_DEP_2) | instskip(SKIP_1) | instid1(VALU_DEP_1)
	v_mul_f32_e32 v6, v6, v7
	v_mul_f32_e32 v7, s37, v7
	v_fmac_f32_e32 v7, v5, v8
	s_delay_alu instid0(VALU_DEP_3)
	v_fmac_f32_e32 v6, v3, v8
	s_cbranch_execnz .LBB29_15
.LBB29_19:                              ;   in Loop: Header=BB29_9 Depth=1
	s_wait_loadcnt 0x0
	v_dual_mov_b32 v7, v5 :: v_dual_mov_b32 v6, v3
	s_add_co_i32 s17, s34, -1
	s_mov_b32 s27, s20
	s_mov_b32 s9, s26
	s_cbranch_execz .LBB29_23
.LBB29_20:                              ;   in Loop: Header=BB29_9 Depth=1
	v_mov_b32_e32 v5, v7
	s_wait_loadcnt 0x0
	v_mov_b32_e32 v3, v6
	s_wait_alu 0xfffe
	s_mov_b32 s20, s27
	s_mov_b32 s34, s17
	;; [unrolled: 1-line block ×3, first 2 shown]
	s_branch .LBB29_9
.LBB29_21:
                                        ; implicit-def: $sgpr20_sgpr21
	s_branch .LBB29_2
.LBB29_22:
                                        ; implicit-def: $sgpr10_sgpr11
	s_load_b96 s[12:14], s[0:1], 0x44
	s_branch .LBB29_5
.LBB29_23:
	v_div_scale_f32 v0, null, v7, v7, v6
	s_wait_loadcnt 0x0
	s_delay_alu instid0(VALU_DEP_1) | instskip(NEXT) | instid1(TRANS32_DEP_1)
	v_rcp_f32_e32 v3, v0
	v_fma_f32 v4, -v0, v3, 1.0
	s_delay_alu instid0(VALU_DEP_1) | instskip(SKIP_1) | instid1(VALU_DEP_1)
	v_fmac_f32_e32 v3, v4, v3
	v_div_scale_f32 v4, vcc_lo, v6, v7, v6
	v_mul_f32_e32 v5, v4, v3
	s_delay_alu instid0(VALU_DEP_1) | instskip(NEXT) | instid1(VALU_DEP_1)
	v_fma_f32 v8, -v0, v5, v4
	v_fmac_f32_e32 v5, v8, v3
	s_delay_alu instid0(VALU_DEP_1) | instskip(SKIP_1) | instid1(VALU_DEP_1)
	v_fma_f32 v0, -v0, v5, v4
	s_wait_alu 0xfffd
	v_div_fmas_f32 v0, v0, v3, v5
	s_delay_alu instid0(VALU_DEP_1)
	v_div_fixup_f32 v0, v0, v7, v6
	global_store_b32 v[1:2], v0, off
.LBB29_24:
	s_endpgm
	.section	.rodata,"a",@progbits
	.p2align	6, 0x0
	.amdhsa_kernel _ZL33flash_attn_stream_k_fixup_generalILi64ELi2ELi4EEvPfPK15HIP_vector_typeIfLj2EEiiiiS1_IjLj3EES5_S5_S5_
		.amdhsa_group_segment_fixed_size 0
		.amdhsa_private_segment_fixed_size 0
		.amdhsa_kernarg_size 336
		.amdhsa_user_sgpr_count 2
		.amdhsa_user_sgpr_dispatch_ptr 0
		.amdhsa_user_sgpr_queue_ptr 0
		.amdhsa_user_sgpr_kernarg_segment_ptr 1
		.amdhsa_user_sgpr_dispatch_id 0
		.amdhsa_user_sgpr_private_segment_size 0
		.amdhsa_wavefront_size32 1
		.amdhsa_uses_dynamic_stack 0
		.amdhsa_enable_private_segment 0
		.amdhsa_system_sgpr_workgroup_id_x 1
		.amdhsa_system_sgpr_workgroup_id_y 1
		.amdhsa_system_sgpr_workgroup_id_z 1
		.amdhsa_system_sgpr_workgroup_info 0
		.amdhsa_system_vgpr_workitem_id 0
		.amdhsa_next_free_vgpr 9
		.amdhsa_next_free_sgpr 44
		.amdhsa_reserve_vcc 1
		.amdhsa_float_round_mode_32 0
		.amdhsa_float_round_mode_16_64 0
		.amdhsa_float_denorm_mode_32 3
		.amdhsa_float_denorm_mode_16_64 3
		.amdhsa_fp16_overflow 0
		.amdhsa_workgroup_processor_mode 1
		.amdhsa_memory_ordered 1
		.amdhsa_forward_progress 1
		.amdhsa_inst_pref_size 28
		.amdhsa_round_robin_scheduling 0
		.amdhsa_exception_fp_ieee_invalid_op 0
		.amdhsa_exception_fp_denorm_src 0
		.amdhsa_exception_fp_ieee_div_zero 0
		.amdhsa_exception_fp_ieee_overflow 0
		.amdhsa_exception_fp_ieee_underflow 0
		.amdhsa_exception_fp_ieee_inexact 0
		.amdhsa_exception_int_div_zero 0
	.end_amdhsa_kernel
	.section	.text._ZL33flash_attn_stream_k_fixup_generalILi64ELi2ELi4EEvPfPK15HIP_vector_typeIfLj2EEiiiiS1_IjLj3EES5_S5_S5_,"axG",@progbits,_ZL33flash_attn_stream_k_fixup_generalILi64ELi2ELi4EEvPfPK15HIP_vector_typeIfLj2EEiiiiS1_IjLj3EES5_S5_S5_,comdat
.Lfunc_end29:
	.size	_ZL33flash_attn_stream_k_fixup_generalILi64ELi2ELi4EEvPfPK15HIP_vector_typeIfLj2EEiiiiS1_IjLj3EES5_S5_S5_, .Lfunc_end29-_ZL33flash_attn_stream_k_fixup_generalILi64ELi2ELi4EEvPfPK15HIP_vector_typeIfLj2EEiiiiS1_IjLj3EES5_S5_S5_
                                        ; -- End function
	.set _ZL33flash_attn_stream_k_fixup_generalILi64ELi2ELi4EEvPfPK15HIP_vector_typeIfLj2EEiiiiS1_IjLj3EES5_S5_S5_.num_vgpr, 9
	.set _ZL33flash_attn_stream_k_fixup_generalILi64ELi2ELi4EEvPfPK15HIP_vector_typeIfLj2EEiiiiS1_IjLj3EES5_S5_S5_.num_agpr, 0
	.set _ZL33flash_attn_stream_k_fixup_generalILi64ELi2ELi4EEvPfPK15HIP_vector_typeIfLj2EEiiiiS1_IjLj3EES5_S5_S5_.numbered_sgpr, 44
	.set _ZL33flash_attn_stream_k_fixup_generalILi64ELi2ELi4EEvPfPK15HIP_vector_typeIfLj2EEiiiiS1_IjLj3EES5_S5_S5_.num_named_barrier, 0
	.set _ZL33flash_attn_stream_k_fixup_generalILi64ELi2ELi4EEvPfPK15HIP_vector_typeIfLj2EEiiiiS1_IjLj3EES5_S5_S5_.private_seg_size, 0
	.set _ZL33flash_attn_stream_k_fixup_generalILi64ELi2ELi4EEvPfPK15HIP_vector_typeIfLj2EEiiiiS1_IjLj3EES5_S5_S5_.uses_vcc, 1
	.set _ZL33flash_attn_stream_k_fixup_generalILi64ELi2ELi4EEvPfPK15HIP_vector_typeIfLj2EEiiiiS1_IjLj3EES5_S5_S5_.uses_flat_scratch, 0
	.set _ZL33flash_attn_stream_k_fixup_generalILi64ELi2ELi4EEvPfPK15HIP_vector_typeIfLj2EEiiiiS1_IjLj3EES5_S5_S5_.has_dyn_sized_stack, 0
	.set _ZL33flash_attn_stream_k_fixup_generalILi64ELi2ELi4EEvPfPK15HIP_vector_typeIfLj2EEiiiiS1_IjLj3EES5_S5_S5_.has_recursion, 0
	.set _ZL33flash_attn_stream_k_fixup_generalILi64ELi2ELi4EEvPfPK15HIP_vector_typeIfLj2EEiiiiS1_IjLj3EES5_S5_S5_.has_indirect_call, 0
	.section	.AMDGPU.csdata,"",@progbits
; Kernel info:
; codeLenInByte = 3548
; TotalNumSgprs: 46
; NumVgprs: 9
; ScratchSize: 0
; MemoryBound: 0
; FloatMode: 240
; IeeeMode: 1
; LDSByteSize: 0 bytes/workgroup (compile time only)
; SGPRBlocks: 0
; VGPRBlocks: 1
; NumSGPRsForWavesPerEU: 46
; NumVGPRsForWavesPerEU: 9
; Occupancy: 16
; WaveLimiterHint : 0
; COMPUTE_PGM_RSRC2:SCRATCH_EN: 0
; COMPUTE_PGM_RSRC2:USER_SGPR: 2
; COMPUTE_PGM_RSRC2:TRAP_HANDLER: 0
; COMPUTE_PGM_RSRC2:TGID_X_EN: 1
; COMPUTE_PGM_RSRC2:TGID_Y_EN: 1
; COMPUTE_PGM_RSRC2:TGID_Z_EN: 1
; COMPUTE_PGM_RSRC2:TIDIG_COMP_CNT: 0
	.section	.text._ZL15flash_attn_tileILi64ELi64ELi1ELi4ELb0EEvPKcS1_S1_S1_S1_PKiPfP15HIP_vector_typeIfLj2EEffffjfiS5_IjLj3EEiiiiiiiiiiiliiliiiiil,"axG",@progbits,_ZL15flash_attn_tileILi64ELi64ELi1ELi4ELb0EEvPKcS1_S1_S1_S1_PKiPfP15HIP_vector_typeIfLj2EEffffjfiS5_IjLj3EEiiiiiiiiiiiliiliiiiil,comdat
	.globl	_ZL15flash_attn_tileILi64ELi64ELi1ELi4ELb0EEvPKcS1_S1_S1_S1_PKiPfP15HIP_vector_typeIfLj2EEffffjfiS5_IjLj3EEiiiiiiiiiiiliiliiiiil ; -- Begin function _ZL15flash_attn_tileILi64ELi64ELi1ELi4ELb0EEvPKcS1_S1_S1_S1_PKiPfP15HIP_vector_typeIfLj2EEffffjfiS5_IjLj3EEiiiiiiiiiiiliiliiiiil
	.p2align	8
	.type	_ZL15flash_attn_tileILi64ELi64ELi1ELi4ELb0EEvPKcS1_S1_S1_S1_PKiPfP15HIP_vector_typeIfLj2EEffffjfiS5_IjLj3EEiiiiiiiiiiiliiliiiiil,@function
_ZL15flash_attn_tileILi64ELi64ELi1ELi4ELb0EEvPKcS1_S1_S1_S1_PKiPfP15HIP_vector_typeIfLj2EEffffjfiS5_IjLj3EEiiiiiiiiiiiliiliiiiil: ; @_ZL15flash_attn_tileILi64ELi64ELi1ELi4ELb0EEvPKcS1_S1_S1_S1_PKiPfP15HIP_vector_typeIfLj2EEffffjfiS5_IjLj3EEiiiiiiiiiiiliiliiiiil
; %bb.0:
	s_clause 0x1
	s_load_b128 s[20:23], s[0:1], 0x5c
	s_load_b64 s[30:31], s[0:1], 0x80
	s_lshr_b32 s5, ttmp7, 16
	s_load_b64 s[36:37], s[0:1], 0xb8
	s_mov_b64 s[34:35], 0
	s_wait_kmcnt 0x0
	s_ashr_i32 s2, s23, 31
	s_delay_alu instid0(SALU_CYCLE_1) | instskip(NEXT) | instid1(SALU_CYCLE_1)
	s_lshr_b32 s2, s2, 30
	s_add_co_i32 s2, s23, s2
	s_delay_alu instid0(SALU_CYCLE_1) | instskip(NEXT) | instid1(SALU_CYCLE_1)
	s_ashr_i32 s2, s2, 2
	s_cvt_f32_u32 s3, s2
	s_sub_co_i32 s4, 0, s2
	s_delay_alu instid0(SALU_CYCLE_2) | instskip(NEXT) | instid1(TRANS32_DEP_1)
	v_rcp_iflag_f32_e32 v1, s3
	v_readfirstlane_b32 s3, v1
	s_mul_f32 s3, s3, 0x4f7ffffe
	s_wait_alu 0xfffe
	s_delay_alu instid0(SALU_CYCLE_2) | instskip(SKIP_1) | instid1(SALU_CYCLE_2)
	s_cvt_u32_f32 s3, s3
	s_wait_alu 0xfffe
	s_mul_i32 s4, s4, s3
	s_delay_alu instid0(SALU_CYCLE_1) | instskip(NEXT) | instid1(SALU_CYCLE_1)
	s_mul_hi_u32 s4, s3, s4
	s_add_co_i32 s3, s3, s4
	s_wait_alu 0xfffe
	s_mul_hi_u32 s3, s5, s3
	s_wait_alu 0xfffe
	s_mul_i32 s4, s3, s2
	s_add_co_i32 s6, s3, 1
	s_sub_co_i32 s4, s5, s4
	s_delay_alu instid0(SALU_CYCLE_1)
	s_sub_co_i32 s7, s4, s2
	s_cmp_ge_u32 s4, s2
	s_cselect_b32 s3, s6, s3
	s_cselect_b32 s4, s7, s4
	s_wait_alu 0xfffe
	s_add_co_i32 s6, s3, 1
	s_cmp_ge_u32 s4, s2
	s_cselect_b32 s28, s6, s3
	s_abs_i32 s2, s31
	s_abs_i32 s7, s23
	s_wait_alu 0xfffe
	s_cvt_f32_u32 s3, s2
	s_sub_co_i32 s4, 0, s2
	s_lshl_b32 s5, s5, 2
	s_mul_i32 s6, s28, s23
	s_wait_alu 0xfffe
	v_rcp_iflag_f32_e32 v1, s3
	s_sub_co_i32 s33, s5, s6
	s_delay_alu instid0(TRANS32_DEP_1) | instskip(SKIP_2) | instid1(SALU_CYCLE_2)
	v_readfirstlane_b32 s3, v1
	s_mul_f32 s3, s3, 0x4f7ffffe
	s_wait_alu 0xfffe
	s_cvt_u32_f32 s3, s3
	s_wait_alu 0xfffe
	s_delay_alu instid0(SALU_CYCLE_2) | instskip(NEXT) | instid1(SALU_CYCLE_1)
	s_mul_i32 s4, s4, s3
	s_mul_hi_u32 s4, s3, s4
	s_delay_alu instid0(SALU_CYCLE_1)
	s_add_co_i32 s3, s3, s4
	s_xor_b32 s4, s23, s31
	s_wait_alu 0xfffe
	s_mul_hi_u32 s3, s7, s3
	s_ashr_i32 s24, s4, 31
	s_wait_alu 0xfffe
	s_mul_i32 s5, s3, s2
	s_delay_alu instid0(SALU_CYCLE_1)
	s_sub_co_i32 s4, s7, s5
	s_add_co_i32 s5, s3, 1
	s_sub_co_i32 s6, s4, s2
	s_cmp_ge_u32 s4, s2
	s_cselect_b32 s3, s5, s3
	s_cselect_b32 s4, s6, s4
	s_wait_alu 0xfffe
	s_add_co_i32 s5, s3, 1
	s_cmp_ge_u32 s4, s2
	s_cselect_b32 s2, s5, s3
	s_load_b512 s[4:19], s[0:1], 0x0
	s_xor_b32 s2, s2, s24
	s_mov_b32 s3, 0
	s_wait_alu 0xfffe
	s_sub_co_i32 s38, s2, s24
	s_delay_alu instid0(SALU_CYCLE_1) | instskip(NEXT) | instid1(SALU_CYCLE_1)
	s_abs_i32 s31, s38
	s_cvt_f32_u32 s2, s31
	s_wait_alu 0xfffe
	s_delay_alu instid0(SALU_CYCLE_2) | instskip(SKIP_2) | instid1(TRANS32_DEP_1)
	v_rcp_iflag_f32_e32 v1, s2
	s_wait_kmcnt 0x0
	s_cmp_eq_u64 s[10:11], 0
	v_readfirstlane_b32 s2, v1
	s_cbranch_scc1 .LBB30_2
; %bb.1:
	s_abs_i32 s26, s36
	s_delay_alu instid0(SALU_CYCLE_1) | instskip(NEXT) | instid1(SALU_CYCLE_3)
	s_cvt_f32_u32 s24, s26
	v_rcp_iflag_f32_e32 v1, s24
	s_delay_alu instid0(TRANS32_DEP_1) | instskip(SKIP_2) | instid1(SALU_CYCLE_2)
	v_readfirstlane_b32 s24, v1
	s_mul_f32 s24, s24, 0x4f7ffffe
	s_wait_alu 0xfffe
	s_cvt_u32_f32 s27, s24
	s_sub_co_i32 s24, 0, s26
	s_wait_alu 0xfffe
	s_delay_alu instid0(SALU_CYCLE_1) | instskip(SKIP_4) | instid1(SALU_CYCLE_1)
	s_mul_i32 s24, s24, s27
	s_wait_alu 0xfffe
	s_mul_hi_u32 s29, s27, s24
	s_load_b64 s[24:25], s[0:1], 0xc8
	s_add_co_i32 s27, s27, s29
	s_mul_hi_u32 s27, s28, s27
	s_delay_alu instid0(SALU_CYCLE_1) | instskip(NEXT) | instid1(SALU_CYCLE_1)
	s_mul_i32 s27, s27, s26
	s_sub_co_i32 s27, s28, s27
	s_delay_alu instid0(SALU_CYCLE_1) | instskip(SKIP_2) | instid1(SALU_CYCLE_1)
	s_sub_co_i32 s29, s27, s26
	s_cmp_ge_u32 s27, s26
	s_cselect_b32 s27, s29, s27
	s_sub_co_i32 s29, s27, s26
	s_cmp_ge_u32 s27, s26
	s_cselect_b32 s26, s29, s27
	s_delay_alu instid0(SALU_CYCLE_1)
	s_ashr_i32 s27, s26, 31
	s_wait_kmcnt 0x0
	s_mul_u64 s[24:25], s[24:25], s[26:27]
	s_wait_alu 0xfffe
	s_add_nc_u64 s[34:35], s[10:11], s[24:25]
.LBB30_2:
	v_lshrrev_b32_e32 v1, 10, v0
	s_load_b96 s[24:26], s[0:1], 0x70
	s_delay_alu instid0(VALU_DEP_1) | instskip(NEXT) | instid1(VALU_DEP_1)
	v_bfe_u32 v1, v1, 1, 9
	v_add_nc_u32_e32 v1, ttmp9, v1
	s_delay_alu instid0(VALU_DEP_1) | instskip(SKIP_3) | instid1(VALU_DEP_1)
	v_mul_hi_u32 v2, s20, v1
	s_wait_kmcnt 0x0
	s_mul_i32 s10, s33, s25
	s_mov_b32 s20, s25
	v_add_nc_u32_e32 v2, v1, v2
	s_delay_alu instid0(VALU_DEP_1)
	v_lshrrev_b32_e32 v3, s21, v2
	v_bfe_u32 v2, v0, 10, 10
	s_ashr_i32 s21, s25, 31
	s_ashr_i32 s25, s24, 31
	v_and_b32_e32 v0, 0x3ff, v0
	v_mul_lo_u32 v3, v3, s22
	v_lshlrev_b32_e32 v6, 1, v2
	s_wait_alu 0xfffe
	s_lshr_b64 s[40:41], s[24:25], 2
	s_lshr_b32 s11, s25, 2
	s_lshr_b32 s24, s21, 2
	v_or_b32_e32 v12, 1, v6
	v_and_b32_e32 v21, 2, v6
	v_sub_nc_u32_e32 v3, v1, v3
	s_delay_alu instid0(VALU_DEP_3) | instskip(SKIP_1) | instid1(VALU_DEP_3)
	v_and_b32_e32 v10, 3, v12
	s_wait_alu 0xfffe
	v_mul_lo_u32 v11, s24, v21
	s_delay_alu instid0(VALU_DEP_3)
	v_mad_co_u64_u32 v[4:5], null, s40, v3, 0
	s_lshr_b64 s[40:41], s[20:21], 2
	s_mul_i32 s20, s28, s26
	s_wait_alu 0xfffe
	v_mad_co_u64_u32 v[8:9], null, s40, v21, 0
	s_ashr_i32 s21, s20, 31
	s_wait_alu 0xfffe
	s_add_nc_u64 s[4:5], s[4:5], s[20:21]
	v_mad_co_u64_u32 v[5:6], null, s11, v3, v[5:6]
	v_mad_co_u64_u32 v[6:7], null, s40, v10, 0
	v_or_b32_e32 v9, v9, v11
	s_ashr_i32 s11, s10, 31
	s_cmp_eq_u64 s[14:15], 0
	s_wait_alu 0xfffe
	s_add_nc_u64 s[4:5], s[4:5], s[10:11]
	s_delay_alu instid0(VALU_DEP_3) | instskip(NEXT) | instid1(VALU_DEP_3)
	v_lshlrev_b64_e32 v[4:5], 2, v[4:5]
	v_mad_co_u64_u32 v[10:11], null, s24, v10, v[7:8]
	v_lshlrev_b32_e32 v11, 3, v0
	v_lshlrev_b64_e32 v[8:9], 2, v[8:9]
	s_delay_alu instid0(VALU_DEP_4) | instskip(NEXT) | instid1(VALU_DEP_1)
	v_add_co_u32 v4, vcc_lo, s4, v4
	v_add_co_ci_u32_e64 v5, null, s5, v5, vcc_lo
	v_mov_b32_e32 v7, v10
	s_delay_alu instid0(VALU_DEP_3) | instskip(SKIP_1) | instid1(VALU_DEP_3)
	v_add_co_u32 v10, vcc_lo, v4, v11
	s_wait_alu 0xfffd
	v_add_co_ci_u32_e64 v11, null, 0, v5, vcc_lo
	s_delay_alu instid0(VALU_DEP_3) | instskip(NEXT) | instid1(VALU_DEP_3)
	v_lshlrev_b64_e32 v[4:5], 2, v[6:7]
	v_add_co_u32 v6, vcc_lo, v10, v8
	s_wait_alu 0xfffd
	s_delay_alu instid0(VALU_DEP_3)
	v_add_co_ci_u32_e64 v7, null, v11, v9, vcc_lo
	s_load_b32 s4, s[0:1], 0x40
	v_add_co_u32 v4, vcc_lo, v10, v4
	s_wait_alu 0xfffd
	v_add_co_ci_u32_e64 v5, null, v11, v5, vcc_lo
	s_clause 0x1
	global_load_b64 v[6:7], v[6:7], off
	global_load_b64 v[4:5], v[4:5], off
	v_lshl_add_u32 v8, v0, 2, 0x1200
	s_wait_loadcnt 0x1
	s_wait_kmcnt 0x0
	v_fma_mixlo_f16 v7, s4, v7, 0
	v_fma_mixlo_f16 v6, s4, v6, 0
	s_wait_loadcnt 0x0
	v_fma_mixlo_f16 v5, s4, v5, 0
	v_fma_mixlo_f16 v9, s4, v4, 0
	v_lshlrev_b32_e32 v4, 8, v2
	v_lshlrev_b32_e32 v7, 16, v7
	v_and_b32_e32 v6, 0xffff, v6
	v_lshlrev_b32_e32 v5, 16, v5
	v_and_b32_e32 v9, 0xffff, v9
	v_add_nc_u32_e32 v10, v8, v4
	v_lshl_add_u32 v8, v12, 7, v8
	v_or_b32_e32 v6, v7, v6
	s_delay_alu instid0(VALU_DEP_4)
	v_or_b32_e32 v5, v5, v9
	ds_store_b32 v10, v6
	ds_store_b32 v8, v5
	s_wait_dscnt 0x0
	s_barrier_signal -1
	s_barrier_wait -1
	global_inv scope:SCOPE_SE
	s_cbranch_scc1 .LBB30_4
; %bb.3:
	s_load_b32 s4, s[0:1], 0xd0
	s_mov_b32 s5, 0
	s_wait_kmcnt 0x0
	s_mul_i32 s4, s4, s28
	s_wait_alu 0xfffe
	s_add_co_i32 s4, s4, ttmp9
	s_wait_alu 0xfffe
	s_lshl_b64 s[4:5], s[4:5], 2
	s_wait_alu 0xfffe
	s_add_nc_u64 s[4:5], s[14:15], s[4:5]
	s_load_b32 s30, s[4:5], 0x0
.LBB30_4:
	s_and_b32 s10, ttmp7, 0xffff
	v_mbcnt_lo_u32_b32 v23, -1, 0
	s_wait_alu 0xfffe
	s_lshl_b32 s14, s10, 5
	s_wait_kmcnt 0x0
	s_cmp_lt_i32 s14, s30
	s_cbranch_scc1 .LBB30_7
; %bb.5:
	v_mbcnt_lo_u32_b32 v5, -1, 0
	v_mov_b32_e32 v24, 32
	s_delay_alu instid0(VALU_DEP_2)
	v_xor_b32_e32 v31, 16, v5
	v_xor_b32_e32 v29, 8, v5
	;; [unrolled: 1-line block ×5, first 2 shown]
	s_mov_b32 s29, 0
	s_cbranch_execz .LBB30_8
; %bb.6:
	v_dual_mov_b32 v26, 0 :: v_dual_mov_b32 v3, 0xfeffffff
	v_dual_mov_b32 v48, 0 :: v_dual_mov_b32 v49, 0
	v_dual_mov_b32 v2, 0xfeffffff :: v_dual_lshlrev_b32 v11, 1, v0
	v_mov_b32_e32 v22, 0
	s_branch .LBB30_11
.LBB30_7:
                                        ; implicit-def: $vgpr5
                                        ; implicit-def: $vgpr24
                                        ; implicit-def: $vgpr31
                                        ; implicit-def: $vgpr29
                                        ; implicit-def: $vgpr28
                                        ; implicit-def: $vgpr27
                                        ; implicit-def: $vgpr25
	s_mov_b32 s29, 0
.LBB30_8:
	s_mul_f32 s2, s2, 0x4f7ffffe
	s_clause 0x1
	s_load_b128 s[24:27], s[0:1], 0x98
	s_load_b64 s[4:5], s[0:1], 0x8c
	s_sub_co_i32 s15, 0, s31
	s_mov_b32 s21, s3
	s_cvt_u32_f32 s11, s2
	s_abs_i32 s2, s33
	s_ashr_i32 s36, s33, 31
	s_ashr_i32 s40, s38, 31
	s_wait_alu 0xfffe
	s_mul_i32 s15, s15, s11
	s_load_b64 s[38:39], s[0:1], 0xa8
	s_mul_hi_u32 s15, s11, s15
	v_lshrrev_b32_e32 v5, 3, v0
	s_add_co_i32 s20, s11, s15
	s_ashr_i32 s11, s37, 1
	s_wait_alu 0xfffe
	s_mul_u64 s[20:21], s[2:3], s[20:21]
	s_xor_b32 s15, s36, s40
	s_wait_alu 0xfffe
	s_mul_i32 s3, s21, s31
	s_add_co_i32 s36, s21, 1
	s_wait_alu 0xfffe
	s_sub_co_i32 s2, s2, s3
	v_lshl_add_u32 v5, v2, 2, v5
	s_wait_kmcnt 0x0
	s_ashr_i32 s20, s26, 2
	s_ashr_i32 s26, s4, 2
	s_wait_alu 0xfffe
	s_sub_co_i32 s3, s2, s31
	s_cmp_ge_u32 s2, s31
	v_mul_lo_u32 v6, s26, v5
	s_cselect_b32 s4, s36, s21
	s_wait_alu 0xfffe
	s_cselect_b32 s2, s3, s2
	s_add_co_i32 s3, s4, 1
	s_wait_alu 0xfffe
	s_cmp_ge_u32 s2, s31
	v_mul_lo_u32 v13, s20, v5
	s_cselect_b32 s4, s3, s4
	s_mul_u64 s[2:3], s[24:25], s[28:29]
	s_wait_alu 0xfffe
	s_xor_b32 s4, s4, s15
	s_add_nc_u64 s[2:3], s[6:7], s[2:3]
	s_wait_alu 0xfffe
	s_sub_co_i32 s15, s4, s15
	s_mul_u64 s[24:25], s[38:39], s[28:29]
	s_mul_i32 s4, s15, s5
	s_wait_alu 0xfffe
	s_add_nc_u64 s[8:9], s[8:9], s[24:25]
	s_ashr_i32 s5, s4, 31
	v_lshlrev_b32_e32 v30, 2, v0
	s_wait_alu 0xfffe
	s_add_nc_u64 s[6:7], s[2:3], s[4:5]
	s_mul_i32 s2, s15, s27
	s_lshl_b32 s4, s26, 3
	s_wait_alu 0xfffe
	s_ashr_i32 s3, s2, 31
	v_add_nc_u32_e32 v8, s4, v6
	s_wait_alu 0xfffe
	s_add_nc_u64 s[8:9], s[8:9], s[2:3]
	s_lshl_b32 s2, s20, 3
	v_dual_mov_b32 v49, 0 :: v_dual_and_b32 v12, 28, v30
	s_wait_alu 0xfffe
	v_dual_mov_b32 v26, 0 :: v_dual_add_nc_u32 v17, s2, v13
	v_add_nc_u32_e32 v10, s4, v8
	s_delay_alu instid0(VALU_DEP_3) | instskip(SKIP_1) | instid1(VALU_DEP_4)
	v_lshlrev_b32_e32 v14, 2, v12
	v_ashrrev_i32_e32 v7, 31, v6
	v_add_nc_u32_e32 v19, s2, v17
	v_ashrrev_i32_e32 v9, 31, v8
	v_add_nc_u32_e32 v15, s4, v10
	v_mad_u32_u24 v32, 0x90, v5, v14
	v_ashrrev_i32_e32 v11, 31, v10
	v_add_nc_u32_e32 v45, s2, v19
	v_lshl_or_b32 v38, v5, 7, v14
	v_lshl_add_u32 v39, v2, 7, 0x1400
	v_ashrrev_i32_e32 v14, 31, v13
	v_ashrrev_i32_e32 v18, 31, v17
	;; [unrolled: 1-line block ×4, first 2 shown]
	v_mov_b32_e32 v2, 0xfeffffff
	v_ashrrev_i32_e32 v16, 31, v15
	v_dual_mov_b32 v48, 0 :: v_dual_add_nc_u32 v37, 0x1200, v4
	v_mad_co_u64_u32 v[4:5], null, v3, s11, v[0:1]
	v_lshlrev_b64_e32 v[5:6], 2, v[6:7]
	v_lshlrev_b32_e32 v43, 2, v12
	v_lshlrev_b64_e32 v[7:8], 2, v[8:9]
	v_lshlrev_b64_e32 v[9:10], 2, v[10:11]
	;; [unrolled: 1-line block ×7, first 2 shown]
	v_dual_mov_b32 v22, 0 :: v_dual_add_nc_u32 v33, 0x480, v32
	v_add_nc_u32_e32 v34, 0x900, v32
	v_dual_mov_b32 v24, 32 :: v_dual_add_nc_u32 v35, 0xd80, v32
	v_mul_u32_u24_e32 v36, 0x90, v0
	v_add_nc_u32_e32 v40, 0x400, v38
	v_add_nc_u32_e32 v41, 0x800, v38
	;; [unrolled: 1-line block ×3, first 2 shown]
	v_xor_b32_e32 v31, 16, v23
	v_xor_b32_e32 v29, 8, v23
	;; [unrolled: 1-line block ×5, first 2 shown]
	v_dual_mov_b32 v3, 0xfeffffff :: v_dual_add_nc_u32 v44, v39, v30
	v_add_nc_u32_e32 v45, 0x400, v30
	v_add_nc_u32_e32 v46, 0x800, v30
	;; [unrolled: 1-line block ×3, first 2 shown]
	s_ashr_i32 s27, s26, 31
	s_ashr_i32 s21, s20, 31
	s_add_nc_u64 s[24:25], s[0:1], 0xd0
.LBB30_9:                               ; =>This Inner Loop Header: Depth=1
	s_ashr_i32 s15, s14, 31
	v_dual_mov_b32 v68, 0 :: v_dual_mov_b32 v71, v3
	s_wait_alu 0xfffe
	s_mul_u64 s[2:3], s[14:15], s[26:27]
	v_dual_mov_b32 v69, 0 :: v_dual_add_nc_u32 v66, s14, v4
	s_wait_alu 0xfffe
	s_lshl_b64 s[2:3], s[2:3], 2
	v_mov_b32_e32 v72, v2
	s_wait_alu 0xfffe
	s_add_nc_u64 s[2:3], s[6:7], s[2:3]
	v_ashrrev_i32_e32 v67, 31, v66
	s_wait_alu 0xfffe
	v_add_co_u32 v50, vcc_lo, s2, v5
	s_wait_alu 0xfffd
	v_add_co_ci_u32_e64 v51, null, s3, v6, vcc_lo
	v_add_co_u32 v52, vcc_lo, s2, v7
	s_wait_alu 0xfffd
	v_add_co_ci_u32_e64 v53, null, s3, v8, vcc_lo
	;; [unrolled: 3-line block ×8, first 2 shown]
	s_clause 0x3
	global_load_b128 v[50:53], v[50:51], off
	global_load_b128 v[54:57], v[54:55], off
	;; [unrolled: 1-line block ×4, first 2 shown]
	v_lshlrev_b64_e32 v[66:67], 1, v[66:67]
	s_mul_u64 s[2:3], s[14:15], s[20:21]
	s_wait_loadcnt 0x3
	ds_store_b128 v32, v[50:53]
	s_wait_loadcnt 0x2
	ds_store_b128 v33, v[54:57]
	;; [unrolled: 2-line block ×4, first 2 shown]
	s_wait_dscnt 0x0
	s_barrier_signal -1
	s_barrier_wait -1
	global_inv scope:SCOPE_SE
	ds_load_b128 v[50:53], v36
	ds_load_b128 v[54:57], v37
	ds_load_b128 v[58:61], v37 offset:128
	s_wait_dscnt 0x1
	;;#ASMSTART
	v_dot2_f32_f16 v68, v50, v54, v68
	;;#ASMEND
	;;#ASMSTART
	v_dot2_f32_f16 v68, v51, v55, v68
	;;#ASMEND
	;;#ASMSTART
	v_dot2_f32_f16 v68, v52, v56, v68
	;;#ASMEND
	;;#ASMSTART
	v_dot2_f32_f16 v68, v53, v57, v68
	;;#ASMEND
	s_wait_dscnt 0x0
	;;#ASMSTART
	v_dot2_f32_f16 v69, v50, v58, v69
	;;#ASMEND
	;;#ASMSTART
	v_dot2_f32_f16 v69, v51, v59, v69
	;;#ASMEND
	;;#ASMSTART
	v_dot2_f32_f16 v69, v52, v60, v69
	;;#ASMEND
	;;#ASMSTART
	v_dot2_f32_f16 v69, v53, v61, v69
	;;#ASMEND
	ds_load_b128 v[50:53], v36 offset:16
	ds_load_b128 v[54:57], v37 offset:16
	ds_load_b128 v[58:61], v37 offset:144
	s_wait_dscnt 0x1
	;;#ASMSTART
	v_dot2_f32_f16 v68, v50, v54, v68
	;;#ASMEND
	;;#ASMSTART
	v_dot2_f32_f16 v68, v51, v55, v68
	;;#ASMEND
	;;#ASMSTART
	v_dot2_f32_f16 v68, v52, v56, v68
	;;#ASMEND
	;;#ASMSTART
	v_dot2_f32_f16 v68, v53, v57, v68
	;;#ASMEND
	s_wait_dscnt 0x0
	;;#ASMSTART
	v_dot2_f32_f16 v69, v50, v58, v69
	;;#ASMEND
	;;#ASMSTART
	v_dot2_f32_f16 v69, v51, v59, v69
	;;#ASMEND
	;;#ASMSTART
	v_dot2_f32_f16 v69, v52, v60, v69
	;;#ASMEND
	;;#ASMSTART
	v_dot2_f32_f16 v69, v53, v61, v69
	;;#ASMEND
	ds_load_b128 v[50:53], v36 offset:32
	ds_load_b128 v[54:57], v37 offset:32
	;; [unrolled: 29-line block ×7, first 2 shown]
	ds_load_b128 v[58:61], v37 offset:240
	v_add_co_u32 v66, vcc_lo, s34, v66
	s_wait_dscnt 0x1
	;;#ASMSTART
	v_dot2_f32_f16 v68, v50, v54, v68
	;;#ASMEND
	s_wait_alu 0xfffd
	v_add_co_ci_u32_e64 v67, null, s35, v67, vcc_lo
	;;#ASMSTART
	v_dot2_f32_f16 v68, v51, v55, v68
	;;#ASMEND
	;;#ASMSTART
	v_dot2_f32_f16 v68, v52, v56, v68
	;;#ASMEND
	;; [unrolled: 3-line block ×3, first 2 shown]
	s_wait_dscnt 0x0
	;;#ASMSTART
	v_dot2_f32_f16 v69, v50, v58, v69
	;;#ASMEND
	;;#ASMSTART
	v_dot2_f32_f16 v69, v51, v59, v69
	;;#ASMEND
	;; [unrolled: 3-line block ×4, first 2 shown]
	global_load_u16 v51, v[66:67], off
	v_cmp_gt_i32_e32 vcc_lo, 32, v31
	s_wait_alu 0xfffe
	s_lshl_b64 s[2:3], s[2:3], 2
	v_mov_b32_e32 v50, v48
	s_wait_alu 0xfffe
	s_add_nc_u64 s[2:3], s[8:9], s[2:3]
	s_wait_loadcnt 0x0
	s_wait_alu 0xfffd
	v_cndmask_b32_e32 v2, v23, v31, vcc_lo
	v_cmp_gt_i32_e32 vcc_lo, 32, v29
	v_mov_b32_e32 v70, v49
	s_barrier_signal -1
	s_barrier_wait -1
	global_inv scope:SCOPE_SE
	s_wait_alu 0xfffd
	v_cndmask_b32_e32 v3, v23, v29, vcc_lo
	v_cmp_gt_i32_e32 vcc_lo, 32, v28
	v_max_num_f32_e32 v79, v71, v71
	s_wait_alu 0xfffd
	s_delay_alu instid0(VALU_DEP_3) | instskip(SKIP_1) | instid1(VALU_DEP_2)
	v_dual_cndmask_b32 v49, v23, v28 :: v_dual_lshlrev_b32 v74, 2, v3
	v_cmp_gt_i32_e32 vcc_lo, 32, v27
	v_dual_max_num_f32 v78, v72, v72 :: v_dual_lshlrev_b32 v75, 2, v49
	s_wait_alu 0xfffd
	v_dual_cndmask_b32 v52, v23, v27 :: v_dual_lshlrev_b32 v73, 2, v2
	v_cmp_gt_i32_e32 vcc_lo, 32, v25
	s_wait_alu 0xfffd
	s_delay_alu instid0(VALU_DEP_2)
	v_dual_cndmask_b32 v53, v23, v25 :: v_dual_lshlrev_b32 v76, 2, v52
	s_wait_alu 0xfffe
	v_add_co_u32 v2, vcc_lo, s2, v13
	s_wait_alu 0xfffd
	v_add_co_ci_u32_e64 v3, null, s3, v14, vcc_lo
	v_add_co_u32 v48, vcc_lo, s2, v15
	s_wait_alu 0xfffd
	v_add_co_ci_u32_e64 v49, null, s3, v16, vcc_lo
	v_add_co_u32 v52, vcc_lo, s2, v17
	v_lshlrev_b32_e32 v77, 2, v53
	s_wait_alu 0xfffd
	v_add_co_ci_u32_e64 v53, null, s3, v18, vcc_lo
	v_add_co_u32 v54, vcc_lo, s2, v19
	s_wait_alu 0xfffd
	v_add_co_ci_u32_e64 v55, null, s3, v20, vcc_lo
	v_add_co_u32 v2, vcc_lo, v2, v43
	s_wait_alu 0xfffd
	v_add_co_ci_u32_e64 v3, null, 0, v3, vcc_lo
	v_add_co_u32 v48, vcc_lo, v48, v43
	s_wait_alu 0xfffd
	v_add_co_ci_u32_e64 v49, null, 0, v49, vcc_lo
	v_add_co_u32 v60, vcc_lo, v52, v43
	s_wait_alu 0xfffd
	v_add_co_ci_u32_e64 v61, null, 0, v53, vcc_lo
	v_add_co_u32 v64, vcc_lo, v54, v43
	s_wait_alu 0xfffd
	v_add_co_ci_u32_e64 v65, null, 0, v55, vcc_lo
	s_clause 0x3
	global_load_b128 v[52:55], v[2:3], off
	global_load_b128 v[56:59], v[48:49], off
	;; [unrolled: 1-line block ×4, first 2 shown]
	v_cvt_f32_f16_e32 v2, v51
	s_delay_alu instid0(VALU_DEP_1) | instskip(NEXT) | instid1(VALU_DEP_1)
	v_add_f32_e32 v49, v69, v2
	v_dual_add_f32 v48, v68, v2 :: v_dual_add_f32 v3, 0x40051340, v49
	s_delay_alu instid0(VALU_DEP_1) | instskip(NEXT) | instid1(VALU_DEP_1)
	v_dual_add_f32 v2, 0x40051340, v48 :: v_dual_max_num_f32 v3, v79, v3
	v_max_num_f32_e32 v2, v78, v2
	ds_bpermute_b32 v68, v73, v3
	ds_bpermute_b32 v51, v73, v2
	s_wait_dscnt 0x0
	v_max_num_f32_e32 v51, v51, v51
	s_delay_alu instid0(VALU_DEP_1) | instskip(SKIP_3) | instid1(VALU_DEP_1)
	v_max_num_f32_e32 v2, v2, v51
	ds_bpermute_b32 v51, v74, v2
	s_wait_dscnt 0x0
	v_dual_max_num_f32 v68, v68, v68 :: v_dual_max_num_f32 v51, v51, v51
	v_dual_max_num_f32 v3, v3, v68 :: v_dual_max_num_f32 v2, v2, v51
	ds_bpermute_b32 v68, v74, v3
	ds_bpermute_b32 v51, v75, v2
	s_wait_dscnt 0x0
	v_dual_max_num_f32 v68, v68, v68 :: v_dual_max_num_f32 v51, v51, v51
	s_delay_alu instid0(VALU_DEP_1) | instskip(SKIP_4) | instid1(VALU_DEP_1)
	v_dual_max_num_f32 v3, v3, v68 :: v_dual_max_num_f32 v2, v2, v51
	ds_bpermute_b32 v68, v75, v3
	ds_bpermute_b32 v51, v76, v2
	s_wait_dscnt 0x0
	v_dual_max_num_f32 v68, v68, v68 :: v_dual_max_num_f32 v51, v51, v51
	v_dual_max_num_f32 v3, v3, v68 :: v_dual_max_num_f32 v2, v2, v51
	ds_bpermute_b32 v68, v76, v3
	ds_bpermute_b32 v51, v77, v2
	s_wait_dscnt 0x0
	v_dual_max_num_f32 v68, v68, v68 :: v_dual_max_num_f32 v51, v51, v51
	s_delay_alu instid0(VALU_DEP_1) | instskip(SKIP_3) | instid1(VALU_DEP_1)
	v_max_num_f32_e32 v3, v3, v68
	ds_bpermute_b32 v68, v77, v3
	s_wait_dscnt 0x0
	v_max_num_f32_e32 v68, v68, v68
	v_dual_max_num_f32 v2, v2, v51 :: v_dual_max_num_f32 v3, v3, v68
	s_delay_alu instid0(VALU_DEP_1) | instskip(NEXT) | instid1(VALU_DEP_1)
	v_dual_sub_f32 v51, v72, v2 :: v_dual_sub_f32 v68, v71, v3
	v_dual_sub_f32 v48, v48, v2 :: v_dual_mul_f32 v69, 0x3fb8aa3b, v51
	v_sub_f32_e32 v49, v49, v3
	v_cmp_ngt_f32_e64 s4, 0xc2ce8ed0, v51
	s_delay_alu instid0(VALU_DEP_4) | instskip(NEXT) | instid1(VALU_DEP_4)
	v_mul_f32_e32 v72, 0x3fb8aa3b, v68
	v_cmp_ngt_f32_e32 vcc_lo, 0xc2ce8ed0, v48
	v_fma_f32 v74, 0x3fb8aa3b, v51, -v69
	v_mul_f32_e32 v73, 0x3fb8aa3b, v49
	v_rndne_f32_e32 v75, v69
	v_rndne_f32_e32 v79, v72
	v_mul_f32_e32 v71, 0x3fb8aa3b, v48
	v_fma_f32 v78, 0x3fb8aa3b, v68, -v72
	v_fma_f32 v80, 0x3fb8aa3b, v49, -v73
	v_rndne_f32_e32 v81, v73
	v_sub_f32_e32 v72, v72, v79
	v_fma_f32 v76, 0x3fb8aa3b, v48, -v71
	v_rndne_f32_e32 v77, v71
	v_fmac_f32_e32 v74, 0x32a5705f, v51
	v_dual_sub_f32 v69, v69, v75 :: v_dual_fmac_f32 v78, 0x32a5705f, v68
	s_delay_alu instid0(VALU_DEP_4) | instskip(NEXT) | instid1(VALU_DEP_4)
	v_dual_sub_f32 v73, v73, v81 :: v_dual_fmac_f32 v76, 0x32a5705f, v48
	v_sub_f32_e32 v71, v71, v77
	s_delay_alu instid0(VALU_DEP_3) | instskip(NEXT) | instid1(VALU_DEP_4)
	v_dual_fmac_f32 v80, 0x32a5705f, v49 :: v_dual_add_f32 v69, v69, v74
	v_add_f32_e32 v72, v72, v78
	v_cvt_i32_f32_e32 v75, v75
	s_delay_alu instid0(VALU_DEP_4) | instskip(NEXT) | instid1(VALU_DEP_4)
	v_add_f32_e32 v71, v71, v76
	v_add_f32_e32 v73, v73, v80
	v_exp_f32_e32 v69, v69
	v_exp_f32_e32 v72, v72
	v_cvt_i32_f32_e32 v77, v77
	v_exp_f32_e32 v71, v71
	v_exp_f32_e32 v73, v73
	v_cvt_i32_f32_e32 v79, v79
	v_cvt_i32_f32_e32 v81, v81
	v_cmp_ngt_f32_e64 s2, 0xc2ce8ed0, v68
	v_cmp_ngt_f32_e64 s3, 0xc2ce8ed0, v49
	v_ldexp_f32 v69, v69, v75
	s_delay_alu instid0(TRANS32_DEP_3) | instskip(NEXT) | instid1(TRANS32_DEP_2)
	v_ldexp_f32 v72, v72, v79
	v_ldexp_f32 v71, v71, v77
	s_delay_alu instid0(TRANS32_DEP_1)
	v_ldexp_f32 v73, v73, v81
	s_wait_alu 0xf1ff
	v_cndmask_b32_e64 v69, 0, v69, s4
	v_cmp_nlt_f32_e64 s4, 0x42b17218, v51
	s_wait_alu 0xfffd
	v_cndmask_b32_e32 v51, 0, v71, vcc_lo
	v_cndmask_b32_e64 v71, 0, v72, s2
	v_cndmask_b32_e64 v72, 0, v73, s3
	v_cmp_nlt_f32_e64 s2, 0x42b17218, v49
	v_cmp_nlt_f32_e64 s3, 0x42b17218, v48
	v_cmp_nlt_f32_e32 vcc_lo, 0x42b17218, v68
	s_wait_alu 0xf1ff
	v_cndmask_b32_e64 v68, 0x7f800000, v69, s4
	v_cndmask_b32_e64 v48, 0x7f800000, v72, s2
	;; [unrolled: 1-line block ×3, first 2 shown]
	s_wait_alu 0xfffd
	v_cndmask_b32_e32 v51, 0x7f800000, v71, vcc_lo
	s_delay_alu instid0(VALU_DEP_3) | instskip(NEXT) | instid1(VALU_DEP_3)
	v_cvt_f16_f32_e32 v71, v48
	v_cvt_f16_f32_e32 v69, v49
	s_delay_alu instid0(VALU_DEP_3) | instskip(NEXT) | instid1(VALU_DEP_2)
	v_fmac_f32_e32 v48, v50, v51
	v_pack_b32_f16 v69, v69, v71
	ds_store_b32 v44, v69
	s_wait_loadcnt 0x3
	ds_store_b128 v38, v[52:55]
	s_wait_loadcnt 0x2
	ds_store_b128 v40, v[56:59]
	;; [unrolled: 2-line block ×4, first 2 shown]
	s_wait_dscnt 0x0
	s_barrier_signal -1
	s_barrier_wait -1
	global_inv scope:SCOPE_SE
	ds_load_b128 v[52:55], v39
	v_fmac_f32_e32 v49, v70, v68
	v_cvt_f16_f32_e32 v68, v68
	v_cvt_f16_f32_e32 v70, v51
	s_delay_alu instid0(VALU_DEP_2) | instskip(NEXT) | instid1(VALU_DEP_2)
	v_and_b32_e32 v68, 0xffff, v68
	v_and_b32_e32 v70, 0xffff, v70
	s_delay_alu instid0(VALU_DEP_2) | instskip(NEXT) | instid1(VALU_DEP_2)
	v_mul_u32_u24_e32 v94, 0x10001, v68
	v_mul_u32_u24_e32 v95, 0x10001, v70
	ds_load_2addr_b32 v[76:77], v30 offset1:32
	ds_load_b128 v[56:59], v39 offset:16
	ds_load_b128 v[60:63], v39 offset:32
	;; [unrolled: 1-line block ×3, first 2 shown]
	ds_load_2addr_b32 v[78:79], v30 offset0:64 offset1:96
	ds_load_2addr_b32 v[80:81], v30 offset0:128 offset1:160
	;; [unrolled: 1-line block ×3, first 2 shown]
	ds_load_2addr_b32 v[84:85], v45 offset1:32
	ds_load_2addr_b32 v[86:87], v45 offset0:64 offset1:96
	ds_load_2addr_b32 v[88:89], v45 offset0:128 offset1:160
	;; [unrolled: 1-line block ×3, first 2 shown]
	ds_load_2addr_b32 v[92:93], v46 offset1:32
	ds_load_b128 v[68:71], v39 offset:64
	ds_load_b128 v[72:75], v39 offset:80
	s_wait_dscnt 0xe
	v_lshrrev_b32_e32 v96, 16, v52
	v_and_b32_e32 v52, 0xffff, v52
	v_lshrrev_b32_e32 v97, 16, v53
	v_and_b32_e32 v53, 0xffff, v53
	;; [unrolled: 2-line block ×3, first 2 shown]
	v_mul_u32_u24_e32 v52, 0x10001, v52
	v_lshrrev_b32_e32 v99, 16, v55
	v_and_b32_e32 v100, 0xffff, v55
	s_wait_dscnt 0xc
	v_lshrrev_b32_e32 v103, 16, v58
	v_and_b32_e32 v104, 0xffff, v58
	v_pk_mul_f16 v52, v76, v52
	v_mul_u32_u24_e32 v58, 0x10001, v98
	v_lshrrev_b32_e32 v101, 16, v56
	v_and_b32_e32 v56, 0xffff, v56
	v_lshrrev_b32_e32 v105, 16, v59
	v_pk_fma_f16 v26, v26, v94, v52
	v_mul_u32_u24_e32 v52, 0x10001, v96
	v_and_b32_e32 v106, 0xffff, v59
	v_mul_u32_u24_e32 v59, 0x10001, v100
	v_lshrrev_b32_e32 v102, 16, v57
	v_and_b32_e32 v57, 0xffff, v57
	v_pk_mul_f16 v52, v76, v52
	v_mul_u32_u24_e32 v56, 0x10001, v56
	s_wait_dscnt 0xb
	v_lshrrev_b32_e32 v107, 16, v60
	v_mul_u32_u24_e32 v76, 0x10001, v102
	v_mul_u32_u24_e32 v57, 0x10001, v57
	v_pk_fma_f16 v22, v22, v95, v52
	v_mul_u32_u24_e32 v52, 0x10001, v53
	v_mul_u32_u24_e32 v53, 0x10001, v54
	v_and_b32_e32 v108, 0xffff, v60
	v_mul_u32_u24_e32 v94, 0x10001, v105
	v_lshrrev_b32_e32 v109, 16, v61
	v_pk_fma_f16 v26, v77, v52, v26
	v_mul_u32_u24_e32 v52, 0x10001, v97
	v_and_b32_e32 v110, 0xffff, v61
	v_lshrrev_b32_e32 v111, 16, v62
	v_and_b32_e32 v112, 0xffff, v62
	s_wait_dscnt 0x9
	v_pk_fma_f16 v26, v78, v53, v26
	v_pk_fma_f16 v22, v77, v52, v22
	v_lshrrev_b32_e32 v113, 16, v63
	v_and_b32_e32 v114, 0xffff, v63
	v_lshrrev_b32_e32 v115, 16, v64
	v_pk_fma_f16 v26, v79, v59, v26
	v_pk_fma_f16 v22, v78, v58, v22
	v_mul_u32_u24_e32 v58, 0x10001, v99
	v_mul_u32_u24_e32 v78, 0x10001, v104
	v_and_b32_e32 v116, 0xffff, v64
	s_wait_dscnt 0x8
	v_pk_fma_f16 v26, v80, v56, v26
	v_lshrrev_b32_e32 v117, 16, v65
	v_pk_fma_f16 v22, v79, v58, v22
	v_mul_u32_u24_e32 v58, 0x10001, v101
	v_mul_u32_u24_e32 v79, 0x10001, v103
	v_pk_fma_f16 v26, v81, v57, v26
	v_and_b32_e32 v118, 0xffff, v65
	v_lshrrev_b32_e32 v119, 16, v66
	v_pk_fma_f16 v22, v80, v58, v22
	v_and_b32_e32 v120, 0xffff, v66
	s_wait_dscnt 0x7
	v_pk_fma_f16 v26, v82, v78, v26
	v_mul_u32_u24_e32 v78, 0x10001, v108
	v_lshrrev_b32_e32 v121, 16, v67
	v_pk_fma_f16 v22, v81, v76, v22
	v_mul_u32_u24_e32 v81, 0x10001, v106
	v_and_b32_e32 v122, 0xffff, v67
	s_wait_dscnt 0x1
	v_lshrrev_b32_e32 v123, 16, v68
	v_and_b32_e32 v124, 0xffff, v68
	v_pk_fma_f16 v22, v82, v79, v22
	v_mul_u32_u24_e32 v79, 0x10001, v107
	v_pk_fma_f16 v26, v83, v81, v26
	v_mul_u32_u24_e32 v82, 0x10001, v110
	ds_load_2addr_b32 v[60:61], v46 offset0:64 offset1:96
	v_pk_fma_f16 v22, v83, v94, v22
	v_mul_u32_u24_e32 v83, 0x10001, v109
	v_pk_fma_f16 v26, v84, v78, v26
	v_mul_u32_u24_e32 v78, 0x10001, v112
	v_lshrrev_b32_e32 v125, 16, v69
	v_pk_fma_f16 v22, v84, v79, v22
	v_mul_u32_u24_e32 v79, 0x10001, v111
	v_pk_fma_f16 v26, v85, v82, v26
	v_mul_u32_u24_e32 v84, 0x10001, v113
	v_and_b32_e32 v126, 0xffff, v69
	v_pk_fma_f16 v22, v85, v83, v22
	v_mul_u32_u24_e32 v83, 0x10001, v114
	v_pk_fma_f16 v26, v86, v78, v26
	v_mul_u32_u24_e32 v78, 0x10001, v116
	v_mul_u32_u24_e32 v85, 0x10001, v117
	v_pk_fma_f16 v22, v86, v79, v22
	v_mul_u32_u24_e32 v79, 0x10001, v115
	v_pk_fma_f16 v26, v87, v83, v26
	v_mul_u32_u24_e32 v86, 0x10001, v121
	v_lshrrev_b32_e32 v127, 16, v70
	v_pk_fma_f16 v22, v87, v84, v22
	v_mul_u32_u24_e32 v84, 0x10001, v118
	v_pk_fma_f16 v26, v88, v78, v26
	v_mul_u32_u24_e32 v78, 0x10001, v120
	v_and_b32_e32 v128, 0xffff, v70
	v_pk_fma_f16 v22, v88, v79, v22
	v_mul_u32_u24_e32 v79, 0x10001, v119
	v_pk_fma_f16 v26, v89, v84, v26
	ds_load_2addr_b32 v[62:63], v46 offset0:128 offset1:160
	v_mul_u32_u24_e32 v87, 0x10001, v125
	v_pk_fma_f16 v22, v89, v85, v22
	v_mul_u32_u24_e32 v85, 0x10001, v122
	v_pk_fma_f16 v26, v90, v78, v26
	v_mul_u32_u24_e32 v78, 0x10001, v124
	v_lshrrev_b32_e32 v129, 16, v71
	v_pk_fma_f16 v22, v90, v79, v22
	v_mul_u32_u24_e32 v79, 0x10001, v123
	v_pk_fma_f16 v26, v91, v85, v26
	v_and_b32_e32 v130, 0xffff, v71
	ds_load_2addr_b32 v[64:65], v46 offset0:192 offset1:224
	v_pk_fma_f16 v22, v91, v86, v22
	v_mul_u32_u24_e32 v86, 0x10001, v126
	v_pk_fma_f16 v26, v92, v78, v26
	v_mul_u32_u24_e32 v78, 0x10001, v128
	ds_load_b128 v[52:55], v39 offset:96
	ds_load_b128 v[56:59], v39 offset:112
	v_pk_fma_f16 v22, v92, v79, v22
	v_mul_u32_u24_e32 v79, 0x10001, v127
	v_pk_fma_f16 v26, v93, v86, v26
	s_wait_dscnt 0x5
	v_lshrrev_b32_e32 v80, 16, v72
	v_and_b32_e32 v72, 0xffff, v72
	v_pk_fma_f16 v22, v93, v87, v22
	v_mul_u32_u24_e32 v87, 0x10001, v130
	v_mul_u32_u24_e32 v88, 0x10001, v129
	s_wait_dscnt 0x4
	v_pk_fma_f16 v26, v60, v78, v26
	v_lshrrev_b32_e32 v81, 16, v73
	v_pk_fma_f16 v22, v60, v79, v22
	v_and_b32_e32 v73, 0xffff, v73
	v_mul_u32_u24_e32 v60, 0x10001, v72
	v_mul_u32_u24_e32 v72, 0x10001, v80
	v_pk_fma_f16 v26, v61, v87, v26
	v_pk_fma_f16 v22, v61, v88, v22
	ds_load_2addr_b32 v[66:67], v47 offset1:32
	v_lshrrev_b32_e32 v82, 16, v74
	v_and_b32_e32 v74, 0xffff, v74
	v_mul_u32_u24_e32 v73, 0x10001, v73
	v_mul_u32_u24_e32 v78, 0x10001, v81
	s_wait_dscnt 0x4
	v_pk_fma_f16 v26, v62, v60, v26
	v_pk_fma_f16 v22, v62, v72, v22
	v_lshrrev_b32_e32 v83, 16, v75
	v_and_b32_e32 v75, 0xffff, v75
	v_mul_u32_u24_e32 v60, 0x10001, v74
	v_mul_u32_u24_e32 v62, 0x10001, v82
	v_pk_fma_f16 v26, v63, v73, v26
	v_pk_fma_f16 v22, v63, v78, v22
	ds_load_2addr_b32 v[68:69], v47 offset0:64 offset1:96
	s_wait_dscnt 0x3
	v_lshrrev_b32_e32 v84, 16, v52
	v_and_b32_e32 v52, 0xffff, v52
	v_mul_u32_u24_e32 v72, 0x10001, v75
	v_mul_u32_u24_e32 v73, 0x10001, v83
	v_pk_fma_f16 v26, v64, v60, v26
	v_pk_fma_f16 v22, v64, v62, v22
	v_lshrrev_b32_e32 v85, 16, v53
	v_and_b32_e32 v53, 0xffff, v53
	v_mul_u32_u24_e32 v52, 0x10001, v52
	v_mul_u32_u24_e32 v60, 0x10001, v84
	v_pk_fma_f16 v26, v65, v72, v26
	v_pk_fma_f16 v22, v65, v73, v22
	ds_load_2addr_b32 v[70:71], v47 offset0:128 offset1:160
	v_lshrrev_b32_e32 v86, 16, v54
	v_and_b32_e32 v54, 0xffff, v54
	v_mul_u32_u24_e32 v53, 0x10001, v53
	v_mul_u32_u24_e32 v64, 0x10001, v85
	s_wait_dscnt 0x2
	v_pk_fma_f16 v26, v66, v52, v26
	v_pk_fma_f16 v22, v66, v60, v22
	v_lshrrev_b32_e32 v61, 16, v55
	v_and_b32_e32 v55, 0xffff, v55
	v_lshrrev_b32_e32 v62, 16, v57
	v_and_b32_e32 v52, 0xffff, v57
	v_mul_u32_u24_e32 v54, 0x10001, v54
	v_mul_u32_u24_e32 v57, 0x10001, v86
	v_pk_fma_f16 v26, v67, v53, v26
	v_pk_fma_f16 v22, v67, v64, v22
	ds_load_2addr_b32 v[76:77], v47 offset0:192 offset1:224
	v_lshrrev_b32_e32 v63, 16, v56
	v_and_b32_e32 v56, 0xffff, v56
	v_mul_u32_u24_e32 v55, 0x10001, v55
	v_mul_u32_u24_e32 v60, 0x10001, v61
	s_wait_dscnt 0x2
	v_pk_fma_f16 v26, v68, v54, v26
	v_pk_fma_f16 v22, v68, v57, v22
	s_wait_loadcnt_dscnt 0x0
	s_barrier_signal -1
	s_barrier_wait -1
	global_inv scope:SCOPE_SE
	s_load_b32 s2, s[24:25], 0x4
	v_mul_u32_u24_e32 v56, 0x10001, v56
	v_mul_u32_u24_e32 v57, 0x10001, v63
	v_pk_fma_f16 v26, v69, v55, v26
	v_pk_fma_f16 v22, v69, v60, v22
	v_lshrrev_b32_e32 v53, 16, v58
	v_and_b32_e32 v54, 0xffff, v58
	v_mul_u32_u24_e32 v52, 0x10001, v52
	v_mul_u32_u24_e32 v58, 0x10001, v62
	v_pk_fma_f16 v26, v70, v56, v26
	v_pk_fma_f16 v22, v70, v57, v22
	v_lshrrev_b32_e32 v55, 16, v59
	v_and_b32_e32 v56, 0xffff, v59
	v_mul_u32_u24_e32 v54, 0x10001, v54
	v_mul_u32_u24_e32 v53, 0x10001, v53
	v_pk_fma_f16 v26, v71, v52, v26
	v_pk_fma_f16 v22, v71, v58, v22
	v_mul_u32_u24_e32 v50, 0x10001, v56
	v_mul_u32_u24_e32 v51, 0x10001, v55
	s_delay_alu instid0(VALU_DEP_4) | instskip(NEXT) | instid1(VALU_DEP_4)
	v_pk_fma_f16 v26, v76, v54, v26
	v_pk_fma_f16 v22, v76, v53, v22
	s_wait_kmcnt 0x0
	s_lshl_b32 s2, s2, 5
	s_wait_alu 0xfffe
	s_add_co_i32 s14, s2, s14
	v_pk_fma_f16 v26, v77, v50, v26
	v_pk_fma_f16 v22, v77, v51, v22
	s_wait_alu 0xfffe
	s_cmp_ge_i32 s14, s30
	s_cbranch_scc0 .LBB30_9
; %bb.10:
	v_mov_b32_e32 v5, v23
	v_lshlrev_b32_e32 v11, 1, v0
.LBB30_11:
	v_cmp_lt_i32_e32 vcc_lo, v31, v24
	s_cmp_lg_u64 s[12:13], 0
	s_cselect_b32 s2, -1, 0
	s_cmp_eq_u32 s10, 0
	s_wait_alu 0xfffd
	v_cndmask_b32_e32 v4, v5, v31, vcc_lo
	v_cmp_lt_i32_e32 vcc_lo, v29, v24
	s_cselect_b32 s3, -1, 0
	s_wait_alu 0xfffe
	s_and_b32 s2, s3, s2
	s_wait_alu 0xfffd
	v_cndmask_b32_e32 v7, v5, v29, vcc_lo
	v_cmp_lt_i32_e32 vcc_lo, v28, v24
	s_wait_alu 0xfffd
	v_cndmask_b32_e32 v9, v5, v28, vcc_lo
	v_cmp_lt_i32_e32 vcc_lo, v27, v24
	s_delay_alu instid0(VALU_DEP_2)
	v_lshlrev_b32_e32 v9, 2, v9
	v_lshlrev_b32_e32 v4, 2, v4
	ds_bpermute_b32 v6, v4, v49
	ds_bpermute_b32 v4, v4, v48
	s_wait_dscnt 0x1
	v_add_f32_e32 v6, v49, v6
	s_wait_dscnt 0x0
	v_dual_add_f32 v4, v48, v4 :: v_dual_lshlrev_b32 v7, 2, v7
	ds_bpermute_b32 v8, v7, v6
	ds_bpermute_b32 v7, v7, v4
	s_wait_dscnt 0x1
	v_add_f32_e32 v6, v6, v8
	s_wait_dscnt 0x0
	v_add_f32_e32 v4, v4, v7
	ds_bpermute_b32 v7, v9, v6
	ds_bpermute_b32 v8, v9, v4
	s_wait_alu 0xfffd
	v_cndmask_b32_e32 v9, v5, v27, vcc_lo
	v_cmp_lt_i32_e32 vcc_lo, v25, v24
	s_delay_alu instid0(VALU_DEP_2)
	v_lshlrev_b32_e32 v9, 2, v9
	s_wait_alu 0xfffd
	v_cndmask_b32_e32 v5, v5, v25, vcc_lo
	s_wait_alu 0xfffe
	s_and_b32 vcc_lo, exec_lo, s2
	s_mov_b32 s2, 0
	s_wait_dscnt 0x1
	v_dual_add_f32 v6, v6, v7 :: v_dual_lshlrev_b32 v5, 2, v5
	s_wait_dscnt 0x0
	v_add_f32_e32 v4, v4, v8
	ds_bpermute_b32 v7, v9, v6
	ds_bpermute_b32 v8, v9, v4
	s_wait_dscnt 0x0
	v_dual_add_f32 v6, v6, v7 :: v_dual_add_f32 v7, v4, v8
	ds_bpermute_b32 v4, v5, v6
	ds_bpermute_b32 v5, v5, v7
	s_wait_dscnt 0x0
	v_dual_add_f32 v4, v6, v4 :: v_dual_add_f32 v5, v7, v5
	v_add_nc_u32_e32 v6, s33, v21
	s_wait_alu 0xfffe
	s_cbranch_vccnz .LBB30_14
; %bb.12:
	s_delay_alu instid0(VALU_DEP_2)
	v_dual_mov_b32 v8, v5 :: v_dual_add_nc_u32 v9, s33, v21
	v_mov_b32_e32 v7, v4
	s_and_not1_b32 vcc_lo, exec_lo, s2
	s_wait_alu 0xfffe
	s_cbranch_vccz .LBB30_15
; %bb.13:
	v_mov_b32_e32 v6, v9
	s_branch .LBB30_16
.LBB30_14:
                                        ; implicit-def: $vgpr9
                                        ; implicit-def: $vgpr7_vgpr8
.LBB30_15:
	s_delay_alu instid0(VALU_DEP_1) | instskip(NEXT) | instid1(VALU_DEP_1)
	v_ashrrev_i32_e32 v7, 31, v6
	v_lshlrev_b64_e32 v[7:8], 2, v[6:7]
	s_delay_alu instid0(VALU_DEP_1) | instskip(SKIP_1) | instid1(VALU_DEP_2)
	v_add_co_u32 v7, vcc_lo, s12, v7
	s_wait_alu 0xfffd
	v_add_co_ci_u32_e64 v8, null, s13, v8, vcc_lo
	global_load_b64 v[7:8], v[7:8], off
	v_dual_max_num_f32 v9, v2, v2 :: v_dual_max_num_f32 v12, v3, v3
	s_wait_loadcnt 0x0
	v_dual_max_num_f32 v13, v8, v8 :: v_dual_max_num_f32 v10, v7, v7
	s_delay_alu instid0(VALU_DEP_1) | instskip(NEXT) | instid1(VALU_DEP_1)
	v_dual_max_num_f32 v9, v9, v10 :: v_dual_max_num_f32 v10, v12, v13
	v_dual_sub_f32 v2, v2, v9 :: v_dual_sub_f32 v3, v3, v10
	v_dual_sub_f32 v7, v7, v9 :: v_dual_sub_f32 v8, v8, v10
	s_delay_alu instid0(VALU_DEP_2) | instskip(NEXT) | instid1(VALU_DEP_3)
	v_mul_f32_e32 v12, 0x3fb8aa3b, v2
	v_mul_f32_e32 v14, 0x3fb8aa3b, v3
	s_delay_alu instid0(VALU_DEP_3) | instskip(NEXT) | instid1(VALU_DEP_4)
	v_mul_f32_e32 v13, 0x3fb8aa3b, v7
	v_mul_f32_e32 v15, 0x3fb8aa3b, v8
	v_cmp_ngt_f32_e32 vcc_lo, 0xc2ce8ed0, v2
	v_fma_f32 v16, 0x3fb8aa3b, v2, -v12
	v_rndne_f32_e32 v17, v12
	v_fma_f32 v18, 0x3fb8aa3b, v7, -v13
	v_rndne_f32_e32 v20, v14
	v_rndne_f32_e32 v21, v13
	v_fma_f32 v19, 0x3fb8aa3b, v3, -v14
	v_fmac_f32_e32 v16, 0x32a5705f, v2
	v_fma_f32 v23, 0x3fb8aa3b, v8, -v15
	v_sub_f32_e32 v12, v12, v17
	v_dual_sub_f32 v14, v14, v20 :: v_dual_sub_f32 v13, v13, v21
	v_rndne_f32_e32 v24, v15
	v_fmac_f32_e32 v18, 0x32a5705f, v7
	v_fmac_f32_e32 v19, 0x32a5705f, v3
	;; [unrolled: 1-line block ×3, first 2 shown]
	s_delay_alu instid0(VALU_DEP_4) | instskip(NEXT) | instid1(VALU_DEP_4)
	v_sub_f32_e32 v15, v15, v24
	v_dual_add_f32 v12, v12, v16 :: v_dual_add_f32 v13, v13, v18
	v_cvt_i32_f32_e32 v18, v21
	v_cvt_i32_f32_e32 v16, v17
	;; [unrolled: 1-line block ×3, first 2 shown]
	s_delay_alu instid0(VALU_DEP_4) | instskip(SKIP_1) | instid1(TRANS32_DEP_2)
	v_exp_f32_e32 v12, v12
	v_exp_f32_e32 v13, v13
	v_ldexp_f32 v12, v12, v16
	s_delay_alu instid0(TRANS32_DEP_1)
	v_ldexp_f32 v13, v13, v18
	v_add_f32_e32 v14, v14, v19
	v_add_f32_e32 v15, v15, v23
	v_cvt_i32_f32_e32 v16, v24
	s_wait_alu 0xfffd
	v_cndmask_b32_e32 v12, 0, v12, vcc_lo
	v_cmp_ngt_f32_e32 vcc_lo, 0xc2ce8ed0, v3
	v_exp_f32_e32 v14, v14
	v_exp_f32_e32 v15, v15
	s_delay_alu instid0(TRANS32_DEP_2) | instskip(SKIP_1) | instid1(VALU_DEP_1)
	v_ldexp_f32 v14, v14, v17
	s_wait_alu 0xfffd
	v_cndmask_b32_e32 v14, 0, v14, vcc_lo
	v_cmp_nlt_f32_e32 vcc_lo, 0x42b17218, v2
	s_wait_alu 0xfffd
	v_cndmask_b32_e32 v2, 0x7f800000, v12, vcc_lo
	v_cmp_nlt_f32_e32 vcc_lo, 0x42b17218, v3
	s_delay_alu instid0(TRANS32_DEP_1)
	v_ldexp_f32 v12, v15, v16
	s_wait_alu 0xfffd
	v_cndmask_b32_e32 v3, 0x7f800000, v14, vcc_lo
	v_cmp_ngt_f32_e32 vcc_lo, 0xc2ce8ed0, v7
	s_wait_alu 0xfffd
	v_cndmask_b32_e32 v13, 0, v13, vcc_lo
	v_cmp_ngt_f32_e32 vcc_lo, 0xc2ce8ed0, v8
	s_wait_alu 0xfffd
	v_cndmask_b32_e32 v12, 0, v12, vcc_lo
	v_cmp_nlt_f32_e32 vcc_lo, 0x42b17218, v7
	s_wait_alu 0xfffd
	v_cndmask_b32_e32 v7, 0x7f800000, v13, vcc_lo
	v_cmp_nlt_f32_e32 vcc_lo, 0x42b17218, v8
	s_wait_alu 0xfffd
	v_cndmask_b32_e32 v8, 0x7f800000, v12, vcc_lo
	s_delay_alu instid0(VALU_DEP_1) | instskip(NEXT) | instid1(VALU_DEP_1)
	v_fmac_f32_e32 v8, v5, v3
	v_mov_b32_e32 v5, v8
	v_fmac_f32_e32 v7, v4, v2
	v_cvt_f16_f32_e32 v14, v2
	s_delay_alu instid0(VALU_DEP_2) | instskip(SKIP_1) | instid1(VALU_DEP_3)
	v_mov_b32_e32 v4, v7
	v_cvt_f16_f32_e32 v15, v3
	v_dual_mov_b32 v2, v9 :: v_dual_and_b32 v13, 0xffff, v14
	s_delay_alu instid0(VALU_DEP_2) | instskip(NEXT) | instid1(VALU_DEP_2)
	v_dual_mov_b32 v3, v10 :: v_dual_and_b32 v14, 0xffff, v15
	v_mul_u32_u24_e32 v12, 0x10001, v13
	s_delay_alu instid0(VALU_DEP_2) | instskip(NEXT) | instid1(VALU_DEP_2)
	v_mul_u32_u24_e32 v13, 0x10001, v14
	v_pk_mul_f16 v26, v26, v12
	s_delay_alu instid0(VALU_DEP_2)
	v_pk_mul_f16 v22, v22, v13
.LBB30_16:
	s_load_b32 s1, s[0:1], 0xd4
	v_mov_b32_e32 v12, 1.0
	s_wait_kmcnt 0x0
	s_cmp_lg_u32 s1, 1
	s_cselect_b32 s3, -1, 0
	s_cmp_eq_u32 s1, 1
	s_cselect_b32 s2, -1, 0
	s_wait_alu 0xfffe
	s_and_b32 vcc_lo, exec_lo, s3
	s_wait_alu 0xfffe
	s_cbranch_vccnz .LBB30_18
; %bb.17:
	v_div_scale_f32 v9, null, v4, v4, 1.0
	s_delay_alu instid0(VALU_DEP_1) | instskip(NEXT) | instid1(TRANS32_DEP_1)
	v_rcp_f32_e32 v10, v9
	v_fma_f32 v12, -v9, v10, 1.0
	s_delay_alu instid0(VALU_DEP_1) | instskip(SKIP_1) | instid1(VALU_DEP_1)
	v_fmac_f32_e32 v10, v12, v10
	v_div_scale_f32 v12, vcc_lo, 1.0, v4, 1.0
	v_mul_f32_e32 v13, v12, v10
	s_delay_alu instid0(VALU_DEP_1) | instskip(NEXT) | instid1(VALU_DEP_1)
	v_fma_f32 v14, -v9, v13, v12
	v_fmac_f32_e32 v13, v14, v10
	s_delay_alu instid0(VALU_DEP_1) | instskip(SKIP_1) | instid1(VALU_DEP_1)
	v_fma_f32 v9, -v9, v13, v12
	s_wait_alu 0xfffd
	v_div_fmas_f32 v9, v9, v10, v13
	s_delay_alu instid0(VALU_DEP_1)
	v_div_fixup_f32 v12, v9, v4, 1.0
.LBB30_18:
	v_mad_co_u64_u32 v[9:10], null, s28, s22, v[1:2]
	v_lshrrev_b32_e32 v1, 16, v26
	v_cvt_f32_f16_e32 v4, v26
	v_cmp_eq_u32_e32 vcc_lo, 0, v0
	s_delay_alu instid0(VALU_DEP_3) | instskip(SKIP_3) | instid1(VALU_DEP_4)
	v_cvt_f32_f16_e32 v1, v1
	v_mad_co_u64_u32 v[9:10], null, v9, s23, v[6:7]
	v_mov_b32_e32 v14, 0
	v_mul_f32_e32 v0, v12, v4
	v_mul_f32_e32 v1, v12, v1
	s_delay_alu instid0(VALU_DEP_4) | instskip(NEXT) | instid1(VALU_DEP_1)
	v_mad_co_u64_u32 v[9:10], null, s1, v9, s[10:11]
	v_lshl_add_u32 v13, v9, 6, v11
	s_delay_alu instid0(VALU_DEP_1) | instskip(NEXT) | instid1(VALU_DEP_1)
	v_lshlrev_b64_e32 v[13:14], 2, v[13:14]
	v_add_co_u32 v12, s0, s16, v13
	s_wait_alu 0xf1ff
	s_delay_alu instid0(VALU_DEP_2)
	v_add_co_ci_u32_e64 v13, null, s17, v14, s0
	s_and_b32 s0, vcc_lo, s3
	global_store_b64 v[12:13], v[0:1], off
	s_wait_alu 0xfffe
	s_and_saveexec_b32 s3, s0
	s_cbranch_execz .LBB30_20
; %bb.19:
	v_ashrrev_i32_e32 v10, 31, v9
	v_mov_b32_e32 v6, v2
	s_delay_alu instid0(VALU_DEP_2) | instskip(NEXT) | instid1(VALU_DEP_1)
	v_lshlrev_b64_e32 v[0:1], 3, v[9:10]
	v_add_co_u32 v0, vcc_lo, s18, v0
	s_wait_alu 0xfffd
	s_delay_alu instid0(VALU_DEP_2)
	v_add_co_ci_u32_e64 v1, null, s19, v1, vcc_lo
	global_store_b64 v[0:1], v[6:7], off
.LBB30_20:
	s_wait_alu 0xfffe
	s_or_b32 exec_lo, exec_lo, s3
	v_mov_b32_e32 v1, 1.0
	s_and_not1_b32 vcc_lo, exec_lo, s2
	s_wait_alu 0xfffe
	s_cbranch_vccnz .LBB30_22
; %bb.21:
	v_div_scale_f32 v0, null, v5, v5, 1.0
	s_delay_alu instid0(VALU_DEP_1) | instskip(NEXT) | instid1(TRANS32_DEP_1)
	v_rcp_f32_e32 v1, v0
	v_fma_f32 v2, -v0, v1, 1.0
	s_delay_alu instid0(VALU_DEP_1) | instskip(SKIP_1) | instid1(VALU_DEP_1)
	v_fmac_f32_e32 v1, v2, v1
	v_div_scale_f32 v2, vcc_lo, 1.0, v5, 1.0
	v_mul_f32_e32 v4, v2, v1
	s_delay_alu instid0(VALU_DEP_1) | instskip(NEXT) | instid1(VALU_DEP_1)
	v_fma_f32 v6, -v0, v4, v2
	v_fmac_f32_e32 v4, v6, v1
	s_delay_alu instid0(VALU_DEP_1) | instskip(SKIP_1) | instid1(VALU_DEP_1)
	v_fma_f32 v0, -v0, v4, v2
	s_wait_alu 0xfffd
	v_div_fmas_f32 v0, v0, v1, v4
	s_delay_alu instid0(VALU_DEP_1)
	v_div_fixup_f32 v1, v0, v5, 1.0
.LBB30_22:
	v_dual_mov_b32 v5, 0 :: v_dual_add_nc_u32 v0, s1, v9
	v_lshrrev_b32_e32 v2, 16, v22
	v_cvt_f32_f16_e32 v6, v22
	s_delay_alu instid0(VALU_DEP_3) | instskip(NEXT) | instid1(VALU_DEP_3)
	v_lshl_add_u32 v4, v0, 6, v11
	v_cvt_f32_f16_e32 v2, v2
	s_delay_alu instid0(VALU_DEP_3) | instskip(NEXT) | instid1(VALU_DEP_3)
	v_mul_f32_e32 v6, v1, v6
	v_lshlrev_b64_e32 v[4:5], 2, v[4:5]
	s_delay_alu instid0(VALU_DEP_3) | instskip(NEXT) | instid1(VALU_DEP_2)
	v_mul_f32_e32 v7, v1, v2
	v_add_co_u32 v1, vcc_lo, s16, v4
	s_wait_alu 0xfffd
	s_delay_alu instid0(VALU_DEP_3)
	v_add_co_ci_u32_e64 v2, null, s17, v5, vcc_lo
	global_store_b64 v[1:2], v[6:7], off
	s_and_saveexec_b32 s1, s0
	s_cbranch_execz .LBB30_24
; %bb.23:
	v_ashrrev_i32_e32 v1, 31, v0
	v_mov_b32_e32 v7, v3
	s_delay_alu instid0(VALU_DEP_2) | instskip(NEXT) | instid1(VALU_DEP_1)
	v_lshlrev_b64_e32 v[0:1], 3, v[0:1]
	v_add_co_u32 v0, vcc_lo, s18, v0
	s_wait_alu 0xfffd
	s_delay_alu instid0(VALU_DEP_2)
	v_add_co_ci_u32_e64 v1, null, s19, v1, vcc_lo
	global_store_b64 v[0:1], v[7:8], off
.LBB30_24:
	s_nop 0
	s_sendmsg sendmsg(MSG_DEALLOC_VGPRS)
	s_endpgm
	.section	.rodata,"a",@progbits
	.p2align	6, 0x0
	.amdhsa_kernel _ZL15flash_attn_tileILi64ELi64ELi1ELi4ELb0EEvPKcS1_S1_S1_S1_PKiPfP15HIP_vector_typeIfLj2EEffffjfiS5_IjLj3EEiiiiiiiiiiiliiliiiiil
		.amdhsa_group_segment_fixed_size 5376
		.amdhsa_private_segment_fixed_size 0
		.amdhsa_kernarg_size 464
		.amdhsa_user_sgpr_count 2
		.amdhsa_user_sgpr_dispatch_ptr 0
		.amdhsa_user_sgpr_queue_ptr 0
		.amdhsa_user_sgpr_kernarg_segment_ptr 1
		.amdhsa_user_sgpr_dispatch_id 0
		.amdhsa_user_sgpr_private_segment_size 0
		.amdhsa_wavefront_size32 1
		.amdhsa_uses_dynamic_stack 0
		.amdhsa_enable_private_segment 0
		.amdhsa_system_sgpr_workgroup_id_x 1
		.amdhsa_system_sgpr_workgroup_id_y 1
		.amdhsa_system_sgpr_workgroup_id_z 1
		.amdhsa_system_sgpr_workgroup_info 0
		.amdhsa_system_vgpr_workitem_id 1
		.amdhsa_next_free_vgpr 131
		.amdhsa_next_free_sgpr 42
		.amdhsa_reserve_vcc 1
		.amdhsa_float_round_mode_32 0
		.amdhsa_float_round_mode_16_64 0
		.amdhsa_float_denorm_mode_32 3
		.amdhsa_float_denorm_mode_16_64 3
		.amdhsa_fp16_overflow 0
		.amdhsa_workgroup_processor_mode 1
		.amdhsa_memory_ordered 1
		.amdhsa_forward_progress 1
		.amdhsa_inst_pref_size 55
		.amdhsa_round_robin_scheduling 0
		.amdhsa_exception_fp_ieee_invalid_op 0
		.amdhsa_exception_fp_denorm_src 0
		.amdhsa_exception_fp_ieee_div_zero 0
		.amdhsa_exception_fp_ieee_overflow 0
		.amdhsa_exception_fp_ieee_underflow 0
		.amdhsa_exception_fp_ieee_inexact 0
		.amdhsa_exception_int_div_zero 0
	.end_amdhsa_kernel
	.section	.text._ZL15flash_attn_tileILi64ELi64ELi1ELi4ELb0EEvPKcS1_S1_S1_S1_PKiPfP15HIP_vector_typeIfLj2EEffffjfiS5_IjLj3EEiiiiiiiiiiiliiliiiiil,"axG",@progbits,_ZL15flash_attn_tileILi64ELi64ELi1ELi4ELb0EEvPKcS1_S1_S1_S1_PKiPfP15HIP_vector_typeIfLj2EEffffjfiS5_IjLj3EEiiiiiiiiiiiliiliiiiil,comdat
.Lfunc_end30:
	.size	_ZL15flash_attn_tileILi64ELi64ELi1ELi4ELb0EEvPKcS1_S1_S1_S1_PKiPfP15HIP_vector_typeIfLj2EEffffjfiS5_IjLj3EEiiiiiiiiiiiliiliiiiil, .Lfunc_end30-_ZL15flash_attn_tileILi64ELi64ELi1ELi4ELb0EEvPKcS1_S1_S1_S1_PKiPfP15HIP_vector_typeIfLj2EEffffjfiS5_IjLj3EEiiiiiiiiiiiliiliiiiil
                                        ; -- End function
	.set _ZL15flash_attn_tileILi64ELi64ELi1ELi4ELb0EEvPKcS1_S1_S1_S1_PKiPfP15HIP_vector_typeIfLj2EEffffjfiS5_IjLj3EEiiiiiiiiiiiliiliiiiil.num_vgpr, 131
	.set _ZL15flash_attn_tileILi64ELi64ELi1ELi4ELb0EEvPKcS1_S1_S1_S1_PKiPfP15HIP_vector_typeIfLj2EEffffjfiS5_IjLj3EEiiiiiiiiiiiliiliiiiil.num_agpr, 0
	.set _ZL15flash_attn_tileILi64ELi64ELi1ELi4ELb0EEvPKcS1_S1_S1_S1_PKiPfP15HIP_vector_typeIfLj2EEffffjfiS5_IjLj3EEiiiiiiiiiiiliiliiiiil.numbered_sgpr, 42
	.set _ZL15flash_attn_tileILi64ELi64ELi1ELi4ELb0EEvPKcS1_S1_S1_S1_PKiPfP15HIP_vector_typeIfLj2EEffffjfiS5_IjLj3EEiiiiiiiiiiiliiliiiiil.num_named_barrier, 0
	.set _ZL15flash_attn_tileILi64ELi64ELi1ELi4ELb0EEvPKcS1_S1_S1_S1_PKiPfP15HIP_vector_typeIfLj2EEffffjfiS5_IjLj3EEiiiiiiiiiiiliiliiiiil.private_seg_size, 0
	.set _ZL15flash_attn_tileILi64ELi64ELi1ELi4ELb0EEvPKcS1_S1_S1_S1_PKiPfP15HIP_vector_typeIfLj2EEffffjfiS5_IjLj3EEiiiiiiiiiiiliiliiiiil.uses_vcc, 1
	.set _ZL15flash_attn_tileILi64ELi64ELi1ELi4ELb0EEvPKcS1_S1_S1_S1_PKiPfP15HIP_vector_typeIfLj2EEffffjfiS5_IjLj3EEiiiiiiiiiiiliiliiiiil.uses_flat_scratch, 0
	.set _ZL15flash_attn_tileILi64ELi64ELi1ELi4ELb0EEvPKcS1_S1_S1_S1_PKiPfP15HIP_vector_typeIfLj2EEffffjfiS5_IjLj3EEiiiiiiiiiiiliiliiiiil.has_dyn_sized_stack, 0
	.set _ZL15flash_attn_tileILi64ELi64ELi1ELi4ELb0EEvPKcS1_S1_S1_S1_PKiPfP15HIP_vector_typeIfLj2EEffffjfiS5_IjLj3EEiiiiiiiiiiiliiliiiiil.has_recursion, 0
	.set _ZL15flash_attn_tileILi64ELi64ELi1ELi4ELb0EEvPKcS1_S1_S1_S1_PKiPfP15HIP_vector_typeIfLj2EEffffjfiS5_IjLj3EEiiiiiiiiiiiliiliiiiil.has_indirect_call, 0
	.section	.AMDGPU.csdata,"",@progbits
; Kernel info:
; codeLenInByte = 6952
; TotalNumSgprs: 44
; NumVgprs: 131
; ScratchSize: 0
; MemoryBound: 0
; FloatMode: 240
; IeeeMode: 1
; LDSByteSize: 5376 bytes/workgroup (compile time only)
; SGPRBlocks: 0
; VGPRBlocks: 16
; NumSGPRsForWavesPerEU: 44
; NumVGPRsForWavesPerEU: 131
; Occupancy: 10
; WaveLimiterHint : 1
; COMPUTE_PGM_RSRC2:SCRATCH_EN: 0
; COMPUTE_PGM_RSRC2:USER_SGPR: 2
; COMPUTE_PGM_RSRC2:TRAP_HANDLER: 0
; COMPUTE_PGM_RSRC2:TGID_X_EN: 1
; COMPUTE_PGM_RSRC2:TGID_Y_EN: 1
; COMPUTE_PGM_RSRC2:TGID_Z_EN: 1
; COMPUTE_PGM_RSRC2:TIDIG_COMP_CNT: 1
	.section	.text._ZL33flash_attn_stream_k_fixup_uniformILi64ELi1ELi4EEvPfPK15HIP_vector_typeIfLj2EEiiiiiiS1_IjLj3EES5_S5_,"axG",@progbits,_ZL33flash_attn_stream_k_fixup_uniformILi64ELi1ELi4EEvPfPK15HIP_vector_typeIfLj2EEiiiiiiS1_IjLj3EES5_S5_,comdat
	.globl	_ZL33flash_attn_stream_k_fixup_uniformILi64ELi1ELi4EEvPfPK15HIP_vector_typeIfLj2EEiiiiiiS1_IjLj3EES5_S5_ ; -- Begin function _ZL33flash_attn_stream_k_fixup_uniformILi64ELi1ELi4EEvPfPK15HIP_vector_typeIfLj2EEiiiiiiS1_IjLj3EES5_S5_
	.p2align	8
	.type	_ZL33flash_attn_stream_k_fixup_uniformILi64ELi1ELi4EEvPfPK15HIP_vector_typeIfLj2EEiiiiiiS1_IjLj3EES5_S5_,@function
_ZL33flash_attn_stream_k_fixup_uniformILi64ELi1ELi4EEvPfPK15HIP_vector_typeIfLj2EEiiiiiiS1_IjLj3EES5_S5_: ; @_ZL33flash_attn_stream_k_fixup_uniformILi64ELi1ELi4EEvPfPK15HIP_vector_typeIfLj2EEiiiiiiS1_IjLj3EES5_S5_
; %bb.0:
	s_clause 0x1
	s_load_b256 s[4:11], s[0:1], 0x1c
	s_load_b128 s[16:19], s[0:1], 0x3c
	s_wait_kmcnt 0x0
	s_mul_hi_u32 s2, s7, ttmp9
	s_delay_alu instid0(SALU_CYCLE_1) | instskip(NEXT) | instid1(SALU_CYCLE_1)
	s_add_co_i32 s2, ttmp9, s2
	s_lshr_b32 s12, s2, s8
	s_delay_alu instid0(SALU_CYCLE_1) | instskip(SKIP_2) | instid1(SALU_CYCLE_1)
	s_mul_i32 s2, s12, s9
	s_load_b64 s[8:9], s[0:1], 0x10
	s_sub_co_i32 s2, ttmp9, s2
	s_mul_hi_u32 s3, s2, s10
	s_and_b32 s10, ttmp7, 0xffff
	s_add_co_i32 s3, s2, s3
	s_delay_alu instid0(SALU_CYCLE_1) | instskip(NEXT) | instid1(SALU_CYCLE_1)
	s_lshr_b32 s11, s3, s11
	s_mul_i32 s3, s11, s16
	s_delay_alu instid0(SALU_CYCLE_1) | instskip(NEXT) | instid1(SALU_CYCLE_1)
	s_sub_co_i32 s2, s2, s3
	s_mul_hi_u32 s3, s2, s17
	s_delay_alu instid0(SALU_CYCLE_1) | instskip(NEXT) | instid1(SALU_CYCLE_1)
	s_add_co_i32 s3, s2, s3
	s_lshr_b32 s3, s3, s18
	s_delay_alu instid0(SALU_CYCLE_1)
	s_mul_i32 s7, s3, s19
	s_lshl_b32 s14, s3, 2
	s_sub_co_i32 s13, s2, s7
	s_lshr_b32 s7, ttmp7, 16
	s_add_co_i32 s13, s13, s10
	s_wait_kmcnt 0x0
	s_cmp_lt_i32 s13, s8
	s_cselect_b32 s2, -1, 0
	s_add_co_i32 s14, s14, s7
	s_delay_alu instid0(SALU_CYCLE_1) | instskip(SKIP_1) | instid1(SALU_CYCLE_1)
	s_cmp_lt_i32 s14, s5
	s_cselect_b32 s3, -1, 0
	s_and_b32 s2, s2, s3
	s_delay_alu instid0(SALU_CYCLE_1)
	s_and_not1_b32 vcc_lo, exec_lo, s2
	s_cbranch_vccnz .LBB31_6
; %bb.1:
	s_mul_i32 s12, s12, s8
	s_mul_i32 s11, s11, s5
	s_add_co_i32 s5, s13, s12
	s_load_b128 s[0:3], s[0:1], 0x0
	s_add_co_i32 s8, s14, s11
	s_mul_i32 s5, s5, s9
	s_delay_alu instid0(SALU_CYCLE_1) | instskip(NEXT) | instid1(SALU_CYCLE_1)
	s_add_co_i32 s8, s8, s5
	v_lshl_or_b32 v1, s8, 6, v0
	s_mul_i32 s8, s6, ttmp9
	s_wait_alu 0xfffe
	s_add_co_i32 s9, s8, s6
	s_delay_alu instid0(VALU_DEP_1) | instskip(SKIP_2) | instid1(VALU_DEP_1)
	v_ashrrev_i32_e32 v2, 31, v1
	s_wait_alu 0xfffe
	s_add_co_i32 s5, s9, -2
	v_lshlrev_b64_e32 v[1:2], 2, v[1:2]
	s_wait_kmcnt 0x0
	s_delay_alu instid0(VALU_DEP_1) | instskip(NEXT) | instid1(VALU_DEP_1)
	v_add_co_u32 v1, vcc_lo, s0, v1
	v_add_co_ci_u32_e64 v2, null, s1, v2, vcc_lo
	s_add_co_i32 s0, s10, s9
	s_wait_alu 0xfffe
	s_lshl_b32 s0, s0, 2
	global_load_b32 v5, v[1:2], off
	s_wait_alu 0xfffe
	s_add_co_i32 s0, s0, s7
	s_wait_alu 0xfffe
	s_add_co_i32 s0, s0, -4
	s_wait_alu 0xfffe
	s_ashr_i32 s1, s0, 31
	s_wait_alu 0xfffe
	s_lshl_b64 s[0:1], s[0:1], 3
	s_cmp_lt_i32 s5, s8
	s_wait_alu 0xfffe
	s_add_nc_u64 s[0:1], s[2:3], s[0:1]
	s_load_b32 s11, s[0:1], 0x4
	s_cbranch_scc1 .LBB31_4
; %bb.2:
	s_load_b32 s0, s[0:1], 0x0
	s_add_co_i32 s1, ttmp9, 1
	s_lshl_b32 s5, s7, 6
	s_wait_alu 0xfffe
	s_mul_i32 s1, s6, s1
	s_lshl_b32 s6, s10, 8
	s_wait_alu 0xfffe
	s_lshl_b32 s1, s1, 8
	s_add_co_i32 s5, s5, s6
	s_lshl_b32 s12, s4, 4
	s_wait_alu 0xfffe
	s_add_co_i32 s5, s5, s1
	s_add_co_i32 s1, s10, s4
	v_or_b32_e32 v0, s5, v0
	s_wait_alu 0xfffe
	s_add_co_i32 s1, s1, s9
	s_ashr_i32 s13, s12, 31
	s_wait_alu 0xfffe
	s_lshl_b32 s1, s1, 2
	s_wait_kmcnt 0x0
	v_dual_mov_b32 v6, s11 :: v_dual_add_nc_u32 v3, 0xfffffe00, v0
	s_lshl_b64 s[4:5], s[12:13], 2
	s_wait_alu 0xfffe
	s_add_co_i32 s6, s7, s1
	s_add_nc_u64 s[4:5], s[2:3], s[4:5]
	s_add_co_i32 s1, s9, -1
	s_add_co_i32 s6, s6, -8
.LBB31_3:                               ; =>This Inner Loop Header: Depth=1
	v_ashrrev_i32_e32 v4, 31, v3
	s_ashr_i32 s7, s6, 31
	v_mov_b32_e32 v10, v6
	s_lshl_b64 s[10:11], s[6:7], 3
	s_wait_loadcnt 0x0
	v_mov_b32_e32 v9, v5
	v_lshlrev_b64_e32 v[7:8], 2, v[3:4]
	s_wait_alu 0xfffe
	s_add_nc_u64 s[10:11], s[2:3], s[10:11]
	v_max_num_f32_e64 v4, s0, s0
	s_load_b64 s[10:11], s[10:11], 0x0
	v_add_nc_u32_e32 v3, 0xffffff00, v3
	v_add_co_u32 v7, vcc_lo, s4, v7
	s_wait_alu 0xfffd
	v_add_co_ci_u32_e64 v8, null, s5, v8, vcc_lo
	v_readfirstlane_b32 s7, v4
	global_load_b32 v0, v[7:8], off
	s_wait_kmcnt 0x0
	v_max_num_f32_e64 v4, s10, s10
	s_delay_alu instid0(VALU_DEP_1) | instskip(SKIP_1) | instid1(SALU_CYCLE_3)
	v_readfirstlane_b32 s9, v4
	s_max_num_f32 s7, s7, s9
	s_sub_f32 s0, s0, s7
	s_sub_f32 s9, s10, s7
	s_wait_alu 0xfffe
	s_delay_alu instid0(SALU_CYCLE_1) | instskip(NEXT) | instid1(SALU_CYCLE_1)
	s_mul_f32 s10, s0, 0x3fb8aa3b
	s_mul_f32 s12, s9, 0x3fb8aa3b
	s_wait_alu 0xfffe
	s_delay_alu instid0(SALU_CYCLE_1)
	s_xor_b32 s13, s10, 0x80000000
	s_rndne_f32 s14, s10
	s_fmamk_f32 s13, s0, 0x3fb8aa3b, s13
	s_cmp_nlt_f32 s0, 0xc2ce8ed0
	s_rndne_f32 s15, s12
	s_wait_alu 0xfffe
	s_sub_f32 s10, s10, s14
	s_fmamk_f32 s13, s0, 0x32a5705f, s13
	s_cvt_i32_f32 s14, s14
	s_cselect_b32 vcc_lo, -1, 0
	s_cmp_ngt_f32 s0, 0x42b17218
	s_wait_alu 0xfffe
	s_add_f32 s10, s10, s13
	s_sub_f32 s13, s12, s15
	s_wait_alu 0xfffe
	s_delay_alu instid0(SALU_CYCLE_1) | instskip(SKIP_1) | instid1(TRANS32_DEP_1)
	v_s_exp_f32 s10, s10
	s_wait_alu 0xf1ff
	v_ldexp_f32 v4, s10, s14
	s_cvt_i32_f32 s10, s15
	s_delay_alu instid0(VALU_DEP_1) | instskip(SKIP_3) | instid1(VALU_DEP_1)
	v_cndmask_b32_e32 v4, 0, v4, vcc_lo
	s_cselect_b32 vcc_lo, -1, 0
	s_cmp_ge_f32 s0, 0xc1a00000
	s_wait_alu 0xfffe
	v_cndmask_b32_e32 v4, 0x7f800000, v4, vcc_lo
	s_cselect_b32 vcc_lo, -1, 0
	s_xor_b32 s0, s12, 0x80000000
	s_cmp_nlt_f32 s9, 0xc2ce8ed0
	s_wait_alu 0xfffe
	s_fmamk_f32 s0, s9, 0x3fb8aa3b, s0
	s_wait_alu 0xfffe
	s_delay_alu instid0(SALU_CYCLE_2) | instskip(SKIP_1) | instid1(SALU_CYCLE_2)
	s_fmamk_f32 s0, s9, 0x32a5705f, s0
	s_wait_alu 0xfffe
	s_add_f32 s0, s13, s0
	s_wait_alu 0xfffe
	s_delay_alu instid0(SALU_CYCLE_2) | instskip(SKIP_1) | instid1(TRANS32_DEP_1)
	v_s_exp_f32 s0, s0
	s_wait_alu 0xf1ff
	v_ldexp_f32 v7, s0, s10
	s_cselect_b32 s0, -1, 0
	s_cmp_ngt_f32 s9, 0x42b17218
	s_wait_alu 0xfffe
	s_delay_alu instid0(VALU_DEP_1) | instskip(SKIP_3) | instid1(VALU_DEP_1)
	v_cndmask_b32_e64 v7, 0, v7, s0
	s_cselect_b32 s0, -1, 0
	s_cmp_ge_f32 s9, 0xc1a00000
	s_wait_alu 0xfffe
	v_cndmask_b32_e64 v7, 0x7f800000, v7, s0
	s_cselect_b32 s0, -1, 0
	s_add_co_i32 s1, s1, -1
	s_add_co_i32 s6, s6, -4
	s_wait_alu 0xfffe
	s_cmp_le_i32 s1, s8
	v_cndmask_b32_e64 v7, 0, v7, s0
	s_mov_b32 s0, s7
	s_wait_loadcnt 0x0
	s_delay_alu instid0(VALU_DEP_1) | instskip(NEXT) | instid1(VALU_DEP_1)
	v_dual_mul_f32 v5, v0, v7 :: v_dual_cndmask_b32 v4, 0, v4
	v_dual_mul_f32 v8, s11, v7 :: v_dual_fmac_f32 v5, v9, v4
	s_delay_alu instid0(VALU_DEP_1) | instskip(NEXT) | instid1(VALU_DEP_1)
	v_mov_b32_e32 v6, v8
	v_fmac_f32_e32 v6, v10, v4
	s_cbranch_scc0 .LBB31_3
	s_branch .LBB31_5
.LBB31_4:
	s_wait_kmcnt 0x0
	v_mov_b32_e32 v6, s11
.LBB31_5:
	s_wait_loadcnt 0x0
	s_delay_alu instid0(VALU_DEP_1) | instskip(NEXT) | instid1(VALU_DEP_1)
	v_div_scale_f32 v0, null, v6, v6, v5
	v_rcp_f32_e32 v3, v0
	s_delay_alu instid0(TRANS32_DEP_1) | instskip(NEXT) | instid1(VALU_DEP_1)
	v_fma_f32 v4, -v0, v3, 1.0
	v_fmac_f32_e32 v3, v4, v3
	v_div_scale_f32 v4, vcc_lo, v5, v6, v5
	s_delay_alu instid0(VALU_DEP_1) | instskip(NEXT) | instid1(VALU_DEP_1)
	v_mul_f32_e32 v7, v4, v3
	v_fma_f32 v8, -v0, v7, v4
	s_delay_alu instid0(VALU_DEP_1) | instskip(NEXT) | instid1(VALU_DEP_1)
	v_fmac_f32_e32 v7, v8, v3
	v_fma_f32 v0, -v0, v7, v4
	s_wait_alu 0xfffd
	s_delay_alu instid0(VALU_DEP_1) | instskip(NEXT) | instid1(VALU_DEP_1)
	v_div_fmas_f32 v0, v0, v3, v7
	v_div_fixup_f32 v0, v0, v6, v5
	global_store_b32 v[1:2], v0, off
.LBB31_6:
	s_endpgm
	.section	.rodata,"a",@progbits
	.p2align	6, 0x0
	.amdhsa_kernel _ZL33flash_attn_stream_k_fixup_uniformILi64ELi1ELi4EEvPfPK15HIP_vector_typeIfLj2EEiiiiiiS1_IjLj3EES5_S5_
		.amdhsa_group_segment_fixed_size 0
		.amdhsa_private_segment_fixed_size 0
		.amdhsa_kernarg_size 76
		.amdhsa_user_sgpr_count 2
		.amdhsa_user_sgpr_dispatch_ptr 0
		.amdhsa_user_sgpr_queue_ptr 0
		.amdhsa_user_sgpr_kernarg_segment_ptr 1
		.amdhsa_user_sgpr_dispatch_id 0
		.amdhsa_user_sgpr_private_segment_size 0
		.amdhsa_wavefront_size32 1
		.amdhsa_uses_dynamic_stack 0
		.amdhsa_enable_private_segment 0
		.amdhsa_system_sgpr_workgroup_id_x 1
		.amdhsa_system_sgpr_workgroup_id_y 1
		.amdhsa_system_sgpr_workgroup_id_z 1
		.amdhsa_system_sgpr_workgroup_info 0
		.amdhsa_system_vgpr_workitem_id 0
		.amdhsa_next_free_vgpr 11
		.amdhsa_next_free_sgpr 20
		.amdhsa_reserve_vcc 1
		.amdhsa_float_round_mode_32 0
		.amdhsa_float_round_mode_16_64 0
		.amdhsa_float_denorm_mode_32 3
		.amdhsa_float_denorm_mode_16_64 3
		.amdhsa_fp16_overflow 0
		.amdhsa_workgroup_processor_mode 1
		.amdhsa_memory_ordered 1
		.amdhsa_forward_progress 1
		.amdhsa_inst_pref_size 9
		.amdhsa_round_robin_scheduling 0
		.amdhsa_exception_fp_ieee_invalid_op 0
		.amdhsa_exception_fp_denorm_src 0
		.amdhsa_exception_fp_ieee_div_zero 0
		.amdhsa_exception_fp_ieee_overflow 0
		.amdhsa_exception_fp_ieee_underflow 0
		.amdhsa_exception_fp_ieee_inexact 0
		.amdhsa_exception_int_div_zero 0
	.end_amdhsa_kernel
	.section	.text._ZL33flash_attn_stream_k_fixup_uniformILi64ELi1ELi4EEvPfPK15HIP_vector_typeIfLj2EEiiiiiiS1_IjLj3EES5_S5_,"axG",@progbits,_ZL33flash_attn_stream_k_fixup_uniformILi64ELi1ELi4EEvPfPK15HIP_vector_typeIfLj2EEiiiiiiS1_IjLj3EES5_S5_,comdat
.Lfunc_end31:
	.size	_ZL33flash_attn_stream_k_fixup_uniformILi64ELi1ELi4EEvPfPK15HIP_vector_typeIfLj2EEiiiiiiS1_IjLj3EES5_S5_, .Lfunc_end31-_ZL33flash_attn_stream_k_fixup_uniformILi64ELi1ELi4EEvPfPK15HIP_vector_typeIfLj2EEiiiiiiS1_IjLj3EES5_S5_
                                        ; -- End function
	.set _ZL33flash_attn_stream_k_fixup_uniformILi64ELi1ELi4EEvPfPK15HIP_vector_typeIfLj2EEiiiiiiS1_IjLj3EES5_S5_.num_vgpr, 11
	.set _ZL33flash_attn_stream_k_fixup_uniformILi64ELi1ELi4EEvPfPK15HIP_vector_typeIfLj2EEiiiiiiS1_IjLj3EES5_S5_.num_agpr, 0
	.set _ZL33flash_attn_stream_k_fixup_uniformILi64ELi1ELi4EEvPfPK15HIP_vector_typeIfLj2EEiiiiiiS1_IjLj3EES5_S5_.numbered_sgpr, 20
	.set _ZL33flash_attn_stream_k_fixup_uniformILi64ELi1ELi4EEvPfPK15HIP_vector_typeIfLj2EEiiiiiiS1_IjLj3EES5_S5_.num_named_barrier, 0
	.set _ZL33flash_attn_stream_k_fixup_uniformILi64ELi1ELi4EEvPfPK15HIP_vector_typeIfLj2EEiiiiiiS1_IjLj3EES5_S5_.private_seg_size, 0
	.set _ZL33flash_attn_stream_k_fixup_uniformILi64ELi1ELi4EEvPfPK15HIP_vector_typeIfLj2EEiiiiiiS1_IjLj3EES5_S5_.uses_vcc, 1
	.set _ZL33flash_attn_stream_k_fixup_uniformILi64ELi1ELi4EEvPfPK15HIP_vector_typeIfLj2EEiiiiiiS1_IjLj3EES5_S5_.uses_flat_scratch, 0
	.set _ZL33flash_attn_stream_k_fixup_uniformILi64ELi1ELi4EEvPfPK15HIP_vector_typeIfLj2EEiiiiiiS1_IjLj3EES5_S5_.has_dyn_sized_stack, 0
	.set _ZL33flash_attn_stream_k_fixup_uniformILi64ELi1ELi4EEvPfPK15HIP_vector_typeIfLj2EEiiiiiiS1_IjLj3EES5_S5_.has_recursion, 0
	.set _ZL33flash_attn_stream_k_fixup_uniformILi64ELi1ELi4EEvPfPK15HIP_vector_typeIfLj2EEiiiiiiS1_IjLj3EES5_S5_.has_indirect_call, 0
	.section	.AMDGPU.csdata,"",@progbits
; Kernel info:
; codeLenInByte = 1120
; TotalNumSgprs: 22
; NumVgprs: 11
; ScratchSize: 0
; MemoryBound: 0
; FloatMode: 240
; IeeeMode: 1
; LDSByteSize: 0 bytes/workgroup (compile time only)
; SGPRBlocks: 0
; VGPRBlocks: 1
; NumSGPRsForWavesPerEU: 22
; NumVGPRsForWavesPerEU: 11
; Occupancy: 16
; WaveLimiterHint : 0
; COMPUTE_PGM_RSRC2:SCRATCH_EN: 0
; COMPUTE_PGM_RSRC2:USER_SGPR: 2
; COMPUTE_PGM_RSRC2:TRAP_HANDLER: 0
; COMPUTE_PGM_RSRC2:TGID_X_EN: 1
; COMPUTE_PGM_RSRC2:TGID_Y_EN: 1
; COMPUTE_PGM_RSRC2:TGID_Z_EN: 1
; COMPUTE_PGM_RSRC2:TIDIG_COMP_CNT: 0
	.section	.text._ZL33flash_attn_stream_k_fixup_generalILi64ELi1ELi4EEvPfPK15HIP_vector_typeIfLj2EEiiiiS1_IjLj3EES5_S5_S5_,"axG",@progbits,_ZL33flash_attn_stream_k_fixup_generalILi64ELi1ELi4EEvPfPK15HIP_vector_typeIfLj2EEiiiiS1_IjLj3EES5_S5_S5_,comdat
	.globl	_ZL33flash_attn_stream_k_fixup_generalILi64ELi1ELi4EEvPfPK15HIP_vector_typeIfLj2EEiiiiS1_IjLj3EES5_S5_S5_ ; -- Begin function _ZL33flash_attn_stream_k_fixup_generalILi64ELi1ELi4EEvPfPK15HIP_vector_typeIfLj2EEiiiiS1_IjLj3EES5_S5_S5_
	.p2align	8
	.type	_ZL33flash_attn_stream_k_fixup_generalILi64ELi1ELi4EEvPfPK15HIP_vector_typeIfLj2EEiiiiS1_IjLj3EES5_S5_S5_,@function
_ZL33flash_attn_stream_k_fixup_generalILi64ELi1ELi4EEvPfPK15HIP_vector_typeIfLj2EEiiiiS1_IjLj3EES5_S5_S5_: ; @_ZL33flash_attn_stream_k_fixup_generalILi64ELi1ELi4EEvPfPK15HIP_vector_typeIfLj2EEiiiiS1_IjLj3EES5_S5_S5_
; %bb.0:
	s_clause 0x1
	s_load_b128 s[4:7], s[0:1], 0x10
	s_load_b32 s16, s[0:1], 0x50
	s_mov_b32 s2, ttmp9
	s_ashr_i32 s3, ttmp9, 31
	s_mov_b32 s17, 0
	s_delay_alu instid0(SALU_CYCLE_1) | instskip(SKIP_3) | instid1(SALU_CYCLE_1)
	s_mov_b32 s8, s17
	s_wait_kmcnt 0x0
	s_ashr_i32 s19, s7, 31
	s_mov_b32 s18, s7
	s_mul_u64 s[2:3], s[18:19], s[2:3]
	s_delay_alu instid0(SALU_CYCLE_1) | instskip(NEXT) | instid1(SALU_CYCLE_1)
	s_mov_b32 s9, s3
	s_cmp_lg_u64 s[8:9], 0
	s_cbranch_scc0 .LBB32_21
; %bb.1:
	s_add_nc_u64 s[8:9], s[16:17], 0
	s_mov_b32 s15, s17
	s_xor_b64 s[8:9], s[8:9], 0
	s_mov_b32 s23, s17
	s_cvt_f32_u32 s7, s8
	s_cvt_f32_u32 s10, s9
	s_sub_nc_u64 s[12:13], 0, s[8:9]
	s_delay_alu instid0(SALU_CYCLE_2) | instskip(NEXT) | instid1(SALU_CYCLE_3)
	s_fmamk_f32 s7, s10, 0x4f800000, s7
	v_s_rcp_f32 s7, s7
	s_delay_alu instid0(TRANS32_DEP_1) | instskip(SKIP_1) | instid1(SALU_CYCLE_2)
	s_mul_f32 s7, s7, 0x5f7ffffc
	s_wait_alu 0xfffe
	s_mul_f32 s10, s7, 0x2f800000
	s_delay_alu instid0(SALU_CYCLE_3) | instskip(NEXT) | instid1(SALU_CYCLE_3)
	s_trunc_f32 s10, s10
	s_fmamk_f32 s7, s10, 0xcf800000, s7
	s_cvt_u32_f32 s11, s10
	s_wait_alu 0xfffe
	s_delay_alu instid0(SALU_CYCLE_1) | instskip(NEXT) | instid1(SALU_CYCLE_3)
	s_cvt_u32_f32 s10, s7
	s_mul_u64 s[20:21], s[12:13], s[10:11]
	s_delay_alu instid0(SALU_CYCLE_1)
	s_mul_hi_u32 s25, s10, s21
	s_mul_i32 s24, s10, s21
	s_mul_hi_u32 s14, s10, s20
	s_mul_i32 s22, s11, s20
	s_add_nc_u64 s[14:15], s[14:15], s[24:25]
	s_mul_hi_u32 s7, s11, s20
	s_mul_hi_u32 s26, s11, s21
	s_add_co_u32 s14, s14, s22
	s_wait_alu 0xfffe
	s_add_co_ci_u32 s22, s15, s7
	s_mul_i32 s20, s11, s21
	s_add_co_ci_u32 s21, s26, 0
	s_delay_alu instid0(SALU_CYCLE_1)
	s_add_nc_u64 s[14:15], s[22:23], s[20:21]
	s_mov_b32 s21, s17
	s_add_co_u32 s10, s10, s14
	s_cselect_b32 s7, -1, 0
	s_wait_alu 0xfffe
	s_cmp_lg_u32 s7, 0
	s_add_co_ci_u32 s11, s11, s15
	s_mov_b32 s15, s17
	s_mul_u64 s[12:13], s[12:13], s[10:11]
	s_delay_alu instid0(SALU_CYCLE_1)
	s_mul_hi_u32 s23, s10, s13
	s_mul_i32 s22, s10, s13
	s_mul_hi_u32 s14, s10, s12
	s_mul_i32 s20, s11, s12
	s_add_nc_u64 s[14:15], s[14:15], s[22:23]
	s_mul_hi_u32 s7, s11, s12
	s_mul_hi_u32 s24, s11, s13
	s_mul_i32 s12, s11, s13
	s_add_co_u32 s13, s14, s20
	s_wait_alu 0xfffe
	s_add_co_ci_u32 s20, s15, s7
	s_add_co_ci_u32 s13, s24, 0
	s_mov_b32 s15, s17
	s_add_nc_u64 s[12:13], s[20:21], s[12:13]
	s_delay_alu instid0(SALU_CYCLE_1) | instskip(SKIP_1) | instid1(SALU_CYCLE_1)
	s_add_co_u32 s7, s10, s12
	s_cselect_b32 s10, -1, 0
	s_cmp_lg_u32 s10, 0
	s_add_co_ci_u32 s20, s11, s13
	s_ashr_i32 s10, s3, 31
	s_delay_alu instid0(SALU_CYCLE_1) | instskip(NEXT) | instid1(SALU_CYCLE_1)
	s_mov_b32 s11, s10
	s_add_nc_u64 s[12:13], s[2:3], s[10:11]
	s_delay_alu instid0(SALU_CYCLE_1) | instskip(NEXT) | instid1(SALU_CYCLE_1)
	s_xor_b64 s[12:13], s[12:13], s[10:11]
	s_mul_hi_u32 s23, s12, s20
	s_mul_i32 s22, s12, s20
	s_wait_alu 0xfffe
	s_mul_hi_u32 s14, s12, s7
	s_mul_hi_u32 s24, s13, s7
	s_mul_i32 s7, s13, s7
	s_add_nc_u64 s[14:15], s[14:15], s[22:23]
	s_mul_hi_u32 s3, s13, s20
	s_wait_alu 0xfffe
	s_add_co_u32 s7, s14, s7
	s_mul_i32 s22, s13, s20
	s_add_co_ci_u32 s20, s15, s24
	s_add_co_ci_u32 s23, s3, 0
	s_delay_alu instid0(SALU_CYCLE_1) | instskip(NEXT) | instid1(SALU_CYCLE_1)
	s_add_nc_u64 s[14:15], s[20:21], s[22:23]
	s_mul_u64 s[20:21], s[8:9], s[14:15]
	s_delay_alu instid0(SALU_CYCLE_1)
	s_sub_co_u32 s3, s12, s20
	s_cselect_b32 s7, -1, 0
	s_sub_co_i32 s12, s13, s21
	s_wait_alu 0xfffe
	s_cmp_lg_u32 s7, 0
	s_sub_co_ci_u32 s12, s12, s9
	s_sub_co_u32 s20, s3, s8
	s_cselect_b32 s22, -1, 0
	s_delay_alu instid0(SALU_CYCLE_1) | instskip(SKIP_2) | instid1(SALU_CYCLE_1)
	s_cmp_lg_u32 s22, 0
	s_add_nc_u64 s[22:23], s[14:15], 1
	s_sub_co_ci_u32 s12, s12, 0
	s_cmp_ge_u32 s12, s9
	s_cselect_b32 s24, -1, 0
	s_cmp_ge_u32 s20, s8
	s_cselect_b32 s20, -1, 0
	s_cmp_eq_u32 s12, s9
	s_cselect_b32 s12, s20, s24
	s_add_nc_u64 s[24:25], s[14:15], 2
	s_cmp_lg_u32 s12, 0
	s_cselect_b32 s12, s24, s22
	s_cselect_b32 s20, s25, s23
	s_cmp_lg_u32 s7, 0
	s_sub_co_ci_u32 s7, s13, s21
	s_wait_alu 0xfffe
	s_cmp_ge_u32 s7, s9
	s_cselect_b32 s13, -1, 0
	s_cmp_ge_u32 s3, s8
	s_cselect_b32 s3, -1, 0
	s_cmp_eq_u32 s7, s9
	s_cselect_b32 s3, s3, s13
	s_delay_alu instid0(SALU_CYCLE_1) | instskip(SKIP_4) | instid1(SALU_CYCLE_1)
	s_cmp_lg_u32 s3, 0
	s_mov_b32 s3, s17
	s_cselect_b32 s9, s20, s15
	s_cselect_b32 s8, s12, s14
	s_xor_b64 s[10:11], s[10:11], 0
	s_xor_b64 s[8:9], s[8:9], s[10:11]
	s_delay_alu instid0(SALU_CYCLE_1)
	s_sub_nc_u64 s[20:21], s[8:9], s[10:11]
	s_and_not1_b32 vcc_lo, exec_lo, s3
	s_cbranch_vccnz .LBB32_3
.LBB32_2:
	v_cvt_f32_u32_e32 v1, s16
	s_sub_co_i32 s7, 0, s16
	s_delay_alu instid0(VALU_DEP_1) | instskip(NEXT) | instid1(TRANS32_DEP_1)
	v_rcp_iflag_f32_e32 v1, v1
	v_mul_f32_e32 v1, 0x4f7ffffe, v1
	s_delay_alu instid0(VALU_DEP_1) | instskip(NEXT) | instid1(VALU_DEP_1)
	v_cvt_u32_f32_e32 v1, v1
	v_readfirstlane_b32 s3, v1
	s_wait_alu 0xfffe
	s_mul_i32 s7, s7, s3
	s_wait_alu 0xfffe
	s_mul_hi_u32 s7, s3, s7
	s_wait_alu 0xfffe
	s_add_co_i32 s3, s3, s7
	s_delay_alu instid0(SALU_CYCLE_1) | instskip(NEXT) | instid1(SALU_CYCLE_1)
	s_mul_hi_u32 s3, s2, s3
	s_mul_i32 s7, s3, s16
	s_wait_alu 0xfffe
	s_sub_co_i32 s2, s2, s7
	s_add_co_i32 s7, s3, 1
	s_sub_co_i32 s8, s2, s16
	s_cmp_ge_u32 s2, s16
	s_wait_alu 0xfffe
	s_cselect_b32 s3, s7, s3
	s_cselect_b32 s2, s8, s2
	s_add_co_i32 s7, s3, 1
	s_cmp_ge_u32 s2, s16
	s_wait_alu 0xfffe
	s_cselect_b32 s20, s7, s3
.LBB32_3:
	s_add_co_i32 s2, ttmp9, 1
	s_mov_b32 s8, 0
	s_ashr_i32 s3, s2, 31
	s_delay_alu instid0(SALU_CYCLE_1) | instskip(NEXT) | instid1(SALU_CYCLE_1)
	s_mul_u64 s[2:3], s[18:19], s[2:3]
	s_mov_b32 s9, s3
	s_delay_alu instid0(SALU_CYCLE_1)
	s_cmp_lg_u64 s[8:9], 0
	s_cbranch_scc0 .LBB32_22
; %bb.4:
	s_add_nc_u64 s[10:11], s[16:17], 0
	s_mov_b32 s23, s8
	s_xor_b64 s[10:11], s[10:11], 0
	s_mov_b32 s27, s8
	s_cvt_f32_u32 s7, s10
	s_cvt_f32_u32 s9, s11
	s_sub_nc_u64 s[14:15], 0, s[10:11]
	s_wait_alu 0xfffe
	s_delay_alu instid0(SALU_CYCLE_1) | instskip(SKIP_1) | instid1(SALU_CYCLE_2)
	s_fmamk_f32 s7, s9, 0x4f800000, s7
	s_wait_alu 0xfffe
	v_s_rcp_f32 s7, s7
	s_delay_alu instid0(TRANS32_DEP_1) | instskip(SKIP_1) | instid1(SALU_CYCLE_2)
	s_mul_f32 s7, s7, 0x5f7ffffc
	s_wait_alu 0xfffe
	s_mul_f32 s9, s7, 0x2f800000
	s_delay_alu instid0(SALU_CYCLE_3) | instskip(NEXT) | instid1(SALU_CYCLE_3)
	s_trunc_f32 s9, s9
	s_fmamk_f32 s7, s9, 0xcf800000, s7
	s_cvt_u32_f32 s13, s9
	s_wait_alu 0xfffe
	s_delay_alu instid0(SALU_CYCLE_1) | instskip(NEXT) | instid1(SALU_CYCLE_3)
	s_cvt_u32_f32 s12, s7
	s_mul_u64 s[24:25], s[14:15], s[12:13]
	s_delay_alu instid0(SALU_CYCLE_1)
	s_mul_hi_u32 s29, s12, s25
	s_mul_i32 s28, s12, s25
	s_mul_hi_u32 s22, s12, s24
	s_mul_i32 s9, s13, s24
	s_add_nc_u64 s[22:23], s[22:23], s[28:29]
	s_mul_hi_u32 s7, s13, s24
	s_mul_hi_u32 s21, s13, s25
	s_add_co_u32 s9, s22, s9
	s_wait_alu 0xfffe
	s_add_co_ci_u32 s26, s23, s7
	s_mul_i32 s24, s13, s25
	s_add_co_ci_u32 s25, s21, 0
	s_delay_alu instid0(SALU_CYCLE_1)
	s_add_nc_u64 s[22:23], s[26:27], s[24:25]
	s_mov_b32 s25, s8
	s_add_co_u32 s12, s12, s22
	s_cselect_b32 s7, -1, 0
	s_wait_alu 0xfffe
	s_cmp_lg_u32 s7, 0
	s_add_co_ci_u32 s13, s13, s23
	s_mov_b32 s23, s8
	s_mul_u64 s[14:15], s[14:15], s[12:13]
	s_delay_alu instid0(SALU_CYCLE_1)
	s_mul_hi_u32 s27, s12, s15
	s_mul_i32 s26, s12, s15
	s_mul_hi_u32 s22, s12, s14
	s_mul_i32 s9, s13, s14
	s_add_nc_u64 s[22:23], s[22:23], s[26:27]
	s_mul_hi_u32 s7, s13, s14
	s_mul_hi_u32 s21, s13, s15
	s_add_co_u32 s9, s22, s9
	s_wait_alu 0xfffe
	s_add_co_ci_u32 s24, s23, s7
	s_mul_i32 s14, s13, s15
	s_add_co_ci_u32 s15, s21, 0
	s_mov_b32 s23, s8
	s_add_nc_u64 s[14:15], s[24:25], s[14:15]
	s_delay_alu instid0(SALU_CYCLE_1) | instskip(SKIP_1) | instid1(SALU_CYCLE_1)
	s_add_co_u32 s7, s12, s14
	s_cselect_b32 s9, -1, 0
	s_cmp_lg_u32 s9, 0
	s_add_co_ci_u32 s9, s13, s15
	s_ashr_i32 s12, s3, 31
	s_delay_alu instid0(SALU_CYCLE_1) | instskip(NEXT) | instid1(SALU_CYCLE_1)
	s_mov_b32 s13, s12
	s_add_nc_u64 s[14:15], s[2:3], s[12:13]
	s_delay_alu instid0(SALU_CYCLE_1) | instskip(NEXT) | instid1(SALU_CYCLE_1)
	s_xor_b64 s[14:15], s[14:15], s[12:13]
	s_mul_hi_u32 s27, s14, s9
	s_mul_i32 s26, s14, s9
	s_wait_alu 0xfffe
	s_mul_hi_u32 s22, s14, s7
	s_mul_hi_u32 s21, s15, s7
	s_mul_i32 s7, s15, s7
	s_add_nc_u64 s[22:23], s[22:23], s[26:27]
	s_mul_hi_u32 s3, s15, s9
	s_wait_alu 0xfffe
	s_add_co_u32 s7, s22, s7
	s_add_co_ci_u32 s24, s23, s21
	s_mul_i32 s26, s15, s9
	s_add_co_ci_u32 s27, s3, 0
	s_delay_alu instid0(SALU_CYCLE_1) | instskip(NEXT) | instid1(SALU_CYCLE_1)
	s_add_nc_u64 s[22:23], s[24:25], s[26:27]
	s_mul_u64 s[24:25], s[10:11], s[22:23]
	s_add_nc_u64 s[26:27], s[22:23], 1
	s_sub_co_u32 s3, s14, s24
	s_cselect_b32 s7, -1, 0
	s_sub_co_i32 s9, s15, s25
	s_wait_alu 0xfffe
	s_cmp_lg_u32 s7, 0
	s_add_nc_u64 s[28:29], s[22:23], 2
	s_sub_co_ci_u32 s9, s9, s11
	s_sub_co_u32 s14, s3, s10
	s_cselect_b32 s21, -1, 0
	s_delay_alu instid0(SALU_CYCLE_1) | instskip(SKIP_1) | instid1(SALU_CYCLE_1)
	s_cmp_lg_u32 s21, 0
	s_sub_co_ci_u32 s9, s9, 0
	s_cmp_ge_u32 s9, s11
	s_cselect_b32 s21, -1, 0
	s_cmp_ge_u32 s14, s10
	s_cselect_b32 s14, -1, 0
	s_cmp_eq_u32 s9, s11
	s_cselect_b32 s9, s14, s21
	s_delay_alu instid0(SALU_CYCLE_1)
	s_cmp_lg_u32 s9, 0
	s_cselect_b32 s9, s28, s26
	s_cselect_b32 s14, s29, s27
	s_cmp_lg_u32 s7, 0
	s_sub_co_ci_u32 s7, s15, s25
	s_wait_alu 0xfffe
	s_cmp_ge_u32 s7, s11
	s_cselect_b32 s15, -1, 0
	s_cmp_ge_u32 s3, s10
	s_cselect_b32 s3, -1, 0
	s_cmp_eq_u32 s7, s11
	s_cselect_b32 s3, s3, s15
	s_delay_alu instid0(SALU_CYCLE_1) | instskip(SKIP_3) | instid1(SALU_CYCLE_1)
	s_cmp_lg_u32 s3, 0
	s_cselect_b32 s11, s14, s23
	s_cselect_b32 s10, s9, s22
	s_xor_b64 s[12:13], s[12:13], 0
	s_xor_b64 s[10:11], s[10:11], s[12:13]
	s_delay_alu instid0(SALU_CYCLE_1)
	s_sub_nc_u64 s[10:11], s[10:11], s[12:13]
	s_load_b96 s[12:14], s[0:1], 0x44
	s_and_not1_b32 vcc_lo, exec_lo, s8
	s_cbranch_vccnz .LBB32_6
.LBB32_5:
	v_cvt_f32_u32_e32 v1, s16
	s_sub_co_i32 s7, 0, s16
	s_delay_alu instid0(VALU_DEP_1) | instskip(NEXT) | instid1(TRANS32_DEP_1)
	v_rcp_iflag_f32_e32 v1, v1
	v_mul_f32_e32 v1, 0x4f7ffffe, v1
	s_delay_alu instid0(VALU_DEP_1) | instskip(NEXT) | instid1(VALU_DEP_1)
	v_cvt_u32_f32_e32 v1, v1
	v_readfirstlane_b32 s3, v1
	s_wait_alu 0xfffe
	s_mul_i32 s7, s7, s3
	s_wait_alu 0xfffe
	s_mul_hi_u32 s7, s3, s7
	s_wait_alu 0xfffe
	s_add_co_i32 s3, s3, s7
	s_delay_alu instid0(SALU_CYCLE_1) | instskip(NEXT) | instid1(SALU_CYCLE_1)
	s_mul_hi_u32 s3, s2, s3
	s_mul_i32 s7, s3, s16
	s_wait_alu 0xfffe
	s_sub_co_i32 s2, s2, s7
	s_add_co_i32 s7, s3, 1
	s_sub_co_i32 s8, s2, s16
	s_cmp_ge_u32 s2, s16
	s_wait_alu 0xfffe
	s_cselect_b32 s3, s7, s3
	s_cselect_b32 s2, s8, s2
	s_add_co_i32 s7, s3, 1
	s_cmp_ge_u32 s2, s16
	s_wait_alu 0xfffe
	s_cselect_b32 s10, s7, s3
.LBB32_6:
	s_mov_b32 s21, 0
	s_wait_kmcnt 0x0
	s_mov_b32 s22, s12
	s_mov_b32 s23, s21
	s_cmp_eq_u32 s20, s10
	s_mul_u64 s[2:3], s[20:21], s[22:23]
	s_cselect_b32 s7, -1, 0
	s_add_co_i32 s2, s3, s20
	s_mov_b32 s11, s21
	s_lshr_b32 s12, s2, s13
	s_mul_u64 s[2:3], s[10:11], s[22:23]
	s_mul_i32 s2, s12, s14
	s_delay_alu instid0(SALU_CYCLE_1) | instskip(SKIP_2) | instid1(SALU_CYCLE_1)
	s_cmp_eq_u32 s2, s20
	s_cselect_b32 s2, -1, 0
	s_add_co_i32 s3, s3, s10
	s_lshr_b32 s3, s3, s13
	s_delay_alu instid0(SALU_CYCLE_1)
	s_cmp_eq_u32 s12, s3
	s_mul_i32 s3, s3, s14
	s_cselect_b32 s8, -1, 0
	s_cmp_lg_u32 s3, s10
	s_cselect_b32 s3, -1, 0
	s_wait_alu 0xfffe
	s_or_b32 s2, s7, s2
	s_and_b32 s3, s8, s3
	s_delay_alu instid0(SALU_CYCLE_1) | instskip(NEXT) | instid1(SALU_CYCLE_1)
	s_or_b32 s2, s2, s3
	s_and_b32 vcc_lo, exec_lo, s2
	s_cbranch_vccnz .LBB32_24
; %bb.7:
	s_load_b256 s[24:31], s[0:1], 0x20
	s_mov_b32 s3, s21
	s_load_b32 s7, s[0:1], 0x40
	s_and_b32 s15, ttmp7, 0xffff
	s_wait_kmcnt 0x0
	s_mov_b32 s2, s24
	s_delay_alu instid0(SALU_CYCLE_1) | instskip(NEXT) | instid1(SALU_CYCLE_1)
	s_mul_u64 s[2:3], s[20:21], s[2:3]
	s_add_co_i32 s2, s3, s20
	s_delay_alu instid0(SALU_CYCLE_1) | instskip(NEXT) | instid1(SALU_CYCLE_1)
	s_lshr_b32 s2, s2, s25
	s_mul_i32 s3, s2, s26
	s_delay_alu instid0(SALU_CYCLE_1) | instskip(NEXT) | instid1(SALU_CYCLE_1)
	s_sub_co_i32 s8, s20, s3
	s_mul_hi_u32 s3, s8, s27
	s_delay_alu instid0(SALU_CYCLE_1) | instskip(NEXT) | instid1(SALU_CYCLE_1)
	s_add_co_i32 s3, s8, s3
	s_lshr_b32 s3, s3, s28
	s_delay_alu instid0(SALU_CYCLE_1) | instskip(NEXT) | instid1(SALU_CYCLE_1)
	s_mul_i32 s9, s3, s29
	s_sub_co_i32 s8, s8, s9
	s_delay_alu instid0(SALU_CYCLE_1) | instskip(NEXT) | instid1(SALU_CYCLE_1)
	s_mul_hi_u32 s9, s8, s30
	s_add_co_i32 s9, s8, s9
	s_delay_alu instid0(SALU_CYCLE_1)
	s_lshr_b32 s24, s9, s31
	s_mov_b32 s9, s21
	s_mul_i32 s7, s24, s7
	s_lshr_b32 s21, ttmp7, 16
	s_wait_alu 0xfffe
	s_sub_co_i32 s8, s8, s7
	s_lshl_b32 s24, s24, 2
	s_mul_u64 s[10:11], s[8:9], s[22:23]
	s_delay_alu instid0(SALU_CYCLE_1)
	s_add_co_i32 s7, s8, s11
	s_wait_alu 0xfffe
	s_lshr_b32 s7, s7, s13
	s_wait_alu 0xfffe
	s_add_co_i32 s7, s7, s15
	s_wait_alu 0xfffe
	s_cmp_lt_i32 s7, s4
	s_cselect_b32 s8, -1, 0
	s_add_co_i32 s24, s24, s21
	s_delay_alu instid0(SALU_CYCLE_1) | instskip(SKIP_1) | instid1(SALU_CYCLE_1)
	s_cmp_lt_i32 s24, s6
	s_cselect_b32 s9, -1, 0
	s_and_b32 s8, s8, s9
	s_delay_alu instid0(SALU_CYCLE_1)
	s_and_not1_b32 vcc_lo, exec_lo, s8
	s_cbranch_vccnz .LBB32_24
; %bb.8:
	s_mul_i32 s2, s2, s4
	s_load_b128 s[8:11], s[0:1], 0x0
	s_mul_i32 s3, s3, s6
	s_add_co_i32 s0, s7, s2
	s_add_co_i32 s1, s24, s3
	s_mul_i32 s0, s0, s5
	v_cvt_f32_u32_e32 v4, s16
	s_add_co_i32 s1, s1, s0
	s_add_co_i32 s34, ttmp9, -1
	v_lshl_or_b32 v1, s1, 6, v0
	s_add_nc_u64 s[0:1], s[16:17], 0
	v_rcp_iflag_f32_e32 v4, v4
	s_wait_alu 0xfffe
	s_xor_b64 s[6:7], s[0:1], 0
	s_add_co_i32 s0, s15, ttmp9
	v_ashrrev_i32_e32 v2, 31, v1
	s_wait_alu 0xfffe
	s_cvt_f32_u32 s1, s6
	s_cvt_f32_u32 s2, s7
	s_lshl_b32 s0, s0, 2
	v_lshl_or_b32 v0, s21, 6, v0
	v_lshlrev_b64_e32 v[1:2], 2, v[1:2]
	s_wait_alu 0xfffe
	s_add_co_i32 s0, s0, s21
	s_fmamk_f32 s2, s2, 0x4f800000, s1
	s_wait_alu 0xfffe
	s_ashr_i32 s1, s0, 31
	s_sub_nc_u64 s[30:31], 0, s[6:7]
	s_wait_alu 0xfffe
	s_lshl_b64 s[0:1], s[0:1], 3
	s_wait_kmcnt 0x0
	v_add_co_u32 v1, vcc_lo, s8, v1
	s_delay_alu instid0(VALU_DEP_1)
	v_add_co_ci_u32_e64 v2, null, s9, v2, vcc_lo
	v_s_rcp_f32 s2, s2
	s_wait_alu 0xfffe
	s_add_nc_u64 s[0:1], s[10:11], s[0:1]
	s_mov_b32 s8, 0
	global_load_b32 v3, v[1:2], off
	s_load_b64 s[26:27], s[0:1], 0x0
	v_mul_f32_e32 v4, 0x4f7ffffe, v4
	s_lshl_b32 s0, s16, 4
	s_mul_f32 s2, s2, 0x5f7ffffc
	s_wait_alu 0xfffe
	s_delay_alu instid0(SALU_CYCLE_2) | instskip(SKIP_1) | instid1(SALU_CYCLE_2)
	s_mul_f32 s1, s2, 0x2f800000
	s_wait_alu 0xfffe
	s_trunc_f32 s3, s1
	s_mov_b32 s1, s8
	s_wait_alu 0xfffe
	s_lshl_b64 s[0:1], s[0:1], 2
	s_fmamk_f32 s2, s3, 0xcf800000, s2
	s_cvt_u32_f32 s29, s3
	s_wait_alu 0xfffe
	s_add_nc_u64 s[24:25], s[10:11], s[0:1]
	s_cvt_u32_f32 s28, s2
	s_wait_kmcnt 0x0
	v_mov_b32_e32 v5, s27
	v_cvt_u32_f32_e32 v4, v4
.LBB32_9:                               ; =>This Inner Loop Header: Depth=1
	s_wait_alu 0xfffe
	s_ashr_i32 s35, s34, 31
	s_mov_b32 s2, -1
	s_wait_alu 0xfffe
	s_mul_u64 s[0:1], s[34:35], s[18:19]
                                        ; implicit-def: $sgpr38_sgpr39
	s_wait_alu 0xfffe
	s_mov_b32 s9, s1
	s_wait_alu 0xfffe
	s_cmp_lg_u64 s[8:9], 0
	s_cbranch_scc0 .LBB32_11
; %bb.10:                               ;   in Loop: Header=BB32_9 Depth=1
	s_mul_u64 s[2:3], s[30:31], s[28:29]
	s_mov_b32 s37, s8
	s_wait_alu 0xfffe
	s_mul_hi_u32 s5, s28, s3
	s_mul_i32 s4, s28, s3
	s_mul_hi_u32 s36, s28, s2
	s_mul_hi_u32 s9, s29, s2
	s_wait_alu 0xfffe
	s_add_nc_u64 s[4:5], s[36:37], s[4:5]
	s_mul_i32 s2, s29, s2
	s_mul_hi_u32 s17, s29, s3
	s_wait_alu 0xfffe
	s_add_co_u32 s2, s4, s2
	s_add_co_ci_u32 s2, s5, s9
	s_add_co_ci_u32 s5, s17, 0
	s_mul_i32 s4, s29, s3
	s_mov_b32 s3, s8
	s_mov_b32 s39, s8
	s_wait_alu 0xfffe
	s_add_nc_u64 s[2:3], s[2:3], s[4:5]
	s_wait_alu 0xfffe
	s_add_co_u32 s2, s28, s2
	s_cselect_b32 s4, -1, 0
	s_wait_alu 0xfffe
	s_cmp_lg_u32 s4, 0
	s_add_co_ci_u32 s3, s29, s3
	s_wait_alu 0xfffe
	s_mul_u64 s[4:5], s[30:31], s[2:3]
	s_wait_alu 0xfffe
	s_mul_hi_u32 s37, s2, s5
	s_mul_i32 s36, s2, s5
	s_mul_hi_u32 s38, s2, s4
	s_mul_hi_u32 s9, s3, s4
	s_mul_i32 s4, s3, s4
	s_wait_alu 0xfffe
	s_add_nc_u64 s[36:37], s[38:39], s[36:37]
	s_mul_hi_u32 s17, s3, s5
	s_wait_alu 0xfffe
	s_add_co_u32 s4, s36, s4
	s_add_co_ci_u32 s4, s37, s9
	s_add_co_ci_u32 s37, s17, 0
	s_mul_i32 s36, s3, s5
	s_mov_b32 s5, s8
	s_wait_alu 0xfffe
	s_add_nc_u64 s[4:5], s[4:5], s[36:37]
	s_mov_b32 s37, s8
	s_wait_alu 0xfffe
	s_add_co_u32 s9, s2, s4
	s_cselect_b32 s2, -1, 0
	s_wait_alu 0xfffe
	s_cmp_lg_u32 s2, 0
	s_add_co_ci_u32 s17, s3, s5
	s_ashr_i32 s2, s1, 31
	s_wait_alu 0xfffe
	s_mov_b32 s3, s2
	s_wait_alu 0xfffe
	s_add_nc_u64 s[4:5], s[0:1], s[2:3]
	s_wait_alu 0xfffe
	s_xor_b64 s[4:5], s[4:5], s[2:3]
	s_wait_alu 0xfffe
	s_mul_hi_u32 s39, s4, s17
	s_mul_i32 s38, s4, s17
	s_mul_hi_u32 s36, s4, s9
	s_mul_i32 s27, s5, s9
	s_wait_alu 0xfffe
	s_add_nc_u64 s[36:37], s[36:37], s[38:39]
	s_mul_hi_u32 s9, s5, s9
	s_mul_hi_u32 s1, s5, s17
	s_wait_alu 0xfffe
	s_add_co_u32 s27, s36, s27
	s_add_co_ci_u32 s36, s37, s9
	s_add_co_ci_u32 s39, s1, 0
	s_mul_i32 s38, s5, s17
	s_mov_b32 s37, s8
	s_wait_alu 0xfffe
	s_add_nc_u64 s[36:37], s[36:37], s[38:39]
	s_wait_alu 0xfffe
	s_mul_u64 s[38:39], s[6:7], s[36:37]
	s_add_nc_u64 s[40:41], s[36:37], 1
	s_wait_alu 0xfffe
	s_sub_co_u32 s1, s4, s38
	s_cselect_b32 s4, -1, 0
	s_sub_co_i32 s9, s5, s39
	s_wait_alu 0xfffe
	s_cmp_lg_u32 s4, 0
	s_add_nc_u64 s[42:43], s[36:37], 2
	s_sub_co_ci_u32 s9, s9, s7
	s_sub_co_u32 s17, s1, s6
	s_cselect_b32 s27, -1, 0
	s_wait_alu 0xfffe
	s_cmp_lg_u32 s27, 0
	s_sub_co_ci_u32 s9, s9, 0
	s_wait_alu 0xfffe
	s_cmp_ge_u32 s9, s7
	s_cselect_b32 s27, -1, 0
	s_cmp_ge_u32 s17, s6
	s_cselect_b32 s17, -1, 0
	s_cmp_eq_u32 s9, s7
	s_wait_alu 0xfffe
	s_cselect_b32 s9, s17, s27
	s_wait_alu 0xfffe
	s_cmp_lg_u32 s9, 0
	s_cselect_b32 s9, s42, s40
	s_cselect_b32 s17, s43, s41
	s_cmp_lg_u32 s4, 0
	s_sub_co_ci_u32 s4, s5, s39
	s_wait_alu 0xfffe
	s_cmp_ge_u32 s4, s7
	s_cselect_b32 s5, -1, 0
	s_cmp_ge_u32 s1, s6
	s_cselect_b32 s1, -1, 0
	s_cmp_eq_u32 s4, s7
	s_wait_alu 0xfffe
	s_cselect_b32 s1, s1, s5
	s_wait_alu 0xfffe
	s_cmp_lg_u32 s1, 0
	s_cselect_b32 s5, s17, s37
	s_cselect_b32 s4, s9, s36
	s_xor_b64 s[2:3], s[2:3], 0
	s_wait_alu 0xfffe
	s_xor_b64 s[4:5], s[4:5], s[2:3]
	s_wait_alu 0xfffe
	s_sub_nc_u64 s[38:39], s[4:5], s[2:3]
	s_mov_b32 s2, 0
.LBB32_11:                              ;   in Loop: Header=BB32_9 Depth=1
	s_wait_alu 0xfffe
	s_and_not1_b32 vcc_lo, exec_lo, s2
	s_wait_alu 0xfffe
	s_cbranch_vccnz .LBB32_13
; %bb.12:                               ;   in Loop: Header=BB32_9 Depth=1
	v_readfirstlane_b32 s1, v4
	s_sub_co_i32 s2, 0, s16
	s_wait_alu 0xfffe
	s_mul_i32 s2, s2, s1
	s_wait_alu 0xfffe
	s_mul_hi_u32 s2, s1, s2
	s_wait_alu 0xfffe
	s_add_co_i32 s1, s1, s2
	s_wait_alu 0xfffe
	s_mul_hi_u32 s1, s0, s1
	s_wait_alu 0xfffe
	s_mul_i32 s2, s1, s16
	s_wait_alu 0xfffe
	s_sub_co_i32 s0, s0, s2
	s_add_co_i32 s2, s1, 1
	s_wait_alu 0xfffe
	s_sub_co_i32 s3, s0, s16
	s_cmp_ge_u32 s0, s16
	s_cselect_b32 s1, s2, s1
	s_wait_alu 0xfffe
	s_cselect_b32 s0, s3, s0
	s_add_co_i32 s2, s1, 1
	s_wait_alu 0xfffe
	s_cmp_ge_u32 s0, s16
	s_cselect_b32 s38, s2, s1
.LBB32_13:                              ;   in Loop: Header=BB32_9 Depth=1
	v_readfirstlane_b32 s9, v0
	s_wait_alu 0xfffe
	s_cmp_lg_u32 s20, s38
	s_mov_b32 s0, -1
                                        ; implicit-def: $sgpr27
                                        ; implicit-def: $vgpr6
                                        ; implicit-def: $vgpr7
                                        ; implicit-def: $sgpr17
                                        ; implicit-def: $sgpr33
	s_cbranch_scc1 .LBB32_16
; %bb.14:                               ;   in Loop: Header=BB32_9 Depth=1
	s_wait_alu 0xfffe
	s_and_not1_b32 vcc_lo, exec_lo, s0
	s_wait_alu 0xfffe
	s_cbranch_vccz .LBB32_19
.LBB32_15:                              ;   in Loop: Header=BB32_9 Depth=1
	s_and_not1_b32 vcc_lo, exec_lo, s27
	s_wait_alu 0xfffe
	s_cbranch_vccnz .LBB32_20
	s_branch .LBB32_23
.LBB32_16:                              ;   in Loop: Header=BB32_9 Depth=1
	s_add_co_i32 s40, s34, s15
	s_mov_b32 s1, s8
	s_wait_alu 0xfffe
	s_add_co_i32 s0, s40, s16
	v_max_num_f32_e64 v6, s26, s26
	s_wait_alu 0xfffe
	s_lshl_b32 s0, s0, 2
	s_mov_b32 s39, s8
	s_wait_alu 0xfffe
	s_add_co_i32 s0, s0, s21
	s_mul_u64 s[42:43], s[38:39], s[22:23]
	s_wait_alu 0xfffe
	s_lshl_b64 s[0:1], s[0:1], 3
	s_mov_b32 s33, s20
	s_wait_alu 0xfffe
	s_add_nc_u64 s[0:1], s[10:11], s[0:1]
	s_load_b64 s[36:37], s[0:1], 0x0
	v_readfirstlane_b32 s0, v6
	s_wait_kmcnt 0x0
	v_max_num_f32_e64 v7, s36, s36
	s_delay_alu instid0(VALU_DEP_1) | instskip(SKIP_2) | instid1(SALU_CYCLE_2)
	v_readfirstlane_b32 s1, v7
	s_max_num_f32 s9, s0, s1
	s_wait_alu 0xfffe
	s_sub_f32 s35, s26, s9
	s_sub_f32 s36, s36, s9
	s_wait_alu 0xfffe
	s_delay_alu instid0(SALU_CYCLE_1)
	s_cmp_nlt_f32 s35, 0xc2ce8ed0
	s_cselect_b32 s0, -1, 0
	s_cmp_ngt_f32 s35, 0x42b17218
	s_cselect_b32 s1, -1, 0
	s_cmp_ge_f32 s35, 0xc1a00000
	s_cselect_b32 s2, -1, 0
	s_cmp_nlt_f32 s36, 0xc2ce8ed0
	s_cselect_b32 s3, -1, 0
	s_cmp_ngt_f32 s36, 0x42b17218
	s_cselect_b32 s4, -1, 0
	s_cmp_ge_f32 s36, 0xc1a00000
	s_cselect_b32 s5, -1, 0
	s_add_co_i32 s17, s43, s38
	s_wait_alu 0xfffe
	s_lshr_b32 s17, s17, s13
	s_wait_alu 0xfffe
	s_mul_i32 s27, s17, s14
	s_wait_alu 0xfffe
	s_cmp_eq_u32 s27, s38
	s_cselect_b32 s27, -1, 0
	s_cmp_lt_u32 s17, s12
	s_cselect_b32 s17, -1, 0
	s_wait_alu 0xfffe
	s_or_b32 s17, s17, s27
	s_mov_b32 s27, -1
	s_wait_alu 0xfffe
	s_and_b32 vcc_lo, exec_lo, s17
	s_mov_b32 s17, s34
	s_wait_alu 0xfffe
	s_cbranch_vccnz .LBB32_18
; %bb.17:                               ;   in Loop: Header=BB32_9 Depth=1
	s_add_co_i32 s17, s34, -1
	s_mov_b32 s27, 0
	s_mov_b32 s33, s38
.LBB32_18:                              ;   in Loop: Header=BB32_9 Depth=1
	v_lshl_add_u32 v6, s40, 8, v0
	s_mul_f32 s38, s36, 0x3fb8aa3b
	s_mul_f32 s39, s35, 0x3fb8aa3b
	s_wait_alu 0xfffe
	s_delay_alu instid0(SALU_CYCLE_1)
	s_xor_b32 s40, s38, 0x80000000
	v_ashrrev_i32_e32 v7, 31, v6
	s_rndne_f32 s41, s38
	s_wait_alu 0xfffe
	s_fmamk_f32 s40, s36, 0x3fb8aa3b, s40
	s_xor_b32 s42, s39, 0x80000000
	s_rndne_f32 s43, s39
	v_lshlrev_b64_e32 v[6:7], 2, v[6:7]
	s_sub_f32 s38, s38, s41
	s_wait_alu 0xfffe
	s_fmamk_f32 s36, s36, 0x32a5705f, s40
	s_fmamk_f32 s40, s35, 0x3fb8aa3b, s42
	s_sub_f32 s39, s39, s43
	v_add_co_u32 v6, vcc_lo, s24, v6
	s_wait_alu 0xfffd
	v_add_co_ci_u32_e64 v7, null, s25, v7, vcc_lo
	s_wait_alu 0xfffe
	s_add_f32 s36, s38, s36
	s_fmamk_f32 s35, s35, 0x32a5705f, s40
	s_cvt_i32_f32 s38, s41
	global_load_b32 v6, v[6:7], off
	s_wait_alu 0xfffe
	v_s_exp_f32 s36, s36
	s_add_f32 s35, s39, s35
	s_wait_alu 0xfffe
	s_delay_alu instid0(SALU_CYCLE_2) | instskip(NEXT) | instid1(TRANS32_DEP_2)
	v_s_exp_f32 s35, s35
	v_ldexp_f32 v7, s36, s38
	s_cvt_i32_f32 s36, s43
	s_wait_alu 0xf1fe
	s_delay_alu instid0(TRANS32_DEP_1) | instid1(SALU_CYCLE_2)
	v_ldexp_f32 v8, s35, s36
	s_delay_alu instid0(VALU_DEP_2) | instskip(NEXT) | instid1(VALU_DEP_2)
	v_cndmask_b32_e64 v7, 0, v7, s3
	v_cndmask_b32_e64 v8, 0, v8, s0
	s_delay_alu instid0(VALU_DEP_2) | instskip(NEXT) | instid1(VALU_DEP_2)
	v_cndmask_b32_e64 v7, 0x7f800000, v7, s4
	v_cndmask_b32_e64 v8, 0x7f800000, v8, s1
	s_delay_alu instid0(VALU_DEP_2) | instskip(NEXT) | instid1(VALU_DEP_2)
	v_cndmask_b32_e64 v7, 0, v7, s5
	v_cndmask_b32_e64 v8, 0, v8, s2
	s_wait_loadcnt 0x0
	s_delay_alu instid0(VALU_DEP_2) | instskip(SKIP_1) | instid1(VALU_DEP_1)
	v_mul_f32_e32 v6, v6, v7
	v_mul_f32_e32 v7, s37, v7
	v_fmac_f32_e32 v7, v5, v8
	s_delay_alu instid0(VALU_DEP_3)
	v_fmac_f32_e32 v6, v3, v8
	s_cbranch_execnz .LBB32_15
.LBB32_19:                              ;   in Loop: Header=BB32_9 Depth=1
	s_wait_loadcnt 0x0
	v_dual_mov_b32 v7, v5 :: v_dual_mov_b32 v6, v3
	s_add_co_i32 s17, s34, -1
	s_mov_b32 s33, s20
	s_mov_b32 s9, s26
	s_cbranch_execz .LBB32_23
.LBB32_20:                              ;   in Loop: Header=BB32_9 Depth=1
	v_mov_b32_e32 v5, v7
	s_wait_loadcnt 0x0
	v_mov_b32_e32 v3, v6
	s_mov_b32 s20, s33
	s_wait_alu 0xfffe
	s_mov_b32 s34, s17
	s_mov_b32 s26, s9
	s_branch .LBB32_9
.LBB32_21:
                                        ; implicit-def: $sgpr20_sgpr21
	s_branch .LBB32_2
.LBB32_22:
                                        ; implicit-def: $sgpr10_sgpr11
	s_load_b96 s[12:14], s[0:1], 0x44
	s_branch .LBB32_5
.LBB32_23:
	v_div_scale_f32 v0, null, v7, v7, v6
	s_wait_loadcnt 0x0
	s_delay_alu instid0(VALU_DEP_1) | instskip(NEXT) | instid1(TRANS32_DEP_1)
	v_rcp_f32_e32 v3, v0
	v_fma_f32 v4, -v0, v3, 1.0
	s_delay_alu instid0(VALU_DEP_1) | instskip(SKIP_1) | instid1(VALU_DEP_1)
	v_fmac_f32_e32 v3, v4, v3
	v_div_scale_f32 v4, vcc_lo, v6, v7, v6
	v_mul_f32_e32 v5, v4, v3
	s_delay_alu instid0(VALU_DEP_1) | instskip(NEXT) | instid1(VALU_DEP_1)
	v_fma_f32 v8, -v0, v5, v4
	v_fmac_f32_e32 v5, v8, v3
	s_delay_alu instid0(VALU_DEP_1) | instskip(SKIP_1) | instid1(VALU_DEP_1)
	v_fma_f32 v0, -v0, v5, v4
	s_wait_alu 0xfffd
	v_div_fmas_f32 v0, v0, v3, v5
	s_delay_alu instid0(VALU_DEP_1)
	v_div_fixup_f32 v0, v0, v7, v6
	global_store_b32 v[1:2], v0, off
.LBB32_24:
	s_endpgm
	.section	.rodata,"a",@progbits
	.p2align	6, 0x0
	.amdhsa_kernel _ZL33flash_attn_stream_k_fixup_generalILi64ELi1ELi4EEvPfPK15HIP_vector_typeIfLj2EEiiiiS1_IjLj3EES5_S5_S5_
		.amdhsa_group_segment_fixed_size 0
		.amdhsa_private_segment_fixed_size 0
		.amdhsa_kernarg_size 336
		.amdhsa_user_sgpr_count 2
		.amdhsa_user_sgpr_dispatch_ptr 0
		.amdhsa_user_sgpr_queue_ptr 0
		.amdhsa_user_sgpr_kernarg_segment_ptr 1
		.amdhsa_user_sgpr_dispatch_id 0
		.amdhsa_user_sgpr_private_segment_size 0
		.amdhsa_wavefront_size32 1
		.amdhsa_uses_dynamic_stack 0
		.amdhsa_enable_private_segment 0
		.amdhsa_system_sgpr_workgroup_id_x 1
		.amdhsa_system_sgpr_workgroup_id_y 1
		.amdhsa_system_sgpr_workgroup_id_z 1
		.amdhsa_system_sgpr_workgroup_info 0
		.amdhsa_system_vgpr_workitem_id 0
		.amdhsa_next_free_vgpr 9
		.amdhsa_next_free_sgpr 44
		.amdhsa_reserve_vcc 1
		.amdhsa_float_round_mode_32 0
		.amdhsa_float_round_mode_16_64 0
		.amdhsa_float_denorm_mode_32 3
		.amdhsa_float_denorm_mode_16_64 3
		.amdhsa_fp16_overflow 0
		.amdhsa_workgroup_processor_mode 1
		.amdhsa_memory_ordered 1
		.amdhsa_forward_progress 1
		.amdhsa_inst_pref_size 28
		.amdhsa_round_robin_scheduling 0
		.amdhsa_exception_fp_ieee_invalid_op 0
		.amdhsa_exception_fp_denorm_src 0
		.amdhsa_exception_fp_ieee_div_zero 0
		.amdhsa_exception_fp_ieee_overflow 0
		.amdhsa_exception_fp_ieee_underflow 0
		.amdhsa_exception_fp_ieee_inexact 0
		.amdhsa_exception_int_div_zero 0
	.end_amdhsa_kernel
	.section	.text._ZL33flash_attn_stream_k_fixup_generalILi64ELi1ELi4EEvPfPK15HIP_vector_typeIfLj2EEiiiiS1_IjLj3EES5_S5_S5_,"axG",@progbits,_ZL33flash_attn_stream_k_fixup_generalILi64ELi1ELi4EEvPfPK15HIP_vector_typeIfLj2EEiiiiS1_IjLj3EES5_S5_S5_,comdat
.Lfunc_end32:
	.size	_ZL33flash_attn_stream_k_fixup_generalILi64ELi1ELi4EEvPfPK15HIP_vector_typeIfLj2EEiiiiS1_IjLj3EES5_S5_S5_, .Lfunc_end32-_ZL33flash_attn_stream_k_fixup_generalILi64ELi1ELi4EEvPfPK15HIP_vector_typeIfLj2EEiiiiS1_IjLj3EES5_S5_S5_
                                        ; -- End function
	.set _ZL33flash_attn_stream_k_fixup_generalILi64ELi1ELi4EEvPfPK15HIP_vector_typeIfLj2EEiiiiS1_IjLj3EES5_S5_S5_.num_vgpr, 9
	.set _ZL33flash_attn_stream_k_fixup_generalILi64ELi1ELi4EEvPfPK15HIP_vector_typeIfLj2EEiiiiS1_IjLj3EES5_S5_S5_.num_agpr, 0
	.set _ZL33flash_attn_stream_k_fixup_generalILi64ELi1ELi4EEvPfPK15HIP_vector_typeIfLj2EEiiiiS1_IjLj3EES5_S5_S5_.numbered_sgpr, 44
	.set _ZL33flash_attn_stream_k_fixup_generalILi64ELi1ELi4EEvPfPK15HIP_vector_typeIfLj2EEiiiiS1_IjLj3EES5_S5_S5_.num_named_barrier, 0
	.set _ZL33flash_attn_stream_k_fixup_generalILi64ELi1ELi4EEvPfPK15HIP_vector_typeIfLj2EEiiiiS1_IjLj3EES5_S5_S5_.private_seg_size, 0
	.set _ZL33flash_attn_stream_k_fixup_generalILi64ELi1ELi4EEvPfPK15HIP_vector_typeIfLj2EEiiiiS1_IjLj3EES5_S5_S5_.uses_vcc, 1
	.set _ZL33flash_attn_stream_k_fixup_generalILi64ELi1ELi4EEvPfPK15HIP_vector_typeIfLj2EEiiiiS1_IjLj3EES5_S5_S5_.uses_flat_scratch, 0
	.set _ZL33flash_attn_stream_k_fixup_generalILi64ELi1ELi4EEvPfPK15HIP_vector_typeIfLj2EEiiiiS1_IjLj3EES5_S5_S5_.has_dyn_sized_stack, 0
	.set _ZL33flash_attn_stream_k_fixup_generalILi64ELi1ELi4EEvPfPK15HIP_vector_typeIfLj2EEiiiiS1_IjLj3EES5_S5_S5_.has_recursion, 0
	.set _ZL33flash_attn_stream_k_fixup_generalILi64ELi1ELi4EEvPfPK15HIP_vector_typeIfLj2EEiiiiS1_IjLj3EES5_S5_S5_.has_indirect_call, 0
	.section	.AMDGPU.csdata,"",@progbits
; Kernel info:
; codeLenInByte = 3556
; TotalNumSgprs: 46
; NumVgprs: 9
; ScratchSize: 0
; MemoryBound: 0
; FloatMode: 240
; IeeeMode: 1
; LDSByteSize: 0 bytes/workgroup (compile time only)
; SGPRBlocks: 0
; VGPRBlocks: 1
; NumSGPRsForWavesPerEU: 46
; NumVGPRsForWavesPerEU: 9
; Occupancy: 16
; WaveLimiterHint : 0
; COMPUTE_PGM_RSRC2:SCRATCH_EN: 0
; COMPUTE_PGM_RSRC2:USER_SGPR: 2
; COMPUTE_PGM_RSRC2:TRAP_HANDLER: 0
; COMPUTE_PGM_RSRC2:TGID_X_EN: 1
; COMPUTE_PGM_RSRC2:TGID_Y_EN: 1
; COMPUTE_PGM_RSRC2:TGID_Z_EN: 1
; COMPUTE_PGM_RSRC2:TIDIG_COMP_CNT: 0
	.section	.text._ZL15flash_attn_tileILi64ELi64ELi32ELi2ELb0EEvPKcS1_S1_S1_S1_PKiPfP15HIP_vector_typeIfLj2EEffffjfiS5_IjLj3EEiiiiiiiiiiiliiliiiiil,"axG",@progbits,_ZL15flash_attn_tileILi64ELi64ELi32ELi2ELb0EEvPKcS1_S1_S1_S1_PKiPfP15HIP_vector_typeIfLj2EEffffjfiS5_IjLj3EEiiiiiiiiiiiliiliiiiil,comdat
	.globl	_ZL15flash_attn_tileILi64ELi64ELi32ELi2ELb0EEvPKcS1_S1_S1_S1_PKiPfP15HIP_vector_typeIfLj2EEffffjfiS5_IjLj3EEiiiiiiiiiiiliiliiiiil ; -- Begin function _ZL15flash_attn_tileILi64ELi64ELi32ELi2ELb0EEvPKcS1_S1_S1_S1_PKiPfP15HIP_vector_typeIfLj2EEffffjfiS5_IjLj3EEiiiiiiiiiiiliiliiiiil
	.p2align	8
	.type	_ZL15flash_attn_tileILi64ELi64ELi32ELi2ELb0EEvPKcS1_S1_S1_S1_PKiPfP15HIP_vector_typeIfLj2EEffffjfiS5_IjLj3EEiiiiiiiiiiiliiliiiiil,@function
_ZL15flash_attn_tileILi64ELi64ELi32ELi2ELb0EEvPKcS1_S1_S1_S1_PKiPfP15HIP_vector_typeIfLj2EEffffjfiS5_IjLj3EEiiiiiiiiiiiliiliiiiil: ; @_ZL15flash_attn_tileILi64ELi64ELi32ELi2ELb0EEvPKcS1_S1_S1_S1_PKiPfP15HIP_vector_typeIfLj2EEffffjfiS5_IjLj3EEiiiiiiiiiiiliiliiiiil
; %bb.0:
	s_clause 0x1
	s_load_b128 s[20:23], s[0:1], 0x5c
	s_load_b64 s[30:31], s[0:1], 0x80
	s_lshr_b32 s5, ttmp7, 16
	s_load_b64 s[38:39], s[0:1], 0xb8
	s_mov_b32 s37, 0
	s_mov_b64 s[34:35], 0
	s_wait_kmcnt 0x0
	s_lshr_b32 s2, s23, 31
	s_delay_alu instid0(SALU_CYCLE_1) | instskip(NEXT) | instid1(SALU_CYCLE_1)
	s_add_co_i32 s2, s23, s2
	s_ashr_i32 s2, s2, 1
	s_delay_alu instid0(SALU_CYCLE_1) | instskip(SKIP_1) | instid1(SALU_CYCLE_2)
	s_cvt_f32_u32 s3, s2
	s_sub_co_i32 s4, 0, s2
	v_rcp_iflag_f32_e32 v1, s3
	s_delay_alu instid0(TRANS32_DEP_1) | instskip(SKIP_2) | instid1(SALU_CYCLE_2)
	v_readfirstlane_b32 s3, v1
	s_mul_f32 s3, s3, 0x4f7ffffe
	s_wait_alu 0xfffe
	s_cvt_u32_f32 s3, s3
	s_wait_alu 0xfffe
	s_delay_alu instid0(SALU_CYCLE_2) | instskip(NEXT) | instid1(SALU_CYCLE_1)
	s_mul_i32 s4, s4, s3
	s_mul_hi_u32 s4, s3, s4
	s_delay_alu instid0(SALU_CYCLE_1)
	s_add_co_i32 s3, s3, s4
	s_wait_alu 0xfffe
	s_mul_hi_u32 s3, s5, s3
	s_wait_alu 0xfffe
	s_mul_i32 s4, s3, s2
	s_add_co_i32 s6, s3, 1
	s_sub_co_i32 s4, s5, s4
	s_delay_alu instid0(SALU_CYCLE_1)
	s_sub_co_i32 s7, s4, s2
	s_cmp_ge_u32 s4, s2
	s_cselect_b32 s3, s6, s3
	s_cselect_b32 s4, s7, s4
	s_wait_alu 0xfffe
	s_add_co_i32 s6, s3, 1
	s_cmp_ge_u32 s4, s2
	s_cselect_b32 s28, s6, s3
	s_abs_i32 s3, s31
	s_abs_i32 s7, s23
	s_wait_alu 0xfffe
	s_cvt_f32_u32 s2, s3
	s_sub_co_i32 s4, 0, s3
	s_lshl_b32 s5, s5, 1
	s_mul_i32 s6, s28, s23
	s_wait_alu 0xfffe
	v_rcp_iflag_f32_e32 v1, s2
	s_delay_alu instid0(TRANS32_DEP_1) | instskip(SKIP_2) | instid1(SALU_CYCLE_2)
	v_readfirstlane_b32 s2, v1
	s_mul_f32 s2, s2, 0x4f7ffffe
	s_wait_alu 0xfffe
	s_cvt_u32_f32 s2, s2
	s_wait_alu 0xfffe
	s_delay_alu instid0(SALU_CYCLE_2) | instskip(NEXT) | instid1(SALU_CYCLE_1)
	s_mul_i32 s4, s4, s2
	s_mul_hi_u32 s4, s2, s4
	s_delay_alu instid0(SALU_CYCLE_1)
	s_add_co_i32 s4, s2, s4
	s_sub_co_i32 s2, s5, s6
	s_mul_hi_u32 s4, s7, s4
	s_xor_b32 s5, s23, s31
	s_mul_i32 s6, s4, s3
	s_ashr_i32 s24, s5, 31
	s_sub_co_i32 s5, s7, s6
	s_add_co_i32 s6, s4, 1
	s_sub_co_i32 s7, s5, s3
	s_cmp_ge_u32 s5, s3
	s_cselect_b32 s4, s6, s4
	s_cselect_b32 s5, s7, s5
	s_add_co_i32 s6, s4, 1
	s_cmp_ge_u32 s5, s3
	s_cselect_b32 s3, s6, s4
	s_load_b512 s[4:19], s[0:1], 0x0
	s_xor_b32 s3, s3, s24
	s_wait_alu 0xfffe
	s_sub_co_i32 s33, s3, s24
	s_delay_alu instid0(SALU_CYCLE_1) | instskip(SKIP_2) | instid1(SALU_CYCLE_3)
	s_abs_i32 s3, s33
	s_wait_alu 0xfffe
	s_cvt_f32_u32 s24, s3
	v_rcp_iflag_f32_e32 v1, s24
	s_wait_kmcnt 0x0
	s_cmp_eq_u64 s[10:11], 0
	s_delay_alu instid0(TRANS32_DEP_1)
	v_readfirstlane_b32 s27, v1
	s_cbranch_scc1 .LBB33_2
; %bb.1:
	s_abs_i32 s26, s38
	s_delay_alu instid0(SALU_CYCLE_1) | instskip(SKIP_1) | instid1(SALU_CYCLE_2)
	s_cvt_f32_u32 s24, s26
	s_wait_alu 0xfffe
	v_rcp_iflag_f32_e32 v1, s24
	s_delay_alu instid0(TRANS32_DEP_1) | instskip(SKIP_2) | instid1(SALU_CYCLE_2)
	v_readfirstlane_b32 s24, v1
	s_mul_f32 s24, s24, 0x4f7ffffe
	s_wait_alu 0xfffe
	s_cvt_u32_f32 s29, s24
	s_sub_co_i32 s24, 0, s26
	s_wait_alu 0xfffe
	s_delay_alu instid0(SALU_CYCLE_1) | instskip(SKIP_4) | instid1(SALU_CYCLE_1)
	s_mul_i32 s24, s24, s29
	s_wait_alu 0xfffe
	s_mul_hi_u32 s31, s29, s24
	s_load_b64 s[24:25], s[0:1], 0xc8
	s_add_co_i32 s29, s29, s31
	s_mul_hi_u32 s29, s28, s29
	s_delay_alu instid0(SALU_CYCLE_1) | instskip(NEXT) | instid1(SALU_CYCLE_1)
	s_mul_i32 s29, s29, s26
	s_sub_co_i32 s29, s28, s29
	s_delay_alu instid0(SALU_CYCLE_1) | instskip(SKIP_2) | instid1(SALU_CYCLE_1)
	s_sub_co_i32 s31, s29, s26
	s_cmp_ge_u32 s29, s26
	s_cselect_b32 s29, s31, s29
	s_sub_co_i32 s31, s29, s26
	s_cmp_ge_u32 s29, s26
	s_cselect_b32 s34, s31, s29
	s_delay_alu instid0(SALU_CYCLE_1)
	s_ashr_i32 s35, s34, 31
	s_wait_kmcnt 0x0
	s_mul_u64 s[24:25], s[24:25], s[34:35]
	s_wait_alu 0xfffe
	s_add_nc_u64 s[34:35], s[10:11], s[24:25]
.LBB33_2:
	v_bfe_u32 v1, v0, 10, 10
	s_lshl_b32 s31, ttmp9, 5
	v_and_b32_e32 v110, 0x3ff, v0
	s_load_b96 s[24:26], s[0:1], 0x70
	s_delay_alu instid0(VALU_DEP_2) | instskip(SKIP_1) | instid1(VALU_DEP_2)
	v_lshlrev_b32_e32 v4, 4, v1
	v_lshlrev_b32_e32 v175, 3, v1
	v_or_b32_e32 v2, 2, v4
	s_delay_alu instid0(VALU_DEP_2) | instskip(SKIP_1) | instid1(VALU_DEP_3)
	v_add_nc_u32_e32 v109, s31, v175
	v_or_b32_e32 v3, 3, v4
	v_lshrrev_b32_e32 v174, 1, v2
	s_delay_alu instid0(VALU_DEP_3) | instskip(NEXT) | instid1(VALU_DEP_3)
	v_mul_hi_u32 v5, v109, s20
	v_lshrrev_b32_e32 v173, 1, v3
	s_delay_alu instid0(VALU_DEP_3) | instskip(NEXT) | instid1(VALU_DEP_2)
	v_add_nc_u32_e32 v107, s31, v174
	v_add_nc_u32_e32 v106, s31, v173
	s_wait_kmcnt 0x0
	s_ashr_i32 s45, s24, 31
	s_delay_alu instid0(VALU_DEP_4)
	v_add_nc_u32_e32 v6, v109, v5
	v_mul_hi_u32 v0, v107, s20
	s_mov_b32 s44, s24
	v_mul_hi_u32 v9, v106, s20
	s_lshr_b64 s[10:11], s[44:45], 2
	v_lshrrev_b32_e32 v8, s21, v6
	s_lshr_b32 s11, s45, 2
	s_mul_i32 s40, s28, s26
	s_mul_i32 s42, s2, s25
	v_add_nc_u32_e32 v0, v107, v0
	v_mul_lo_u32 v8, v8, s22
	v_add_nc_u32_e32 v11, v106, v9
	s_ashr_i32 s41, s40, 31
	s_ashr_i32 s43, s42, 31
	v_lshrrev_b32_e32 v10, s21, v0
	s_add_nc_u64 s[4:5], s[4:5], s[40:41]
	v_lshrrev_b32_e32 v11, s21, v11
	s_add_nc_u64 s[4:5], s[4:5], s[42:43]
	v_sub_nc_u32_e32 v0, v109, v8
	v_mul_lo_u32 v10, v10, s22
	s_ashr_i32 s47, s25, 31
	v_mul_lo_u32 v14, v11, s22
	s_and_b32 s46, s25, -4
	v_mad_co_u64_u32 v[8:9], null, s10, v0, 0
	v_lshlrev_b32_e32 v6, 3, v110
	s_add_nc_u64 s[24:25], s[4:5], s[46:47]
	s_delay_alu instid0(VALU_DEP_4) | instskip(SKIP_1) | instid1(VALU_DEP_4)
	v_sub_nc_u32_e32 v15, v107, v10
	s_cmp_eq_u64 s[14:15], 0
	v_sub_nc_u32_e32 v17, v106, v14
	s_delay_alu instid0(VALU_DEP_2) | instskip(NEXT) | instid1(VALU_DEP_1)
	v_mad_co_u64_u32 v[10:11], null, s10, v15, 0
	v_mad_co_u64_u32 v[12:13], null, s11, v0, v[9:10]
	s_delay_alu instid0(VALU_DEP_3) | instskip(NEXT) | instid1(VALU_DEP_2)
	v_mad_co_u64_u32 v[13:14], null, s10, v17, 0
	v_mov_b32_e32 v9, v12
	v_or_b32_e32 v5, 4, v4
	v_or_b32_e32 v7, 5, v4
	v_mad_co_u64_u32 v[11:12], null, s11, v15, v[11:12]
	s_delay_alu instid0(VALU_DEP_4) | instskip(NEXT) | instid1(VALU_DEP_4)
	v_lshlrev_b64_e32 v[8:9], 2, v[8:9]
	v_lshrrev_b32_e32 v172, 1, v5
	s_delay_alu instid0(VALU_DEP_4)
	v_lshrrev_b32_e32 v170, 1, v7
	v_or_b32_e32 v45, 6, v4
	v_or_b32_e32 v46, 7, v4
	;; [unrolled: 1-line block ×3, first 2 shown]
	v_add_nc_u32_e32 v104, s31, v172
	v_add_nc_u32_e32 v101, s31, v170
	v_lshrrev_b32_e32 v171, 1, v45
	v_lshrrev_b32_e32 v169, 1, v46
	;; [unrolled: 1-line block ×3, first 2 shown]
	v_mul_hi_u32 v16, v104, s20
	v_or_b32_e32 v48, 9, v4
	v_add_nc_u32_e32 v100, s31, v171
	v_add_nc_u32_e32 v253, s31, v169
	;; [unrolled: 1-line block ×3, first 2 shown]
	v_or_b32_e32 v49, 10, v4
	v_lshrrev_b32_e32 v167, 1, v48
	v_or_b32_e32 v50, 11, v4
	v_add_nc_u32_e32 v12, v104, v16
	v_mul_hi_u32 v24, v253, s20
	v_mul_hi_u32 v25, v103, s20
	v_add_nc_u32_e32 v102, s31, v167
	v_lshrrev_b32_e32 v166, 1, v49
	v_lshrrev_b32_e32 v18, s21, v12
	v_mov_b32_e32 v12, v14
	v_add_co_u32 v14, vcc_lo, s4, v8
	s_delay_alu instid0(VALU_DEP_1)
	v_add_co_ci_u32_e64 v15, null, s5, v9, vcc_lo
	s_wait_alu 0xfffe
	v_add_co_u32 v16, vcc_lo, s24, v8
	s_wait_alu 0xfffd
	v_add_co_ci_u32_e64 v19, null, s25, v9, vcc_lo
	v_lshlrev_b64_e32 v[8:9], 2, v[10:11]
	v_add_co_u32 v10, vcc_lo, v14, v6
	v_mul_lo_u32 v14, v18, s22
	v_mad_co_u64_u32 v[17:18], null, s11, v17, v[12:13]
	v_mul_hi_u32 v12, v101, s20
	s_wait_alu 0xfffd
	v_add_co_ci_u32_e64 v11, null, 0, v15, vcc_lo
	v_add_co_u32 v15, vcc_lo, v16, v6
	v_sub_nc_u32_e32 v20, v104, v14
	v_mov_b32_e32 v14, v17
	s_wait_alu 0xfffd
	v_add_co_ci_u32_e64 v16, null, 0, v19, vcc_lo
	v_add_co_u32 v18, vcc_lo, s4, v8
	v_add_nc_u32_e32 v17, v101, v12
	s_wait_alu 0xfffd
	v_add_co_ci_u32_e64 v19, null, s5, v9, vcc_lo
	v_mad_co_u64_u32 v[8:9], null, s10, v20, 0
	v_lshlrev_b64_e32 v[12:13], 2, v[13:14]
	v_lshrrev_b32_e32 v14, s21, v17
	v_add_co_u32 v17, vcc_lo, v18, v6
	s_wait_alu 0xfffd
	v_add_co_ci_u32_e64 v18, null, 0, v19, vcc_lo
	v_mul_hi_u32 v19, v100, s20
	v_mul_lo_u32 v14, v14, s22
	v_add_co_u32 v21, vcc_lo, s24, v12
	s_wait_alu 0xfffd
	v_add_co_ci_u32_e64 v22, null, s25, v13, vcc_lo
	v_mad_co_u64_u32 v[12:13], null, s11, v20, v[9:10]
	v_add_nc_u32_e32 v9, v100, v19
	v_add_co_u32 v13, vcc_lo, v21, v6
	v_sub_nc_u32_e32 v23, v101, v14
	s_wait_alu 0xfffd
	v_add_co_ci_u32_e64 v14, null, 0, v22, vcc_lo
	v_lshrrev_b32_e32 v21, s21, v9
	v_mov_b32_e32 v9, v12
	s_clause 0x3
	global_load_b64 v[10:11], v[10:11], off
	global_load_b64 v[15:16], v[15:16], off
	global_load_b64 v[17:18], v[17:18], off
	global_load_b64 v[12:13], v[13:14], off
	v_mad_co_u64_u32 v[19:20], null, s10, v23, 0
	v_mul_lo_u32 v22, v21, s22
	v_lshlrev_b64_e32 v[8:9], 2, v[8:9]
	v_mul_hi_u32 v27, v102, s20
	v_add_nc_u32_e32 v254, s31, v166
	v_lshrrev_b32_e32 v165, 1, v50
	v_or_b32_e32 v51, 12, v4
	v_mov_b32_e32 v14, v20
	v_or_b32_e32 v52, 13, v4
	v_or_b32_e32 v53, 14, v4
	v_add_nc_u32_e32 v108, s31, v165
	v_lshrrev_b32_e32 v164, 1, v51
	v_or_b32_e32 v54, 15, v4
	v_lshrrev_b32_e32 v147, 1, v52
	v_lshrrev_b32_e32 v145, 1, v53
	s_delay_alu instid0(VALU_DEP_4) | instskip(NEXT) | instid1(VALU_DEP_3)
	v_add_nc_u32_e32 v105, s31, v164
	v_add_nc_u32_e32 v255, s31, v147
	s_delay_alu instid0(VALU_DEP_3) | instskip(NEXT) | instid1(VALU_DEP_3)
	v_add_nc_u32_e32 v146, s31, v145
	v_mul_hi_u32 v34, v105, s20
	s_delay_alu instid0(VALU_DEP_3) | instskip(NEXT) | instid1(VALU_DEP_3)
	v_mul_hi_u32 v35, v255, s20
	v_mul_hi_u32 v38, v146, s20
	s_delay_alu instid0(VALU_DEP_3)
	v_add_nc_u32_e32 v34, v105, v34
	s_wait_loadcnt 0x2
	v_mad_co_u64_u32 v[20:21], null, s11, v23, v[14:15]
	v_add_nc_u32_e32 v23, v253, v24
	v_sub_nc_u32_e32 v14, v100, v22
	v_add_co_u32 v21, vcc_lo, s4, v8
	s_wait_alu 0xfffd
	v_add_co_ci_u32_e64 v22, null, s5, v9, vcc_lo
	v_lshrrev_b32_e32 v23, s21, v23
	v_mad_co_u64_u32 v[8:9], null, s10, v14, 0
	v_lshlrev_b64_e32 v[19:20], 2, v[19:20]
	v_add_co_u32 v21, vcc_lo, v21, v6
	s_delay_alu instid0(VALU_DEP_4)
	v_mul_lo_u32 v26, v23, s22
	s_wait_alu 0xfffd
	v_add_co_ci_u32_e64 v22, null, 0, v22, vcc_lo
	v_mad_co_u64_u32 v[23:24], null, s11, v14, v[9:10]
	v_add_nc_u32_e32 v9, v103, v25
	v_add_co_u32 v14, vcc_lo, s24, v19
	v_sub_nc_u32_e32 v25, v253, v26
	s_wait_alu 0xfffd
	v_add_co_ci_u32_e64 v24, null, s25, v20, vcc_lo
	v_lshrrev_b32_e32 v26, s21, v9
	v_mov_b32_e32 v9, v23
	v_mad_co_u64_u32 v[19:20], null, s10, v25, 0
	v_add_co_u32 v23, vcc_lo, v14, v6
	s_delay_alu instid0(VALU_DEP_4) | instskip(NEXT) | instid1(VALU_DEP_4)
	v_mul_lo_u32 v26, v26, s22
	v_lshlrev_b64_e32 v[8:9], 2, v[8:9]
	s_wait_alu 0xfffd
	v_add_co_ci_u32_e64 v24, null, 0, v24, vcc_lo
	v_mov_b32_e32 v14, v20
	v_add_nc_u32_e32 v20, v102, v27
	s_delay_alu instid0(VALU_DEP_4) | instskip(SKIP_1) | instid1(VALU_DEP_4)
	v_add_co_u32 v28, vcc_lo, s4, v8
	v_sub_nc_u32_e32 v30, v103, v26
	v_mad_co_u64_u32 v[25:26], null, s11, v25, v[14:15]
	s_delay_alu instid0(VALU_DEP_4) | instskip(SKIP_3) | instid1(VALU_DEP_3)
	v_lshrrev_b32_e32 v14, s21, v20
	s_wait_alu 0xfffd
	v_add_co_ci_u32_e64 v9, null, s5, v9, vcc_lo
	v_mad_co_u64_u32 v[26:27], null, s10, v30, 0
	v_mul_lo_u32 v14, v14, s22
	v_mov_b32_e32 v20, v25
	v_mul_hi_u32 v25, v254, s20
	v_add_co_u32 v28, vcc_lo, v28, v6
	s_wait_alu 0xfffd
	v_add_co_ci_u32_e64 v29, null, 0, v9, vcc_lo
	v_mov_b32_e32 v8, v27
	v_sub_nc_u32_e32 v14, v102, v14
	v_lshlrev_b64_e32 v[19:20], 2, v[19:20]
	s_delay_alu instid0(VALU_DEP_3) | instskip(SKIP_1) | instid1(VALU_DEP_4)
	v_mad_co_u64_u32 v[8:9], null, s11, v30, v[8:9]
	v_add_nc_u32_e32 v9, v254, v25
	v_mad_co_u64_u32 v[30:31], null, s10, v14, 0
	s_delay_alu instid0(VALU_DEP_4) | instskip(NEXT) | instid1(VALU_DEP_3)
	v_add_co_u32 v19, vcc_lo, s24, v19
	v_lshrrev_b32_e32 v9, s21, v9
	v_mov_b32_e32 v27, v8
	s_wait_alu 0xfffd
	v_add_co_ci_u32_e64 v20, null, s25, v20, vcc_lo
	v_mov_b32_e32 v8, v31
	v_mul_lo_u32 v31, v9, s22
	v_lshlrev_b64_e32 v[25:26], 2, v[26:27]
	v_add_co_u32 v19, vcc_lo, v19, v6
	s_delay_alu instid0(VALU_DEP_4)
	v_mad_co_u64_u32 v[8:9], null, s11, v14, v[8:9]
	s_wait_alu 0xfffd
	v_add_co_ci_u32_e64 v20, null, 0, v20, vcc_lo
	v_sub_nc_u32_e32 v32, v254, v31
	v_add_co_u32 v9, vcc_lo, s4, v25
	s_wait_alu 0xfffd
	v_add_co_ci_u32_e64 v14, null, s5, v26, vcc_lo
	s_delay_alu instid0(VALU_DEP_3)
	v_mad_co_u64_u32 v[25:26], null, s10, v32, 0
	v_mul_hi_u32 v27, v108, s20
	v_mov_b32_e32 v31, v8
	v_add_co_u32 v8, vcc_lo, v9, v6
	s_wait_alu 0xfffd
	v_add_co_ci_u32_e64 v9, null, 0, v14, vcc_lo
	v_mov_b32_e32 v14, v26
	s_clause 0x3
	global_load_b64 v[21:22], v[21:22], off
	global_load_b64 v[23:24], v[23:24], off
	global_load_b64 v[28:29], v[28:29], off
	global_load_b64 v[19:20], v[19:20], off
	v_add_nc_u32_e32 v33, v108, v27
	v_lshlrev_b64_e32 v[26:27], 2, v[30:31]
	v_mad_co_u64_u32 v[30:31], null, s11, v32, v[14:15]
	s_delay_alu instid0(VALU_DEP_3) | instskip(NEXT) | instid1(VALU_DEP_3)
	v_lshrrev_b32_e32 v14, s21, v33
	v_add_co_u32 v31, vcc_lo, s24, v26
	s_wait_alu 0xfffd
	s_delay_alu instid0(VALU_DEP_4) | instskip(NEXT) | instid1(VALU_DEP_3)
	v_add_co_ci_u32_e64 v27, null, s25, v27, vcc_lo
	v_mul_lo_u32 v14, v14, s22
	v_mov_b32_e32 v26, v30
	v_add_co_u32 v30, vcc_lo, v31, v6
	s_wait_alu 0xfffd
	v_add_co_ci_u32_e64 v31, null, 0, v27, vcc_lo
	s_delay_alu instid0(VALU_DEP_3) | instskip(SKIP_1) | instid1(VALU_DEP_2)
	v_lshlrev_b64_e32 v[25:26], 2, v[25:26]
	v_sub_nc_u32_e32 v27, v108, v14
	v_add_co_u32 v36, vcc_lo, s4, v25
	s_delay_alu instid0(VALU_DEP_2) | instskip(SKIP_1) | instid1(VALU_DEP_4)
	v_mad_co_u64_u32 v[32:33], null, s10, v27, 0
	s_wait_alu 0xfffd
	v_add_co_ci_u32_e64 v37, null, s5, v26, vcc_lo
	s_delay_alu instid0(VALU_DEP_2) | instskip(SKIP_2) | instid1(VALU_DEP_3)
	v_mov_b32_e32 v14, v33
	v_lshrrev_b32_e32 v33, s21, v34
	v_add_nc_u32_e32 v34, v255, v35
	v_mad_co_u64_u32 v[25:26], null, s11, v27, v[14:15]
	s_delay_alu instid0(VALU_DEP_3) | instskip(NEXT) | instid1(VALU_DEP_3)
	v_mul_lo_u32 v4, v33, s22
	v_lshrrev_b32_e32 v14, s21, v34
	v_lshrrev_b32_e32 v34, 1, v54
	v_add_co_u32 v26, vcc_lo, v36, v6
	s_wait_alu 0xfffd
	v_add_co_ci_u32_e64 v27, null, 0, v37, vcc_lo
	s_delay_alu instid0(VALU_DEP_3)
	v_add_nc_u32_e32 v42, s31, v34
	v_sub_nc_u32_e32 v39, v105, v4
	v_mul_lo_u32 v4, v14, s22
	scratch_store_b32 off, v34, off offset:4 ; 4-byte Folded Spill
	v_add_nc_u32_e32 v14, v146, v38
	v_mul_hi_u32 v36, v42, s20
	v_mad_co_u64_u32 v[34:35], null, s10, v39, 0
	v_mov_b32_e32 v33, v25
	s_clause 0x2
	global_load_b64 v[8:9], v[8:9], off
	global_load_b64 v[30:31], v[30:31], off
	;; [unrolled: 1-line block ×3, first 2 shown]
	v_sub_nc_u32_e32 v27, v255, v4
	v_lshrrev_b32_e32 v14, s21, v14
	scratch_store_b32 off, v42, off         ; 4-byte Folded Spill
	v_lshlrev_b64_e32 v[32:33], 2, v[32:33]
	v_dual_mov_b32 v4, v35 :: v_dual_add_nc_u32 v35, v42, v36
	v_mad_co_u64_u32 v[36:37], null, s10, v27, 0
	v_mul_lo_u32 v14, v14, s22
	s_delay_alu instid0(VALU_DEP_3) | instskip(NEXT) | instid1(VALU_DEP_4)
	v_mad_co_u64_u32 v[38:39], null, s11, v39, v[4:5]
	v_lshrrev_b32_e32 v39, s21, v35
	v_add_co_u32 v40, vcc_lo, s24, v32
	v_mov_b32_e32 v4, v37
	s_wait_alu 0xfffd
	v_add_co_ci_u32_e64 v41, null, s25, v33, vcc_lo
	v_mul_lo_u32 v37, v39, s22
	v_sub_nc_u32_e32 v14, v146, v14
	v_mad_co_u64_u32 v[32:33], null, s11, v27, v[4:5]
	v_mov_b32_e32 v35, v38
	v_add_co_u32 v40, vcc_lo, v40, v6
	s_delay_alu instid0(VALU_DEP_4) | instskip(SKIP_1) | instid1(VALU_DEP_4)
	v_mad_co_u64_u32 v[38:39], null, s10, v14, 0
	v_sub_nc_u32_e32 v27, v42, v37
	v_lshlrev_b64_e32 v[33:34], 2, v[34:35]
	v_mov_b32_e32 v37, v32
	s_wait_alu 0xfffd
	v_add_co_ci_u32_e64 v41, null, 0, v41, vcc_lo
	v_mad_co_u64_u32 v[42:43], null, s10, v27, 0
	v_mov_b32_e32 v4, v39
	v_add_co_u32 v39, vcc_lo, s4, v33
	v_lshlrev_b64_e32 v[32:33], 2, v[36:37]
	s_wait_alu 0xfffd
	v_add_co_ci_u32_e64 v44, null, s5, v34, vcc_lo
	v_mad_co_u64_u32 v[34:35], null, s11, v14, v[4:5]
	v_mov_b32_e32 v4, v43
	v_add_co_u32 v35, vcc_lo, v39, v6
	s_wait_alu 0xfffd
	v_add_co_ci_u32_e64 v36, null, 0, v44, vcc_lo
	s_delay_alu instid0(VALU_DEP_3) | instskip(SKIP_4) | instid1(VALU_DEP_3)
	v_mad_co_u64_u32 v[43:44], null, s11, v27, v[4:5]
	v_add_co_u32 v4, vcc_lo, s24, v32
	s_wait_alu 0xfffd
	v_add_co_ci_u32_e64 v14, null, s25, v33, vcc_lo
	v_mov_b32_e32 v39, v34
	v_add_co_u32 v32, vcc_lo, v4, v6
	s_wait_alu 0xfffd
	s_delay_alu instid0(VALU_DEP_3) | instskip(NEXT) | instid1(VALU_DEP_3)
	v_add_co_ci_u32_e64 v33, null, 0, v14, vcc_lo
	v_lshlrev_b64_e32 v[37:38], 2, v[38:39]
	s_clause 0x2
	global_load_b64 v[39:40], v[40:41], off
	global_load_b64 v[34:35], v[35:36], off
	global_load_b64 v[32:33], v[32:33], off
	v_lshlrev_b64_e32 v[41:42], 2, v[42:43]
	v_add_co_u32 v4, vcc_lo, s4, v37
	s_wait_alu 0xfffd
	v_add_co_ci_u32_e64 v14, null, s5, v38, vcc_lo
	s_delay_alu instid0(VALU_DEP_3)
	v_add_co_u32 v27, vcc_lo, s24, v41
	s_wait_alu 0xfffd
	v_add_co_ci_u32_e64 v38, null, s25, v42, vcc_lo
	v_add_co_u32 v36, vcc_lo, v4, v6
	s_wait_alu 0xfffd
	v_add_co_ci_u32_e64 v37, null, 0, v14, vcc_lo
	v_add_co_u32 v41, vcc_lo, v27, v6
	s_wait_alu 0xfffd
	v_add_co_ci_u32_e64 v42, null, 0, v38, vcc_lo
	s_clause 0x1
	global_load_b64 v[36:37], v[36:37], off
	global_load_b64 v[41:42], v[41:42], off
	s_load_b32 s4, s[0:1], 0x40
	v_lshl_add_u32 v6, v110, 2, 0x4400
	v_lshlrev_b32_e32 v4, 11, v1
	s_delay_alu instid0(VALU_DEP_2) | instskip(NEXT) | instid1(VALU_DEP_2)
	v_lshl_add_u32 v2, v2, 7, v6
	v_add_nc_u32_e32 v14, v6, v4
	v_lshl_add_u32 v7, v7, 7, v6
	v_lshl_add_u32 v3, v3, 7, v6
	;; [unrolled: 1-line block ×3, first 2 shown]
	s_wait_kmcnt 0x0
	v_fma_mixlo_f16 v11, s4, v11, 0
	v_fma_mixlo_f16 v10, s4, v10, 0
	;; [unrolled: 1-line block ×4, first 2 shown]
	s_wait_loadcnt 0xc
	v_fma_mixlo_f16 v12, s4, v12, 0
	v_lshlrev_b32_e32 v11, 16, v11
	v_and_b32_e32 v10, 0xffff, v10
	v_lshlrev_b32_e32 v16, 16, v16
	v_and_b32_e32 v15, 0xffff, v15
	v_fma_mixlo_f16 v13, s4, v13, 0
	v_and_b32_e32 v12, 0xffff, v12
	v_or_b32_e32 v10, v11, v10
	s_delay_alu instid0(VALU_DEP_4)
	v_or_b32_e32 v11, v16, v15
	v_fma_mixlo_f16 v15, s4, v17, 0
	v_fma_mixlo_f16 v16, s4, v18, 0
	v_lshlrev_b32_e32 v13, 16, v13
	ds_store_2addr_b32 v14, v10, v11 offset1:32
	v_and_b32_e32 v11, 0xffff, v15
	v_lshlrev_b32_e32 v10, 16, v16
	s_delay_alu instid0(VALU_DEP_1)
	v_or_b32_e32 v10, v10, v11
	v_or_b32_e32 v11, v13, v12
	s_wait_loadcnt 0xb
	v_fma_mixlo_f16 v17, s4, v21, 0
	v_fma_mixlo_f16 v18, s4, v22, 0
	s_wait_loadcnt 0xa
	v_fma_mixlo_f16 v21, s4, v23, 0
	v_fma_mixlo_f16 v22, s4, v24, 0
	;; [unrolled: 3-line block ×3, first 2 shown]
	v_lshlrev_b32_e32 v14, 16, v18
	v_and_b32_e32 v15, 0xffff, v17
	v_lshlrev_b32_e32 v16, 16, v22
	v_and_b32_e32 v17, 0xffff, v21
	v_lshlrev_b32_e32 v18, 16, v24
	v_and_b32_e32 v21, 0xffff, v23
	v_or_b32_e32 v12, v14, v15
	s_wait_loadcnt 0x8
	v_fma_mixlo_f16 v14, s4, v20, 0
	v_or_b32_e32 v13, v16, v17
	v_lshl_add_u32 v15, v45, 7, v6
	v_or_b32_e32 v16, v18, v21
	v_fma_mixlo_f16 v18, s4, v19, 0
	v_lshlrev_b32_e32 v14, 16, v14
	v_lshl_add_u32 v17, v46, 7, v6
	s_delay_alu instid0(VALU_DEP_3) | instskip(NEXT) | instid1(VALU_DEP_1)
	v_and_b32_e32 v18, 0xffff, v18
	v_or_b32_e32 v14, v14, v18
	v_lshl_add_u32 v18, v47, 7, v6
	s_wait_loadcnt 0x7
	v_fma_mixlo_f16 v9, s4, v9, 0
	v_fma_mixlo_f16 v8, s4, v8, 0
	s_wait_loadcnt 0x6
	v_fma_mixlo_f16 v19, s4, v31, 0
	v_fma_mixlo_f16 v20, s4, v30, 0
	v_lshlrev_b32_e32 v9, 16, v9
	v_and_b32_e32 v8, 0xffff, v8
	s_delay_alu instid0(VALU_DEP_4) | instskip(NEXT) | instid1(VALU_DEP_4)
	v_lshlrev_b32_e32 v19, 16, v19
	v_and_b32_e32 v20, 0xffff, v20
	s_delay_alu instid0(VALU_DEP_3) | instskip(SKIP_1) | instid1(VALU_DEP_3)
	v_or_b32_e32 v8, v9, v8
	v_lshl_add_u32 v9, v48, 7, v6
	v_or_b32_e32 v19, v19, v20
	ds_store_b32 v2, v10
	ds_store_b32 v3, v11
	;; [unrolled: 1-line block ×8, first 2 shown]
	s_wait_loadcnt 0x5
	v_fma_mixlo_f16 v20, s4, v26, 0
	v_fma_mixlo_f16 v2, s4, v25, 0
	v_lshl_add_u32 v3, v49, 7, v6
	v_lshl_add_u32 v11, v51, 7, v6
	s_delay_alu instid0(VALU_DEP_4) | instskip(NEXT) | instid1(VALU_DEP_4)
	v_lshlrev_b32_e32 v5, 16, v20
	v_and_b32_e32 v2, 0xffff, v2
	s_delay_alu instid0(VALU_DEP_1)
	v_or_b32_e32 v2, v5, v2
	s_wait_loadcnt 0x4
	v_fma_mixlo_f16 v7, s4, v40, 0
	v_fma_mixlo_f16 v8, s4, v39, 0
	s_wait_loadcnt 0x3
	v_fma_mixlo_f16 v9, s4, v35, 0
	v_fma_mixlo_f16 v10, s4, v34, 0
	s_wait_loadcnt 0x2
	v_fma_mixlo_f16 v12, s4, v32, 0
	v_lshlrev_b32_e32 v7, 16, v7
	v_and_b32_e32 v8, 0xffff, v8
	v_lshlrev_b32_e32 v5, 16, v9
	v_and_b32_e32 v9, 0xffff, v10
	v_and_b32_e32 v12, 0xffff, v12
	v_lshl_add_u32 v10, v50, 7, v6
	v_or_b32_e32 v7, v7, v8
	v_fma_mixlo_f16 v8, s4, v33, 0
	v_or_b32_e32 v5, v5, v9
	v_lshl_add_u32 v9, v52, 7, v6
	s_delay_alu instid0(VALU_DEP_3) | instskip(NEXT) | instid1(VALU_DEP_1)
	v_lshlrev_b32_e32 v8, 16, v8
	v_or_b32_e32 v8, v8, v12
	v_lshl_add_u32 v12, v53, 7, v6
	s_wait_loadcnt 0x1
	v_fma_mixlo_f16 v13, s4, v37, 0
	v_fma_mixlo_f16 v14, s4, v36, 0
	s_wait_loadcnt 0x0
	v_fma_mixlo_f16 v15, s4, v42, 0
	v_fma_mixlo_f16 v16, s4, v41, 0
	v_lshl_add_u32 v6, v54, 7, v6
	v_lshlrev_b32_e32 v13, 16, v13
	v_and_b32_e32 v14, 0xffff, v14
	v_lshlrev_b32_e32 v15, 16, v15
	v_and_b32_e32 v16, 0xffff, v16
	s_delay_alu instid0(VALU_DEP_3) | instskip(NEXT) | instid1(VALU_DEP_2)
	v_or_b32_e32 v13, v13, v14
	v_or_b32_e32 v14, v15, v16
	ds_store_b32 v3, v2
	ds_store_b32 v10, v7
	;; [unrolled: 1-line block ×6, first 2 shown]
	s_wait_storecnt_dscnt 0x0
	s_barrier_signal -1
	s_barrier_wait -1
	global_inv scope:SCOPE_SE
	s_cbranch_scc1 .LBB33_4
; %bb.3:
	s_load_b32 s4, s[0:1], 0xd0
	s_mov_b32 s5, 0
	s_wait_kmcnt 0x0
	s_mul_i32 s4, s4, s28
	s_wait_alu 0xfffe
	s_add_co_i32 s4, s4, ttmp9
	s_wait_alu 0xfffe
	s_lshl_b64 s[4:5], s[4:5], 2
	s_wait_alu 0xfffe
	s_add_nc_u64 s[4:5], s[14:15], s[4:5]
	s_load_b32 s30, s[4:5], 0x0
.LBB33_4:
	s_and_b32 s4, ttmp7, 0xffff
	v_mbcnt_lo_u32_b32 v111, -1, 0
	s_wait_alu 0xfffe
	s_lshl_b32 s10, s4, 6
	s_wait_kmcnt 0x0
	s_wait_alu 0xfffe
	s_cmp_lt_i32 s10, s30
	s_cbranch_scc1 .LBB33_7
; %bb.5:
	v_mbcnt_lo_u32_b32 v16, -1, 0
	v_mov_b32_e32 v113, 32
	s_delay_alu instid0(VALU_DEP_2)
	v_xor_b32_e32 v117, 16, v16
	v_xor_b32_e32 v118, 8, v16
	;; [unrolled: 1-line block ×5, first 2 shown]
	s_mov_b32 s29, 0
	s_cbranch_execz .LBB33_8
; %bb.6:
	v_dual_mov_b32 v0, 0xfeffffff :: v_dual_mov_b32 v163, 0
	v_dual_mov_b32 v38, 0 :: v_dual_mov_b32 v37, 0
	;; [unrolled: 1-line block ×3, first 2 shown]
	s_delay_alu instid0(VALU_DEP_3)
	v_dual_mov_b32 v1, v0 :: v_dual_mov_b32 v2, v0
	v_dual_mov_b32 v3, v0 :: v_dual_mov_b32 v4, v0
	;; [unrolled: 1-line block ×20, first 2 shown]
	v_mov_b32_e32 v150, 0
	v_mov_b32_e32 v148, 0
	s_branch .LBB33_11
.LBB33_7:
                                        ; implicit-def: $vgpr16
                                        ; implicit-def: $vgpr113
                                        ; implicit-def: $vgpr117
                                        ; implicit-def: $vgpr118
                                        ; implicit-def: $vgpr115
                                        ; implicit-def: $vgpr116
                                        ; implicit-def: $vgpr114
	s_mov_b32 s29, 0
.LBB33_8:
	v_dual_mov_b32 v152, 0 :: v_dual_add_nc_u32 v3, 1, v109
	v_dual_mov_b32 v149, 0 :: v_dual_add_nc_u32 v14, 3, v109
	s_clause 0xe
	scratch_store_b32 off, v175, off offset:64
	scratch_store_b32 off, v174, off offset:60
	;; [unrolled: 1-line block ×15, first 2 shown]
	v_mul_hi_u32 v8, s20, v3
	s_mul_f32 s5, s27, 0x4f7ffffe
	v_mul_hi_u32 v16, s20, v14
	s_clause 0x1
	s_load_b128 s[24:27], s[0:1], 0x98
	s_load_b64 s[40:41], s[0:1], 0x8c
	s_sub_co_i32 s11, 0, s3
	s_cvt_u32_f32 s5, s5
	s_abs_i32 s36, s2
	s_mov_b32 s15, s37
	v_dual_mov_b32 v162, 0 :: v_dual_add_nc_u32 v15, v3, v8
	v_dual_mov_b32 v155, 0 :: v_dual_add_nc_u32 v16, v14, v16
	s_wait_alu 0xfffe
	s_mul_i32 s11, s11, s5
	s_delay_alu instid0(VALU_DEP_2)
	v_lshrrev_b32_e32 v15, s21, v15
	s_wait_alu 0xfffe
	s_mul_hi_u32 s11, s5, s11
	s_load_b64 s[42:43], s[0:1], 0xa8
	s_add_co_i32 s14, s5, s11
	v_lshrrev_b32_e32 v16, s21, v16
	v_mul_lo_u32 v15, v15, s22
	s_ashr_i32 s38, s2, 31
	s_ashr_i32 s33, s33, 31
	s_mul_u64 s[14:15], s[36:37], s[14:15]
	s_ashr_i32 s5, s39, 1
	v_lshrrev_b32_e32 v2, 3, v110
	s_xor_b32 s11, s38, s33
	s_mul_i32 s33, s15, s3
	s_wait_alu 0xfffe
	v_mul_lo_u32 v126, v0, s5
	v_sub_nc_u32_e32 v0, v3, v15
	v_mul_lo_u32 v3, v16, s22
	s_sub_co_i32 s33, s36, s33
	s_add_co_i32 s37, s15, 1
	s_wait_kmcnt 0x0
	s_ashr_i32 s14, s26, 2
	s_ashr_i32 s26, s40, 2
	s_sub_co_i32 s36, s33, s3
	v_lshl_add_u32 v12, v1, 2, v2
	s_cmp_ge_u32 s33, s3
	v_sub_nc_u32_e32 v14, v14, v3
	s_cselect_b32 s15, s37, s15
	s_cselect_b32 s33, s36, s33
	s_add_co_i32 s36, s15, 1
	v_mul_lo_u32 v3, s14, v12
	s_cmp_ge_u32 s33, s3
	v_mul_lo_u32 v1, s26, v12
	s_cselect_b32 s3, s36, s15
	s_mul_u64 s[24:25], s[24:25], s[28:29]
	s_wait_alu 0xfffe
	s_xor_b32 s3, s3, s11
	s_mul_u64 s[36:37], s[42:43], s[28:29]
	s_wait_alu 0xfffe
	s_sub_co_i32 s3, s3, s11
	v_dual_mov_b32 v156, 0 :: v_dual_add_nc_u32 v11, 2, v109
	v_dual_mov_b32 v153, 0 :: v_dual_add_nc_u32 v124, 0x4400, v4
	v_add_nc_u32_e32 v19, 4, v109
	v_add_nc_u32_e32 v135, 0x2400, v4
	v_ashrrev_i32_e32 v4, 31, v3
	s_add_nc_u64 s[6:7], s[6:7], s[24:25]
	s_wait_alu 0xfffe
	s_mul_i32 s24, s3, s41
	s_add_nc_u64 s[8:9], s[8:9], s[36:37]
	s_mul_i32 s36, s3, s27
	s_lshl_b32 s3, s26, 4
	v_mul_hi_u32 v10, s20, v11
	s_wait_alu 0xfffe
	v_dual_mov_b32 v154, 0 :: v_dual_add_nc_u32 v5, s3, v1
	v_lshlrev_b64_e32 v[72:73], 2, v[3:4]
	v_mov_b32_e32 v4, 0xfeffffff
	v_mul_hi_u32 v23, s20, v19
	s_delay_alu instid0(VALU_DEP_4) | instskip(SKIP_2) | instid1(VALU_DEP_3)
	v_dual_mov_b32 v160, 0 :: v_dual_add_nc_u32 v7, s3, v5
	v_dual_mov_b32 v151, 0 :: v_dual_add_nc_u32 v18, v11, v10
	;; [unrolled: 1-line block ×3, first 2 shown]
	v_ashrrev_i32_e32 v8, 31, v7
	v_add_nc_u32_e32 v15, v19, v23
	s_delay_alu instid0(VALU_DEP_4)
	v_lshrrev_b32_e32 v18, s21, v18
	v_ashrrev_i32_e32 v6, 31, v5
	v_add_nc_u32_e32 v21, 6, v109
	v_lshlrev_b64_e32 v[68:69], 2, v[7:8]
	v_mov_b32_e32 v8, 0xfeffffff
	v_lshrrev_b32_e32 v15, s21, v15
	v_mul_hi_u32 v24, s20, v20
	v_mul_lo_u32 v18, v18, s22
	v_dual_mov_b32 v159, 0 :: v_dual_add_nc_u32 v22, 7, v109
	s_delay_alu instid0(VALU_DEP_4)
	v_mul_lo_u32 v15, v15, s22
	v_lshlrev_b64_e32 v[66:67], 2, v[5:6]
	v_mov_b32_e32 v6, 0xfeffffff
	v_mul_hi_u32 v25, s20, v21
	v_dual_mov_b32 v148, 0 :: v_dual_lshlrev_b32 v119, 2, v110
	v_ashrrev_i32_e32 v2, 31, v1
	v_add_nc_u32_e32 v9, s3, v7
	v_dual_mov_b32 v161, 0 :: v_dual_add_nc_u32 v16, v20, v24
	v_mul_hi_u32 v26, s20, v22
	v_and_b32_e32 v17, 28, v119
	v_sub_nc_u32_e32 v11, v11, v18
	v_mul_lo_u32 v127, v0, s5
	v_sub_nc_u32_e32 v0, v19, v15
	v_add_nc_u32_e32 v23, v21, v25
	v_lshrrev_b32_e32 v16, s21, v16
	v_lshlrev_b64_e32 v[64:65], 2, v[1:2]
	v_mov_b32_e32 v2, 0xfeffffff
	v_ashrrev_i32_e32 v10, 31, v9
	s_lshl_b32 s3, s14, 4
	v_mul_lo_u32 v128, v11, s5
	v_mul_lo_u32 v130, v0, s5
	s_wait_alu 0xfffe
	v_dual_mov_b32 v0, 0xfeffffff :: v_dual_add_nc_u32 v11, s3, v3
	v_dual_mov_b32 v150, 0 :: v_dual_lshlrev_b32 v13, 2, v17
	v_dual_mov_b32 v163, 0 :: v_dual_add_nc_u32 v24, v22, v26
	v_mul_lo_u32 v16, v16, s22
	v_lshlrev_b64_e32 v[70:71], 2, v[9:10]
	v_mov_b32_e32 v10, 0xfeffffff
	v_lshrrev_b32_e32 v18, s21, v23
	v_mad_u32_u24 v120, 0x90, v12, v13
	v_lshl_or_b32 v134, v12, 7, v13
	v_ashrrev_i32_e32 v12, 31, v11
	v_lshrrev_b32_e32 v23, s21, v24
	v_mul_lo_u32 v18, v18, s22
	v_mul_lo_u32 v129, v14, s5
	v_sub_nc_u32_e32 v14, v20, v16
	v_lshlrev_b64_e32 v[74:75], 2, v[11:12]
	v_dual_mov_b32 v12, 0xfeffffff :: v_dual_add_nc_u32 v13, s3, v11
	v_mul_lo_u32 v23, v23, s22
	s_delay_alu instid0(VALU_DEP_4) | instskip(SKIP_4) | instid1(VALU_DEP_4)
	v_mul_lo_u32 v131, v14, s5
	v_sub_nc_u32_e32 v15, v21, v18
	v_mov_b32_e32 v28, 0
	v_ashrrev_i32_e32 v14, 31, v13
	v_dual_mov_b32 v1, 0xfeffffff :: v_dual_lshlrev_b32 v18, 4, v110
	v_mul_lo_u32 v132, v15, s5
	v_sub_nc_u32_e32 v16, v22, v23
	s_delay_alu instid0(VALU_DEP_4) | instskip(SKIP_2) | instid1(VALU_DEP_4)
	v_lshlrev_b64_e32 v[76:77], 2, v[13:14]
	v_dual_mov_b32 v14, 0xfeffffff :: v_dual_add_nc_u32 v15, s3, v13
	v_dual_mov_b32 v158, 0 :: v_dual_add_nc_u32 v121, 0x900, v120
	v_mul_lo_u32 v133, v16, s5
	v_dual_mov_b32 v113, 32 :: v_dual_add_nc_u32 v122, 0x1200, v120
	s_delay_alu instid0(VALU_DEP_4) | instskip(SKIP_3) | instid1(VALU_DEP_4)
	v_ashrrev_i32_e32 v16, 31, v15
	v_dual_mov_b32 v24, 0 :: v_dual_add_nc_u32 v123, 0x1b00, v120
	v_mul_u32_u24_e32 v125, 0x90, v110
	v_dual_mov_b32 v25, 0 :: v_dual_add_nc_u32 v136, 0x800, v134
	v_lshlrev_b64_e32 v[78:79], 2, v[15:16]
	v_dual_mov_b32 v30, 0 :: v_dual_add_nc_u32 v137, 0x1000, v134
	v_dual_mov_b32 v27, 0 :: v_dual_add_nc_u32 v138, 0x1800, v134
	v_dual_mov_b32 v32, 0 :: v_dual_lshlrev_b32 v139, 2, v17
	v_xor_b32_e32 v117, 16, v111
	v_xor_b32_e32 v118, 8, v111
	;; [unrolled: 1-line block ×5, first 2 shown]
	v_dual_mov_b32 v34, 0 :: v_dual_add_nc_u32 v141, 0x400, v119
	v_dual_mov_b32 v29, 0 :: v_dual_add_nc_u32 v142, 0x800, v119
	;; [unrolled: 1-line block ×7, first 2 shown]
	v_mov_b32_e32 v3, 0xfeffffff
	v_mov_b32_e32 v5, 0xfeffffff
	;; [unrolled: 1-line block ×6, first 2 shown]
	v_dual_mov_b32 v15, 0xfeffffff :: v_dual_mov_b32 v26, 0
	v_dual_mov_b32 v35, 0 :: v_dual_add_nc_u32 v140, v135, v18
	v_mov_b32_e32 v37, 0
	s_ashr_i32 s25, s24, 31
	s_ashr_i32 s37, s36, 31
	s_wait_alu 0xfffe
	s_add_nc_u64 s[6:7], s[6:7], s[24:25]
	s_add_nc_u64 s[8:9], s[8:9], s[36:37]
	s_ashr_i32 s27, s26, 31
	s_ashr_i32 s15, s14, 31
	s_add_nc_u64 s[20:21], s[0:1], 0xd0
.LBB33_9:                               ; =>This Inner Loop Header: Depth=1
	s_ashr_i32 s11, s10, 31
	v_dual_mov_b32 v194, v0 :: v_dual_mov_b32 v209, 0
	s_wait_alu 0xfffe
	s_mul_u64 s[24:25], s[10:11], s[26:27]
	v_dual_mov_b32 v178, v8 :: v_dual_mov_b32 v193, v1
	s_wait_alu 0xfffe
	s_lshl_b64 s[24:25], s[24:25], 2
	v_dual_mov_b32 v190, v25 :: v_dual_mov_b32 v189, v3
	s_wait_alu 0xfffe
	s_add_nc_u64 s[24:25], s[6:7], s[24:25]
	v_dual_mov_b32 v192, v24 :: v_dual_mov_b32 v191, v2
	s_wait_alu 0xfffe
	v_add_co_u32 v0, vcc_lo, s24, v64
	s_wait_alu 0xfffd
	v_add_co_ci_u32_e64 v1, null, s25, v65, vcc_lo
	v_dual_mov_b32 v164, v38 :: v_dual_mov_b32 v179, v31
	s_delay_alu instid0(VALU_DEP_3) | instskip(SKIP_1) | instid1(VALU_DEP_3)
	v_add_co_u32 v0, vcc_lo, v0, v139
	s_wait_alu 0xfffd
	v_add_co_ci_u32_e64 v1, null, 0, v1, vcc_lo
	v_dual_mov_b32 v166, v37 :: v_dual_mov_b32 v165, v15
	v_dual_mov_b32 v168, v36 :: v_dual_mov_b32 v167, v14
	global_load_b128 v[0:3], v[0:1], off
	v_dual_mov_b32 v170, v35 :: v_dual_mov_b32 v169, v13
	v_dual_mov_b32 v172, v34 :: v_dual_mov_b32 v171, v12
	;; [unrolled: 1-line block ×16, first 2 shown]
	v_mov_b32_e32 v196, 0
	s_wait_loadcnt 0x0
	ds_store_b128 v120, v[0:3]
	v_add_co_u32 v0, vcc_lo, s24, v66
	s_wait_alu 0xfffd
	v_add_co_ci_u32_e64 v1, null, s25, v67, vcc_lo
	s_delay_alu instid0(VALU_DEP_2) | instskip(SKIP_1) | instid1(VALU_DEP_2)
	v_add_co_u32 v0, vcc_lo, v0, v139
	s_wait_alu 0xfffd
	v_add_co_ci_u32_e64 v1, null, 0, v1, vcc_lo
	global_load_b128 v[0:3], v[0:1], off
	s_wait_loadcnt 0x0
	ds_store_b128 v121, v[0:3]
	v_add_co_u32 v0, vcc_lo, s24, v68
	s_wait_alu 0xfffd
	v_add_co_ci_u32_e64 v1, null, s25, v69, vcc_lo
	s_delay_alu instid0(VALU_DEP_2) | instskip(SKIP_1) | instid1(VALU_DEP_2)
	v_add_co_u32 v0, vcc_lo, v0, v139
	s_wait_alu 0xfffd
	v_add_co_ci_u32_e64 v1, null, 0, v1, vcc_lo
	global_load_b128 v[0:3], v[0:1], off
	s_wait_loadcnt 0x0
	ds_store_b128 v122, v[0:3]
	v_add_co_u32 v0, vcc_lo, s24, v70
	s_wait_alu 0xfffd
	v_add_co_ci_u32_e64 v1, null, s25, v71, vcc_lo
	s_mul_u64 s[24:25], s[10:11], s[14:15]
	v_add_co_u32 v0, vcc_lo, v0, v139
	s_wait_alu 0xfffd
	v_add_co_ci_u32_e64 v1, null, 0, v1, vcc_lo
	v_cmp_gt_i32_e32 vcc_lo, 32, v117
	s_wait_alu 0xfffe
	s_lshl_b64 s[24:25], s[24:25], 2
	global_load_b128 v[0:3], v[0:1], off
	s_wait_alu 0xfffe
	s_add_nc_u64 s[24:25], s[8:9], s[24:25]
	s_wait_loadcnt 0x0
	ds_store_b128 v123, v[0:3]
	s_wait_storecnt_dscnt 0x0
	s_barrier_signal -1
	s_barrier_wait -1
	global_inv scope:SCOPE_SE
	ds_load_b128 v[211:214], v125
	ds_load_b128 v[0:3], v125 offset:4608
	ds_load_b128 v[215:218], v124
	ds_load_b128 v[60:63], v124 offset:128
	ds_load_b128 v[56:59], v124 offset:256
	;; [unrolled: 1-line block ×15, first 2 shown]
	s_wait_dscnt 0xf
	;;#ASMSTART
	v_dot2_f32_f16 v209, v211, v215, v209
	;;#ASMEND
	;;#ASMSTART
	v_dot2_f32_f16 v209, v212, v216, v209
	;;#ASMEND
	;;#ASMSTART
	v_dot2_f32_f16 v209, v213, v217, v209
	;;#ASMEND
	;;#ASMSTART
	v_dot2_f32_f16 v209, v214, v218, v209
	;;#ASMEND
	s_wait_dscnt 0xe
	;;#ASMSTART
	v_dot2_f32_f16 v210, v211, v60, v210
	;;#ASMEND
	;;#ASMSTART
	v_dot2_f32_f16 v210, v212, v61, v210
	;;#ASMEND
	;;#ASMSTART
	v_dot2_f32_f16 v210, v213, v62, v210
	;;#ASMEND
	;;#ASMSTART
	v_dot2_f32_f16 v210, v214, v63, v210
	;;#ASMEND
	s_wait_dscnt 0xd
	;;#ASMSTART
	v_dot2_f32_f16 v208, v211, v56, v208
	;;#ASMEND
	;;#ASMSTART
	v_dot2_f32_f16 v208, v212, v57, v208
	;;#ASMEND
	;;#ASMSTART
	v_dot2_f32_f16 v208, v213, v58, v208
	;;#ASMEND
	;;#ASMSTART
	v_dot2_f32_f16 v208, v214, v59, v208
	;;#ASMEND
	s_wait_dscnt 0xc
	;;#ASMSTART
	v_dot2_f32_f16 v207, v211, v52, v207
	;;#ASMEND
	;;#ASMSTART
	v_dot2_f32_f16 v207, v212, v53, v207
	;;#ASMEND
	;;#ASMSTART
	v_dot2_f32_f16 v207, v213, v54, v207
	;;#ASMEND
	;;#ASMSTART
	v_dot2_f32_f16 v207, v214, v55, v207
	;;#ASMEND
	s_wait_dscnt 0xb
	;;#ASMSTART
	v_dot2_f32_f16 v206, v211, v48, v206
	;;#ASMEND
	;;#ASMSTART
	v_dot2_f32_f16 v206, v212, v49, v206
	;;#ASMEND
	;;#ASMSTART
	v_dot2_f32_f16 v206, v213, v50, v206
	;;#ASMEND
	;;#ASMSTART
	v_dot2_f32_f16 v206, v214, v51, v206
	;;#ASMEND
	s_wait_dscnt 0xa
	;;#ASMSTART
	v_dot2_f32_f16 v205, v211, v44, v205
	;;#ASMEND
	;;#ASMSTART
	v_dot2_f32_f16 v205, v212, v45, v205
	;;#ASMEND
	;;#ASMSTART
	v_dot2_f32_f16 v205, v213, v46, v205
	;;#ASMEND
	;;#ASMSTART
	v_dot2_f32_f16 v205, v214, v47, v205
	;;#ASMEND
	s_wait_dscnt 0x9
	;;#ASMSTART
	v_dot2_f32_f16 v204, v211, v40, v204
	;;#ASMEND
	;;#ASMSTART
	v_dot2_f32_f16 v204, v212, v41, v204
	;;#ASMEND
	;;#ASMSTART
	v_dot2_f32_f16 v204, v213, v42, v204
	;;#ASMEND
	;;#ASMSTART
	v_dot2_f32_f16 v204, v214, v43, v204
	;;#ASMEND
	s_wait_dscnt 0x8
	;;#ASMSTART
	v_dot2_f32_f16 v203, v211, v36, v203
	;;#ASMEND
	;;#ASMSTART
	v_dot2_f32_f16 v203, v212, v37, v203
	;;#ASMEND
	;;#ASMSTART
	v_dot2_f32_f16 v203, v213, v38, v203
	;;#ASMEND
	;;#ASMSTART
	v_dot2_f32_f16 v203, v214, v39, v203
	;;#ASMEND
	s_wait_dscnt 0x7
	;;#ASMSTART
	v_dot2_f32_f16 v202, v211, v32, v202
	;;#ASMEND
	;;#ASMSTART
	v_dot2_f32_f16 v202, v212, v33, v202
	;;#ASMEND
	;;#ASMSTART
	v_dot2_f32_f16 v202, v213, v34, v202
	;;#ASMEND
	;;#ASMSTART
	v_dot2_f32_f16 v202, v214, v35, v202
	;;#ASMEND
	s_wait_dscnt 0x6
	;;#ASMSTART
	v_dot2_f32_f16 v201, v211, v28, v201
	;;#ASMEND
	;;#ASMSTART
	v_dot2_f32_f16 v201, v212, v29, v201
	;;#ASMEND
	;;#ASMSTART
	v_dot2_f32_f16 v201, v213, v30, v201
	;;#ASMEND
	;;#ASMSTART
	v_dot2_f32_f16 v201, v214, v31, v201
	;;#ASMEND
	s_wait_dscnt 0x5
	;;#ASMSTART
	v_dot2_f32_f16 v200, v211, v24, v200
	;;#ASMEND
	;;#ASMSTART
	v_dot2_f32_f16 v200, v212, v25, v200
	;;#ASMEND
	;;#ASMSTART
	v_dot2_f32_f16 v200, v213, v26, v200
	;;#ASMEND
	;;#ASMSTART
	v_dot2_f32_f16 v200, v214, v27, v200
	;;#ASMEND
	s_wait_dscnt 0x4
	;;#ASMSTART
	v_dot2_f32_f16 v199, v211, v20, v199
	;;#ASMEND
	;;#ASMSTART
	v_dot2_f32_f16 v199, v212, v21, v199
	;;#ASMEND
	;;#ASMSTART
	v_dot2_f32_f16 v199, v213, v22, v199
	;;#ASMEND
	;;#ASMSTART
	v_dot2_f32_f16 v199, v214, v23, v199
	;;#ASMEND
	s_wait_dscnt 0x3
	;;#ASMSTART
	v_dot2_f32_f16 v198, v211, v16, v198
	;;#ASMEND
	;;#ASMSTART
	v_dot2_f32_f16 v198, v212, v17, v198
	;;#ASMEND
	;;#ASMSTART
	v_dot2_f32_f16 v198, v213, v18, v198
	;;#ASMEND
	;;#ASMSTART
	v_dot2_f32_f16 v198, v214, v19, v198
	;;#ASMEND
	s_wait_dscnt 0x2
	;;#ASMSTART
	v_dot2_f32_f16 v197, v211, v12, v197
	;;#ASMEND
	;;#ASMSTART
	v_dot2_f32_f16 v197, v212, v13, v197
	;;#ASMEND
	;;#ASMSTART
	v_dot2_f32_f16 v197, v213, v14, v197
	;;#ASMEND
	;;#ASMSTART
	v_dot2_f32_f16 v197, v214, v15, v197
	;;#ASMEND
	s_wait_dscnt 0x1
	;;#ASMSTART
	v_dot2_f32_f16 v196, v211, v8, v196
	;;#ASMEND
	;;#ASMSTART
	v_dot2_f32_f16 v196, v212, v9, v196
	;;#ASMEND
	;;#ASMSTART
	v_dot2_f32_f16 v196, v213, v10, v196
	;;#ASMEND
	;;#ASMSTART
	v_dot2_f32_f16 v196, v214, v11, v196
	;;#ASMEND
	s_wait_dscnt 0x0
	;;#ASMSTART
	v_dot2_f32_f16 v195, v211, v4, v195
	;;#ASMEND
	;;#ASMSTART
	v_dot2_f32_f16 v195, v212, v5, v195
	;;#ASMEND
	;;#ASMSTART
	v_dot2_f32_f16 v195, v213, v6, v195
	;;#ASMEND
	v_mov_b32_e32 v212, 0
	;;#ASMSTART
	v_dot2_f32_f16 v195, v214, v7, v195
	;;#ASMEND
	;;#ASMSTART
	v_dot2_f32_f16 v212, v0, v215, v212
	;;#ASMEND
	;;#ASMSTART
	v_dot2_f32_f16 v212, v1, v216, v212
	;;#ASMEND
	;;#ASMSTART
	v_dot2_f32_f16 v212, v2, v217, v212
	;;#ASMEND
	v_mov_b32_e32 v211, 0
	;;#ASMSTART
	v_dot2_f32_f16 v212, v3, v218, v212
	;;#ASMEND
	;; [unrolled: 13-line block ×16, first 2 shown]
	;;#ASMSTART
	v_dot2_f32_f16 v15, v0, v4, v15
	;;#ASMEND
	;;#ASMSTART
	v_dot2_f32_f16 v15, v1, v5, v15
	;;#ASMEND
	;;#ASMSTART
	v_dot2_f32_f16 v15, v2, v6, v15
	;;#ASMEND
	;;#ASMSTART
	v_dot2_f32_f16 v15, v3, v7, v15
	;;#ASMEND
	ds_load_b128 v[0:3], v125 offset:16
	ds_load_b128 v[4:7], v125 offset:4624
	;; [unrolled: 1-line block ×18, first 2 shown]
	s_wait_dscnt 0xf
	;;#ASMSTART
	v_dot2_f32_f16 v209, v0, v8, v209
	;;#ASMEND
	;;#ASMSTART
	v_dot2_f32_f16 v209, v1, v9, v209
	;;#ASMEND
	;;#ASMSTART
	v_dot2_f32_f16 v209, v2, v10, v209
	;;#ASMEND
	;;#ASMSTART
	v_dot2_f32_f16 v209, v3, v11, v209
	;;#ASMEND
	s_wait_dscnt 0xe
	;;#ASMSTART
	v_dot2_f32_f16 v210, v0, v213, v210
	;;#ASMEND
	;;#ASMSTART
	v_dot2_f32_f16 v210, v1, v214, v210
	;;#ASMEND
	;;#ASMSTART
	v_dot2_f32_f16 v210, v2, v215, v210
	;;#ASMEND
	;;#ASMSTART
	v_dot2_f32_f16 v210, v3, v216, v210
	;;#ASMEND
	s_wait_dscnt 0xd
	;;#ASMSTART
	v_dot2_f32_f16 v208, v0, v217, v208
	;;#ASMEND
	;;#ASMSTART
	v_dot2_f32_f16 v208, v1, v218, v208
	;;#ASMEND
	;;#ASMSTART
	v_dot2_f32_f16 v208, v2, v219, v208
	;;#ASMEND
	;;#ASMSTART
	v_dot2_f32_f16 v208, v3, v220, v208
	;;#ASMEND
	s_wait_dscnt 0xc
	;;#ASMSTART
	v_dot2_f32_f16 v207, v0, v221, v207
	;;#ASMEND
	;;#ASMSTART
	v_dot2_f32_f16 v207, v1, v222, v207
	;;#ASMEND
	;;#ASMSTART
	v_dot2_f32_f16 v207, v2, v223, v207
	;;#ASMEND
	;;#ASMSTART
	v_dot2_f32_f16 v207, v3, v224, v207
	;;#ASMEND
	s_wait_dscnt 0xb
	;;#ASMSTART
	v_dot2_f32_f16 v206, v0, v225, v206
	;;#ASMEND
	;;#ASMSTART
	v_dot2_f32_f16 v206, v1, v226, v206
	;;#ASMEND
	;;#ASMSTART
	v_dot2_f32_f16 v206, v2, v227, v206
	;;#ASMEND
	;;#ASMSTART
	v_dot2_f32_f16 v206, v3, v228, v206
	;;#ASMEND
	s_wait_dscnt 0xa
	;;#ASMSTART
	v_dot2_f32_f16 v205, v0, v229, v205
	;;#ASMEND
	;;#ASMSTART
	v_dot2_f32_f16 v205, v1, v230, v205
	;;#ASMEND
	;;#ASMSTART
	v_dot2_f32_f16 v205, v2, v231, v205
	;;#ASMEND
	;;#ASMSTART
	v_dot2_f32_f16 v205, v3, v232, v205
	;;#ASMEND
	s_wait_dscnt 0x9
	;;#ASMSTART
	v_dot2_f32_f16 v204, v0, v233, v204
	;;#ASMEND
	;;#ASMSTART
	v_dot2_f32_f16 v204, v1, v234, v204
	;;#ASMEND
	;;#ASMSTART
	v_dot2_f32_f16 v204, v2, v235, v204
	;;#ASMEND
	;;#ASMSTART
	v_dot2_f32_f16 v204, v3, v236, v204
	;;#ASMEND
	s_wait_dscnt 0x8
	;;#ASMSTART
	v_dot2_f32_f16 v203, v0, v237, v203
	;;#ASMEND
	;;#ASMSTART
	v_dot2_f32_f16 v203, v1, v238, v203
	;;#ASMEND
	;;#ASMSTART
	v_dot2_f32_f16 v203, v2, v239, v203
	;;#ASMEND
	;;#ASMSTART
	v_dot2_f32_f16 v203, v3, v240, v203
	;;#ASMEND
	s_wait_dscnt 0x7
	;;#ASMSTART
	v_dot2_f32_f16 v202, v0, v241, v202
	;;#ASMEND
	;;#ASMSTART
	v_dot2_f32_f16 v202, v1, v242, v202
	;;#ASMEND
	;;#ASMSTART
	v_dot2_f32_f16 v202, v2, v243, v202
	;;#ASMEND
	;;#ASMSTART
	v_dot2_f32_f16 v202, v3, v244, v202
	;;#ASMEND
	s_wait_dscnt 0x6
	;;#ASMSTART
	v_dot2_f32_f16 v201, v0, v245, v201
	;;#ASMEND
	;;#ASMSTART
	v_dot2_f32_f16 v201, v1, v246, v201
	;;#ASMEND
	;;#ASMSTART
	v_dot2_f32_f16 v201, v2, v247, v201
	;;#ASMEND
	;;#ASMSTART
	v_dot2_f32_f16 v201, v3, v248, v201
	;;#ASMEND
	s_wait_dscnt 0x5
	;;#ASMSTART
	v_dot2_f32_f16 v200, v0, v249, v200
	;;#ASMEND
	;;#ASMSTART
	v_dot2_f32_f16 v200, v1, v250, v200
	;;#ASMEND
	;;#ASMSTART
	v_dot2_f32_f16 v200, v2, v251, v200
	;;#ASMEND
	;;#ASMSTART
	v_dot2_f32_f16 v200, v3, v252, v200
	;;#ASMEND
	s_wait_dscnt 0x4
	;;#ASMSTART
	v_dot2_f32_f16 v199, v0, v80, v199
	;;#ASMEND
	;;#ASMSTART
	v_dot2_f32_f16 v199, v1, v81, v199
	;;#ASMEND
	;;#ASMSTART
	v_dot2_f32_f16 v199, v2, v82, v199
	;;#ASMEND
	;;#ASMSTART
	v_dot2_f32_f16 v199, v3, v83, v199
	;;#ASMEND
	s_wait_dscnt 0x3
	;;#ASMSTART
	v_dot2_f32_f16 v198, v0, v84, v198
	;;#ASMEND
	;;#ASMSTART
	v_dot2_f32_f16 v198, v1, v85, v198
	;;#ASMEND
	;;#ASMSTART
	v_dot2_f32_f16 v198, v2, v86, v198
	;;#ASMEND
	;;#ASMSTART
	v_dot2_f32_f16 v198, v3, v87, v198
	;;#ASMEND
	s_wait_dscnt 0x2
	;;#ASMSTART
	v_dot2_f32_f16 v197, v0, v88, v197
	;;#ASMEND
	;;#ASMSTART
	v_dot2_f32_f16 v197, v1, v89, v197
	;;#ASMEND
	;;#ASMSTART
	v_dot2_f32_f16 v197, v2, v90, v197
	;;#ASMEND
	;;#ASMSTART
	v_dot2_f32_f16 v197, v3, v91, v197
	;;#ASMEND
	s_wait_dscnt 0x1
	;;#ASMSTART
	v_dot2_f32_f16 v196, v0, v92, v196
	;;#ASMEND
	;;#ASMSTART
	v_dot2_f32_f16 v196, v1, v93, v196
	;;#ASMEND
	;;#ASMSTART
	v_dot2_f32_f16 v196, v2, v94, v196
	;;#ASMEND
	;;#ASMSTART
	v_dot2_f32_f16 v196, v3, v95, v196
	;;#ASMEND
	s_wait_dscnt 0x0
	;;#ASMSTART
	v_dot2_f32_f16 v195, v0, v96, v195
	;;#ASMEND
	;;#ASMSTART
	v_dot2_f32_f16 v195, v1, v97, v195
	;;#ASMEND
	;;#ASMSTART
	v_dot2_f32_f16 v195, v2, v98, v195
	;;#ASMEND
	;;#ASMSTART
	v_dot2_f32_f16 v195, v3, v99, v195
	;;#ASMEND
	;;#ASMSTART
	v_dot2_f32_f16 v212, v4, v8, v212
	;;#ASMEND
	;;#ASMSTART
	v_dot2_f32_f16 v212, v5, v9, v212
	;;#ASMEND
	;; [unrolled: 3-line block ×64, first 2 shown]
	ds_load_b128 v[0:3], v125 offset:32
	ds_load_b128 v[4:7], v125 offset:4640
	;; [unrolled: 1-line block ×18, first 2 shown]
	s_wait_dscnt 0xf
	;;#ASMSTART
	v_dot2_f32_f16 v209, v0, v8, v209
	;;#ASMEND
	;;#ASMSTART
	v_dot2_f32_f16 v209, v1, v9, v209
	;;#ASMEND
	;;#ASMSTART
	v_dot2_f32_f16 v209, v2, v10, v209
	;;#ASMEND
	;;#ASMSTART
	v_dot2_f32_f16 v209, v3, v11, v209
	;;#ASMEND
	s_wait_dscnt 0xe
	;;#ASMSTART
	v_dot2_f32_f16 v210, v0, v80, v210
	;;#ASMEND
	;;#ASMSTART
	v_dot2_f32_f16 v210, v1, v81, v210
	;;#ASMEND
	;;#ASMSTART
	v_dot2_f32_f16 v210, v2, v82, v210
	;;#ASMEND
	;;#ASMSTART
	v_dot2_f32_f16 v210, v3, v83, v210
	;;#ASMEND
	;; [unrolled: 13-line block ×16, first 2 shown]
	;;#ASMSTART
	v_dot2_f32_f16 v212, v4, v8, v212
	;;#ASMEND
	;;#ASMSTART
	v_dot2_f32_f16 v212, v5, v9, v212
	;;#ASMEND
	;; [unrolled: 3-line block ×64, first 2 shown]
	ds_load_b128 v[0:3], v125 offset:48
	ds_load_b128 v[4:7], v125 offset:4656
	;; [unrolled: 1-line block ×18, first 2 shown]
	s_wait_dscnt 0xf
	;;#ASMSTART
	v_dot2_f32_f16 v209, v0, v8, v209
	;;#ASMEND
	;;#ASMSTART
	v_dot2_f32_f16 v209, v1, v9, v209
	;;#ASMEND
	;;#ASMSTART
	v_dot2_f32_f16 v209, v2, v10, v209
	;;#ASMEND
	;;#ASMSTART
	v_dot2_f32_f16 v209, v3, v11, v209
	;;#ASMEND
	s_wait_dscnt 0xe
	;;#ASMSTART
	v_dot2_f32_f16 v210, v0, v80, v210
	;;#ASMEND
	;;#ASMSTART
	v_dot2_f32_f16 v210, v1, v81, v210
	;;#ASMEND
	;;#ASMSTART
	v_dot2_f32_f16 v210, v2, v82, v210
	;;#ASMEND
	;;#ASMSTART
	v_dot2_f32_f16 v210, v3, v83, v210
	;;#ASMEND
	;; [unrolled: 13-line block ×16, first 2 shown]
	;;#ASMSTART
	v_dot2_f32_f16 v212, v4, v8, v212
	;;#ASMEND
	;;#ASMSTART
	v_dot2_f32_f16 v212, v5, v9, v212
	;;#ASMEND
	;;#ASMSTART
	v_dot2_f32_f16 v212, v6, v10, v212
	;;#ASMEND
	;;#ASMSTART
	v_dot2_f32_f16 v212, v7, v11, v212
	;;#ASMEND
	;;#ASMSTART
	v_dot2_f32_f16 v211, v4, v80, v211
	;;#ASMEND
	;;#ASMSTART
	v_dot2_f32_f16 v211, v5, v81, v211
	;;#ASMEND
	;;#ASMSTART
	v_dot2_f32_f16 v211, v6, v82, v211
	;;#ASMEND
	;;#ASMSTART
	v_dot2_f32_f16 v211, v7, v83, v211
	;;#ASMEND
	;;#ASMSTART
	v_dot2_f32_f16 v60, v4, v84, v60
	;;#ASMEND
	;;#ASMSTART
	v_dot2_f32_f16 v60, v5, v85, v60
	;;#ASMEND
	;;#ASMSTART
	v_dot2_f32_f16 v60, v6, v86, v60
	;;#ASMEND
	;;#ASMSTART
	v_dot2_f32_f16 v60, v7, v87, v60
	;;#ASMEND
	;;#ASMSTART
	v_dot2_f32_f16 v56, v4, v88, v56
	;;#ASMEND
	;;#ASMSTART
	v_dot2_f32_f16 v56, v5, v89, v56
	;;#ASMEND
	;;#ASMSTART
	v_dot2_f32_f16 v56, v6, v90, v56
	;;#ASMEND
	;;#ASMSTART
	v_dot2_f32_f16 v56, v7, v91, v56
	;;#ASMEND
	;;#ASMSTART
	v_dot2_f32_f16 v52, v4, v92, v52
	;;#ASMEND
	;;#ASMSTART
	v_dot2_f32_f16 v52, v5, v93, v52
	;;#ASMEND
	;;#ASMSTART
	v_dot2_f32_f16 v52, v6, v94, v52
	;;#ASMEND
	;;#ASMSTART
	v_dot2_f32_f16 v52, v7, v95, v52
	;;#ASMEND
	;;#ASMSTART
	v_dot2_f32_f16 v48, v4, v96, v48
	;;#ASMEND
	;;#ASMSTART
	v_dot2_f32_f16 v48, v5, v97, v48
	;;#ASMEND
	;;#ASMSTART
	v_dot2_f32_f16 v48, v6, v98, v48
	;;#ASMEND
	;;#ASMSTART
	v_dot2_f32_f16 v48, v7, v99, v48
	;;#ASMEND
	;;#ASMSTART
	v_dot2_f32_f16 v44, v4, v213, v44
	;;#ASMEND
	;;#ASMSTART
	v_dot2_f32_f16 v44, v5, v214, v44
	;;#ASMEND
	;;#ASMSTART
	v_dot2_f32_f16 v44, v6, v215, v44
	;;#ASMEND
	;;#ASMSTART
	v_dot2_f32_f16 v44, v7, v216, v44
	;;#ASMEND
	;;#ASMSTART
	v_dot2_f32_f16 v40, v4, v217, v40
	;;#ASMEND
	;;#ASMSTART
	v_dot2_f32_f16 v40, v5, v218, v40
	;;#ASMEND
	;;#ASMSTART
	v_dot2_f32_f16 v40, v6, v219, v40
	;;#ASMEND
	;;#ASMSTART
	v_dot2_f32_f16 v40, v7, v220, v40
	;;#ASMEND
	;;#ASMSTART
	v_dot2_f32_f16 v36, v4, v221, v36
	;;#ASMEND
	;;#ASMSTART
	v_dot2_f32_f16 v36, v5, v222, v36
	;;#ASMEND
	;;#ASMSTART
	v_dot2_f32_f16 v36, v6, v223, v36
	;;#ASMEND
	;;#ASMSTART
	v_dot2_f32_f16 v36, v7, v224, v36
	;;#ASMEND
	;;#ASMSTART
	v_dot2_f32_f16 v32, v4, v225, v32
	;;#ASMEND
	;;#ASMSTART
	v_dot2_f32_f16 v32, v5, v226, v32
	;;#ASMEND
	;;#ASMSTART
	v_dot2_f32_f16 v32, v6, v227, v32
	;;#ASMEND
	;;#ASMSTART
	v_dot2_f32_f16 v32, v7, v228, v32
	;;#ASMEND
	;;#ASMSTART
	v_dot2_f32_f16 v28, v4, v229, v28
	;;#ASMEND
	;;#ASMSTART
	v_dot2_f32_f16 v28, v5, v230, v28
	;;#ASMEND
	;;#ASMSTART
	v_dot2_f32_f16 v28, v6, v231, v28
	;;#ASMEND
	;;#ASMSTART
	v_dot2_f32_f16 v28, v7, v232, v28
	;;#ASMEND
	;;#ASMSTART
	v_dot2_f32_f16 v24, v4, v233, v24
	;;#ASMEND
	;;#ASMSTART
	v_dot2_f32_f16 v24, v5, v234, v24
	;;#ASMEND
	;;#ASMSTART
	v_dot2_f32_f16 v24, v6, v235, v24
	;;#ASMEND
	;;#ASMSTART
	v_dot2_f32_f16 v24, v7, v236, v24
	;;#ASMEND
	;;#ASMSTART
	v_dot2_f32_f16 v20, v4, v237, v20
	;;#ASMEND
	;;#ASMSTART
	v_dot2_f32_f16 v20, v5, v238, v20
	;;#ASMEND
	;;#ASMSTART
	v_dot2_f32_f16 v20, v6, v239, v20
	;;#ASMEND
	;;#ASMSTART
	v_dot2_f32_f16 v20, v7, v240, v20
	;;#ASMEND
	;;#ASMSTART
	v_dot2_f32_f16 v16, v4, v241, v16
	;;#ASMEND
	;;#ASMSTART
	v_dot2_f32_f16 v16, v5, v242, v16
	;;#ASMEND
	;;#ASMSTART
	v_dot2_f32_f16 v16, v6, v243, v16
	;;#ASMEND
	;;#ASMSTART
	v_dot2_f32_f16 v16, v7, v244, v16
	;;#ASMEND
	;;#ASMSTART
	v_dot2_f32_f16 v14, v4, v245, v14
	;;#ASMEND
	;;#ASMSTART
	v_dot2_f32_f16 v14, v5, v246, v14
	;;#ASMEND
	;;#ASMSTART
	v_dot2_f32_f16 v14, v6, v247, v14
	;;#ASMEND
	;;#ASMSTART
	v_dot2_f32_f16 v14, v7, v248, v14
	;;#ASMEND
	;;#ASMSTART
	v_dot2_f32_f16 v15, v4, v249, v15
	;;#ASMEND
	;;#ASMSTART
	v_dot2_f32_f16 v15, v5, v250, v15
	;;#ASMEND
	;;#ASMSTART
	v_dot2_f32_f16 v15, v6, v251, v15
	;;#ASMEND
	;;#ASMSTART
	v_dot2_f32_f16 v15, v7, v252, v15
	;;#ASMEND
	ds_load_b128 v[0:3], v125 offset:64
	ds_load_b128 v[4:7], v125 offset:4672
	;; [unrolled: 1-line block ×18, first 2 shown]
	s_wait_dscnt 0xf
	;;#ASMSTART
	v_dot2_f32_f16 v209, v0, v8, v209
	;;#ASMEND
	;;#ASMSTART
	v_dot2_f32_f16 v209, v1, v9, v209
	;;#ASMEND
	;;#ASMSTART
	v_dot2_f32_f16 v209, v2, v10, v209
	;;#ASMEND
	;;#ASMSTART
	v_dot2_f32_f16 v209, v3, v11, v209
	;;#ASMEND
	s_wait_dscnt 0xe
	;;#ASMSTART
	v_dot2_f32_f16 v210, v0, v80, v210
	;;#ASMEND
	;;#ASMSTART
	v_dot2_f32_f16 v210, v1, v81, v210
	;;#ASMEND
	;;#ASMSTART
	v_dot2_f32_f16 v210, v2, v82, v210
	;;#ASMEND
	;;#ASMSTART
	v_dot2_f32_f16 v210, v3, v83, v210
	;;#ASMEND
	;; [unrolled: 13-line block ×16, first 2 shown]
	;;#ASMSTART
	v_dot2_f32_f16 v212, v4, v8, v212
	;;#ASMEND
	;;#ASMSTART
	v_dot2_f32_f16 v212, v5, v9, v212
	;;#ASMEND
	;; [unrolled: 3-line block ×64, first 2 shown]
	ds_load_b128 v[0:3], v125 offset:80
	ds_load_b128 v[4:7], v125 offset:4688
	;; [unrolled: 1-line block ×18, first 2 shown]
	s_wait_dscnt 0xf
	;;#ASMSTART
	v_dot2_f32_f16 v209, v0, v8, v209
	;;#ASMEND
	;;#ASMSTART
	v_dot2_f32_f16 v209, v1, v9, v209
	;;#ASMEND
	;;#ASMSTART
	v_dot2_f32_f16 v209, v2, v10, v209
	;;#ASMEND
	;;#ASMSTART
	v_dot2_f32_f16 v209, v3, v11, v209
	;;#ASMEND
	s_wait_dscnt 0xe
	;;#ASMSTART
	v_dot2_f32_f16 v210, v0, v80, v210
	;;#ASMEND
	;;#ASMSTART
	v_dot2_f32_f16 v210, v1, v81, v210
	;;#ASMEND
	;;#ASMSTART
	v_dot2_f32_f16 v210, v2, v82, v210
	;;#ASMEND
	;;#ASMSTART
	v_dot2_f32_f16 v210, v3, v83, v210
	;;#ASMEND
	;; [unrolled: 13-line block ×16, first 2 shown]
	;;#ASMSTART
	v_dot2_f32_f16 v212, v4, v8, v212
	;;#ASMEND
	;;#ASMSTART
	v_dot2_f32_f16 v212, v5, v9, v212
	;;#ASMEND
	;; [unrolled: 3-line block ×64, first 2 shown]
	ds_load_b128 v[0:3], v125 offset:96
	ds_load_b128 v[4:7], v125 offset:4704
	;; [unrolled: 1-line block ×18, first 2 shown]
	s_wait_dscnt 0xf
	;;#ASMSTART
	v_dot2_f32_f16 v209, v0, v8, v209
	;;#ASMEND
	;;#ASMSTART
	v_dot2_f32_f16 v209, v1, v9, v209
	;;#ASMEND
	;;#ASMSTART
	v_dot2_f32_f16 v209, v2, v10, v209
	;;#ASMEND
	;;#ASMSTART
	v_dot2_f32_f16 v209, v3, v11, v209
	;;#ASMEND
	s_wait_dscnt 0xe
	;;#ASMSTART
	v_dot2_f32_f16 v210, v0, v80, v210
	;;#ASMEND
	;;#ASMSTART
	v_dot2_f32_f16 v210, v1, v81, v210
	;;#ASMEND
	;;#ASMSTART
	v_dot2_f32_f16 v210, v2, v82, v210
	;;#ASMEND
	;;#ASMSTART
	v_dot2_f32_f16 v210, v3, v83, v210
	;;#ASMEND
	s_wait_dscnt 0xd
	;;#ASMSTART
	v_dot2_f32_f16 v208, v0, v84, v208
	;;#ASMEND
	;;#ASMSTART
	v_dot2_f32_f16 v208, v1, v85, v208
	;;#ASMEND
	;;#ASMSTART
	v_dot2_f32_f16 v208, v2, v86, v208
	;;#ASMEND
	;;#ASMSTART
	v_dot2_f32_f16 v208, v3, v87, v208
	;;#ASMEND
	s_wait_dscnt 0xc
	;;#ASMSTART
	v_dot2_f32_f16 v207, v0, v88, v207
	;;#ASMEND
	;;#ASMSTART
	v_dot2_f32_f16 v207, v1, v89, v207
	;;#ASMEND
	;;#ASMSTART
	v_dot2_f32_f16 v207, v2, v90, v207
	;;#ASMEND
	;;#ASMSTART
	v_dot2_f32_f16 v207, v3, v91, v207
	;;#ASMEND
	s_wait_dscnt 0xb
	;;#ASMSTART
	v_dot2_f32_f16 v206, v0, v92, v206
	;;#ASMEND
	;;#ASMSTART
	v_dot2_f32_f16 v206, v1, v93, v206
	;;#ASMEND
	;;#ASMSTART
	v_dot2_f32_f16 v206, v2, v94, v206
	;;#ASMEND
	;;#ASMSTART
	v_dot2_f32_f16 v206, v3, v95, v206
	;;#ASMEND
	s_wait_dscnt 0xa
	;;#ASMSTART
	v_dot2_f32_f16 v205, v0, v96, v205
	;;#ASMEND
	;;#ASMSTART
	v_dot2_f32_f16 v205, v1, v97, v205
	;;#ASMEND
	;;#ASMSTART
	v_dot2_f32_f16 v205, v2, v98, v205
	;;#ASMEND
	;;#ASMSTART
	v_dot2_f32_f16 v205, v3, v99, v205
	;;#ASMEND
	s_wait_dscnt 0x9
	;;#ASMSTART
	v_dot2_f32_f16 v204, v0, v213, v204
	;;#ASMEND
	;;#ASMSTART
	v_dot2_f32_f16 v204, v1, v214, v204
	;;#ASMEND
	;;#ASMSTART
	v_dot2_f32_f16 v204, v2, v215, v204
	;;#ASMEND
	;;#ASMSTART
	v_dot2_f32_f16 v204, v3, v216, v204
	;;#ASMEND
	s_wait_dscnt 0x8
	;;#ASMSTART
	v_dot2_f32_f16 v203, v0, v217, v203
	;;#ASMEND
	;;#ASMSTART
	v_dot2_f32_f16 v203, v1, v218, v203
	;;#ASMEND
	;;#ASMSTART
	v_dot2_f32_f16 v203, v2, v219, v203
	;;#ASMEND
	;;#ASMSTART
	v_dot2_f32_f16 v203, v3, v220, v203
	;;#ASMEND
	s_wait_dscnt 0x7
	;;#ASMSTART
	v_dot2_f32_f16 v202, v0, v221, v202
	;;#ASMEND
	;;#ASMSTART
	v_dot2_f32_f16 v202, v1, v222, v202
	;;#ASMEND
	;;#ASMSTART
	v_dot2_f32_f16 v202, v2, v223, v202
	;;#ASMEND
	;;#ASMSTART
	v_dot2_f32_f16 v202, v3, v224, v202
	;;#ASMEND
	s_wait_dscnt 0x6
	;;#ASMSTART
	v_dot2_f32_f16 v201, v0, v225, v201
	;;#ASMEND
	;;#ASMSTART
	v_dot2_f32_f16 v201, v1, v226, v201
	;;#ASMEND
	;;#ASMSTART
	v_dot2_f32_f16 v201, v2, v227, v201
	;;#ASMEND
	;;#ASMSTART
	v_dot2_f32_f16 v201, v3, v228, v201
	;;#ASMEND
	s_wait_dscnt 0x5
	;;#ASMSTART
	v_dot2_f32_f16 v200, v0, v229, v200
	;;#ASMEND
	;;#ASMSTART
	v_dot2_f32_f16 v200, v1, v230, v200
	;;#ASMEND
	;;#ASMSTART
	v_dot2_f32_f16 v200, v2, v231, v200
	;;#ASMEND
	;;#ASMSTART
	v_dot2_f32_f16 v200, v3, v232, v200
	;;#ASMEND
	s_wait_dscnt 0x4
	;;#ASMSTART
	v_dot2_f32_f16 v199, v0, v233, v199
	;;#ASMEND
	;;#ASMSTART
	v_dot2_f32_f16 v199, v1, v234, v199
	;;#ASMEND
	;;#ASMSTART
	v_dot2_f32_f16 v199, v2, v235, v199
	;;#ASMEND
	;;#ASMSTART
	v_dot2_f32_f16 v199, v3, v236, v199
	;;#ASMEND
	s_wait_dscnt 0x3
	;;#ASMSTART
	v_dot2_f32_f16 v198, v0, v237, v198
	;;#ASMEND
	;;#ASMSTART
	v_dot2_f32_f16 v198, v1, v238, v198
	;;#ASMEND
	;;#ASMSTART
	v_dot2_f32_f16 v198, v2, v239, v198
	;;#ASMEND
	;;#ASMSTART
	v_dot2_f32_f16 v198, v3, v240, v198
	;;#ASMEND
	s_wait_dscnt 0x2
	;;#ASMSTART
	v_dot2_f32_f16 v197, v0, v241, v197
	;;#ASMEND
	;;#ASMSTART
	v_dot2_f32_f16 v197, v1, v242, v197
	;;#ASMEND
	;;#ASMSTART
	v_dot2_f32_f16 v197, v2, v243, v197
	;;#ASMEND
	;;#ASMSTART
	v_dot2_f32_f16 v197, v3, v244, v197
	;;#ASMEND
	s_wait_dscnt 0x1
	;;#ASMSTART
	v_dot2_f32_f16 v196, v0, v245, v196
	;;#ASMEND
	;;#ASMSTART
	v_dot2_f32_f16 v196, v1, v246, v196
	;;#ASMEND
	;;#ASMSTART
	v_dot2_f32_f16 v196, v2, v247, v196
	;;#ASMEND
	;;#ASMSTART
	v_dot2_f32_f16 v196, v3, v248, v196
	;;#ASMEND
	s_wait_dscnt 0x0
	;;#ASMSTART
	v_dot2_f32_f16 v195, v0, v249, v195
	;;#ASMEND
	;;#ASMSTART
	v_dot2_f32_f16 v195, v1, v250, v195
	;;#ASMEND
	;;#ASMSTART
	v_dot2_f32_f16 v195, v2, v251, v195
	;;#ASMEND
	;;#ASMSTART
	v_dot2_f32_f16 v195, v3, v252, v195
	;;#ASMEND
	;;#ASMSTART
	v_dot2_f32_f16 v212, v4, v8, v212
	;;#ASMEND
	;;#ASMSTART
	v_dot2_f32_f16 v212, v5, v9, v212
	;;#ASMEND
	;; [unrolled: 3-line block ×64, first 2 shown]
	ds_load_b128 v[0:3], v125 offset:112
	ds_load_b128 v[4:7], v125 offset:4720
	;; [unrolled: 1-line block ×18, first 2 shown]
	s_wait_dscnt 0xf
	;;#ASMSTART
	v_dot2_f32_f16 v209, v0, v8, v209
	;;#ASMEND
	;;#ASMSTART
	v_dot2_f32_f16 v209, v1, v9, v209
	;;#ASMEND
	;;#ASMSTART
	v_dot2_f32_f16 v209, v2, v10, v209
	;;#ASMEND
	;;#ASMSTART
	v_dot2_f32_f16 v209, v3, v11, v209
	;;#ASMEND
	s_wait_dscnt 0xe
	;;#ASMSTART
	v_dot2_f32_f16 v210, v0, v80, v210
	;;#ASMEND
	;;#ASMSTART
	v_dot2_f32_f16 v210, v1, v81, v210
	;;#ASMEND
	;;#ASMSTART
	v_dot2_f32_f16 v210, v2, v82, v210
	;;#ASMEND
	;;#ASMSTART
	v_dot2_f32_f16 v210, v3, v83, v210
	;;#ASMEND
	;; [unrolled: 13-line block ×16, first 2 shown]
	;;#ASMSTART
	v_dot2_f32_f16 v212, v4, v8, v212
	;;#ASMEND
	s_wait_alu 0xfffd
	v_cndmask_b32_e32 v0, v111, v117, vcc_lo
	v_cmp_gt_i32_e32 vcc_lo, 32, v118
	;;#ASMSTART
	v_dot2_f32_f16 v212, v5, v9, v212
	;;#ASMEND
	;;#ASMSTART
	v_dot2_f32_f16 v212, v6, v10, v212
	;;#ASMEND
	;; [unrolled: 3-line block ×6, first 2 shown]
	s_wait_alu 0xfffd
	v_dual_cndmask_b32 v0, v111, v118 :: v_dual_lshlrev_b32 v39, 2, v0
	v_cmp_gt_i32_e32 vcc_lo, 32, v115
	;;#ASMSTART
	v_dot2_f32_f16 v211, v7, v83, v211
	;;#ASMEND
	;;#ASMSTART
	v_dot2_f32_f16 v60, v4, v84, v60
	;;#ASMEND
	;; [unrolled: 3-line block ×7, first 2 shown]
	s_wait_alu 0xfffd
	v_dual_cndmask_b32 v0, v111, v115 :: v_dual_lshlrev_b32 v41, 2, v0
	v_cmp_gt_i32_e32 vcc_lo, 32, v116
	;;#ASMSTART
	v_dot2_f32_f16 v56, v6, v90, v56
	;;#ASMEND
	;;#ASMSTART
	v_dot2_f32_f16 v56, v7, v91, v56
	;;#ASMEND
	;;#ASMSTART
	v_dot2_f32_f16 v52, v4, v92, v52
	;;#ASMEND
	;;#ASMSTART
	v_dot2_f32_f16 v52, v5, v93, v52
	;;#ASMEND
	;;#ASMSTART
	v_dot2_f32_f16 v52, v6, v94, v52
	;;#ASMEND
	;;#ASMSTART
	v_dot2_f32_f16 v52, v7, v95, v52
	;;#ASMEND
	;;#ASMSTART
	v_dot2_f32_f16 v48, v4, v96, v48
	;;#ASMEND
	v_lshlrev_b32_e32 v53, 2, v0
	s_wait_alu 0xfffd
	v_cndmask_b32_e32 v0, v111, v116, vcc_lo
	v_cmp_gt_i32_e32 vcc_lo, 32, v114
	;;#ASMSTART
	v_dot2_f32_f16 v48, v5, v97, v48
	;;#ASMEND
	;;#ASMSTART
	v_dot2_f32_f16 v48, v6, v98, v48
	;;#ASMEND
	;;#ASMSTART
	v_dot2_f32_f16 v48, v7, v99, v48
	;;#ASMEND
	;;#ASMSTART
	v_dot2_f32_f16 v44, v4, v213, v44
	;;#ASMEND
	;;#ASMSTART
	v_dot2_f32_f16 v44, v5, v214, v44
	;;#ASMEND
	;;#ASMSTART
	v_dot2_f32_f16 v44, v6, v215, v44
	;;#ASMEND
	v_add_nc_u32_e32 v17, s10, v110
	v_lshlrev_b32_e32 v54, 2, v0
	s_wait_alu 0xfffd
	v_cndmask_b32_e32 v0, v111, v114, vcc_lo
	;;#ASMSTART
	v_dot2_f32_f16 v44, v7, v216, v44
	;;#ASMEND
	;;#ASMSTART
	v_dot2_f32_f16 v40, v4, v217, v40
	;;#ASMEND
	;; [unrolled: 3-line block ×7, first 2 shown]
	v_lshlrev_b32_e32 v55, 2, v0
	v_add_nc_u32_e32 v0, v17, v126
	;;#ASMSTART
	v_dot2_f32_f16 v36, v6, v223, v36
	;;#ASMEND
	;;#ASMSTART
	v_dot2_f32_f16 v36, v7, v224, v36
	;;#ASMEND
	;; [unrolled: 3-line block ×7, first 2 shown]
	v_ashrrev_i32_e32 v1, 31, v0
	;;#ASMSTART
	v_dot2_f32_f16 v28, v5, v230, v28
	;;#ASMEND
	;;#ASMSTART
	v_dot2_f32_f16 v28, v6, v231, v28
	;;#ASMEND
	;; [unrolled: 3-line block ×6, first 2 shown]
	v_lshlrev_b64_e32 v[0:1], 1, v[0:1]
	;;#ASMSTART
	v_dot2_f32_f16 v24, v7, v236, v24
	;;#ASMEND
	;;#ASMSTART
	v_dot2_f32_f16 v20, v4, v237, v20
	;;#ASMEND
	;; [unrolled: 3-line block ×8, first 2 shown]
	v_add_co_u32 v0, vcc_lo, s34, v0
	;;#ASMSTART
	v_dot2_f32_f16 v16, v7, v244, v16
	;;#ASMEND
	;;#ASMSTART
	v_dot2_f32_f16 v14, v4, v245, v14
	;;#ASMEND
	;; [unrolled: 3-line block ×3, first 2 shown]
	s_wait_alu 0xfffd
	v_add_co_ci_u32_e64 v1, null, s35, v1, vcc_lo
	;;#ASMSTART
	v_dot2_f32_f16 v14, v6, v247, v14
	;;#ASMEND
	;;#ASMSTART
	v_dot2_f32_f16 v14, v7, v248, v14
	;;#ASMEND
	;; [unrolled: 3-line block ×6, first 2 shown]
	s_clause 0x1
	global_load_u16 v2, v[0:1], off
	global_load_u16 v0, v[0:1], off offset:64
	s_wait_loadcnt 0x1
	v_cvt_f32_f16_e32 v2, v2
	s_wait_loadcnt 0x0
	v_cvt_f32_f16_e32 v1, v0
	s_delay_alu instid0(VALU_DEP_1) | instskip(SKIP_1) | instid1(VALU_DEP_2)
	v_dual_add_f32 v26, v210, v2 :: v_dual_add_f32 v25, v211, v1
	v_dual_add_f32 v61, v209, v2 :: v_dual_add_f32 v58, v212, v1
	;; [unrolled: 1-line block ×3, first 2 shown]
	s_delay_alu instid0(VALU_DEP_2) | instskip(NEXT) | instid1(VALU_DEP_2)
	v_add_f32_e32 v3, 0x40051340, v61
	v_max3_num_f32 v1, v193, v2, v1
	ds_bpermute_b32 v2, v39, v1
	s_wait_dscnt 0x0
	v_max_num_f32_e32 v2, v2, v2
	s_delay_alu instid0(VALU_DEP_1) | instskip(SKIP_3) | instid1(VALU_DEP_1)
	v_max_num_f32_e32 v1, v1, v2
	ds_bpermute_b32 v2, v41, v1
	s_wait_dscnt 0x0
	v_max_num_f32_e32 v2, v2, v2
	v_max_num_f32_e32 v1, v1, v2
	ds_bpermute_b32 v2, v53, v1
	s_wait_dscnt 0x0
	v_max_num_f32_e32 v2, v2, v2
	s_delay_alu instid0(VALU_DEP_1) | instskip(SKIP_3) | instid1(VALU_DEP_1)
	v_max_num_f32_e32 v1, v1, v2
	ds_bpermute_b32 v2, v54, v1
	s_wait_dscnt 0x0
	v_max_num_f32_e32 v2, v2, v2
	v_max_num_f32_e32 v1, v1, v2
	ds_bpermute_b32 v2, v55, v1
	s_wait_dscnt 0x0
	v_max_num_f32_e32 v2, v2, v2
	s_delay_alu instid0(VALU_DEP_1) | instskip(SKIP_2) | instid1(VALU_DEP_3)
	v_max_num_f32_e32 v1, v1, v2
	v_add_f32_e32 v0, 0x40051340, v58
	v_add_nc_u32_e32 v2, v17, v127
	v_sub_f32_e32 v25, v25, v1
	s_delay_alu instid0(VALU_DEP_3) | instskip(SKIP_3) | instid1(VALU_DEP_1)
	v_max3_num_f32 v0, v194, v3, v0
	ds_bpermute_b32 v3, v39, v0
	s_wait_dscnt 0x0
	v_max_num_f32_e32 v3, v3, v3
	v_max_num_f32_e32 v0, v0, v3
	ds_bpermute_b32 v3, v41, v0
	s_wait_dscnt 0x0
	v_max_num_f32_e32 v3, v3, v3
	s_delay_alu instid0(VALU_DEP_1) | instskip(SKIP_3) | instid1(VALU_DEP_1)
	v_max_num_f32_e32 v0, v0, v3
	ds_bpermute_b32 v3, v53, v0
	s_wait_dscnt 0x0
	v_max_num_f32_e32 v3, v3, v3
	v_max_num_f32_e32 v0, v0, v3
	ds_bpermute_b32 v3, v54, v0
	s_wait_dscnt 0x0
	v_max_num_f32_e32 v3, v3, v3
	s_delay_alu instid0(VALU_DEP_1) | instskip(SKIP_3) | instid1(VALU_DEP_1)
	v_max_num_f32_e32 v0, v0, v3
	ds_bpermute_b32 v3, v55, v0
	s_wait_dscnt 0x0
	v_max_num_f32_e32 v3, v3, v3
	v_max_num_f32_e32 v0, v0, v3
	v_ashrrev_i32_e32 v3, 31, v2
	s_delay_alu instid0(VALU_DEP_1) | instskip(NEXT) | instid1(VALU_DEP_1)
	v_lshlrev_b64_e32 v[2:3], 1, v[2:3]
	v_add_co_u32 v2, vcc_lo, s34, v2
	s_wait_alu 0xfffd
	s_delay_alu instid0(VALU_DEP_2)
	v_add_co_ci_u32_e64 v3, null, s35, v3, vcc_lo
	s_clause 0x1
	global_load_u16 v4, v[2:3], off
	global_load_u16 v2, v[2:3], off offset:64
	s_wait_loadcnt 0x1
	v_cvt_f32_f16_e32 v4, v4
	s_wait_loadcnt 0x0
	v_cvt_f32_f16_e32 v3, v2
	s_delay_alu instid0(VALU_DEP_1) | instskip(SKIP_2) | instid1(VALU_DEP_3)
	v_dual_add_f32 v42, v207, v4 :: v_dual_add_f32 v27, v56, v3
	v_add_f32_e32 v59, v208, v4
	v_dual_add_f32 v57, v60, v3 :: v_dual_sub_f32 v26, v26, v1
	v_dual_add_f32 v4, 0x40051340, v42 :: v_dual_add_f32 v3, 0x40051340, v27
	s_delay_alu instid0(VALU_DEP_2) | instskip(NEXT) | instid1(VALU_DEP_2)
	v_dual_add_f32 v5, 0x40051340, v59 :: v_dual_add_f32 v2, 0x40051340, v57
	v_max3_num_f32 v3, v189, v4, v3
	s_delay_alu instid0(VALU_DEP_2) | instskip(SKIP_4) | instid1(VALU_DEP_1)
	v_max3_num_f32 v2, v191, v5, v2
	ds_bpermute_b32 v4, v39, v3
	ds_bpermute_b32 v5, v39, v2
	s_wait_dscnt 0x0
	v_dual_max_num_f32 v4, v4, v4 :: v_dual_max_num_f32 v5, v5, v5
	v_dual_max_num_f32 v3, v3, v4 :: v_dual_max_num_f32 v2, v2, v5
	ds_bpermute_b32 v4, v41, v3
	ds_bpermute_b32 v5, v41, v2
	s_wait_dscnt 0x0
	v_dual_max_num_f32 v4, v4, v4 :: v_dual_max_num_f32 v5, v5, v5
	s_delay_alu instid0(VALU_DEP_1) | instskip(SKIP_4) | instid1(VALU_DEP_1)
	v_dual_max_num_f32 v3, v3, v4 :: v_dual_max_num_f32 v2, v2, v5
	ds_bpermute_b32 v4, v53, v3
	ds_bpermute_b32 v5, v53, v2
	s_wait_dscnt 0x0
	v_dual_max_num_f32 v4, v4, v4 :: v_dual_max_num_f32 v5, v5, v5
	v_dual_max_num_f32 v3, v3, v4 :: v_dual_max_num_f32 v2, v2, v5
	ds_bpermute_b32 v4, v54, v3
	ds_bpermute_b32 v5, v54, v2
	s_wait_dscnt 0x0
	v_dual_max_num_f32 v4, v4, v4 :: v_dual_max_num_f32 v5, v5, v5
	s_delay_alu instid0(VALU_DEP_1) | instskip(SKIP_4) | instid1(VALU_DEP_1)
	v_dual_max_num_f32 v3, v3, v4 :: v_dual_max_num_f32 v2, v2, v5
	ds_bpermute_b32 v4, v55, v3
	ds_bpermute_b32 v5, v55, v2
	s_wait_dscnt 0x0
	v_dual_max_num_f32 v4, v4, v4 :: v_dual_max_num_f32 v5, v5, v5
	v_max_num_f32_e32 v3, v3, v4
	v_add_nc_u32_e32 v4, v17, v128
	s_delay_alu instid0(VALU_DEP_2) | instskip(NEXT) | instid1(VALU_DEP_2)
	v_dual_max_num_f32 v2, v2, v5 :: v_dual_sub_f32 v27, v27, v3
	v_ashrrev_i32_e32 v5, 31, v4
	s_delay_alu instid0(VALU_DEP_1) | instskip(NEXT) | instid1(VALU_DEP_1)
	v_lshlrev_b64_e32 v[4:5], 1, v[4:5]
	v_add_co_u32 v4, vcc_lo, s34, v4
	s_wait_alu 0xfffd
	s_delay_alu instid0(VALU_DEP_2)
	v_add_co_ci_u32_e64 v5, null, s35, v5, vcc_lo
	s_clause 0x1
	global_load_u16 v6, v[4:5], off
	global_load_u16 v4, v[4:5], off offset:64
	s_wait_loadcnt 0x1
	v_cvt_f32_f16_e32 v6, v6
	s_wait_loadcnt 0x0
	v_cvt_f32_f16_e32 v5, v4
	s_delay_alu instid0(VALU_DEP_1) | instskip(SKIP_1) | instid1(VALU_DEP_2)
	v_dual_add_f32 v50, v205, v6 :: v_dual_add_f32 v29, v48, v5
	v_add_f32_e32 v51, v206, v6
	v_dual_add_f32 v43, v52, v5 :: v_dual_add_f32 v6, 0x40051340, v50
	s_delay_alu instid0(VALU_DEP_3) | instskip(NEXT) | instid1(VALU_DEP_3)
	v_add_f32_e32 v5, 0x40051340, v29
	v_add_f32_e32 v7, 0x40051340, v51
	s_delay_alu instid0(VALU_DEP_2) | instskip(SKIP_3) | instid1(VALU_DEP_1)
	v_max3_num_f32 v5, v185, v6, v5
	ds_bpermute_b32 v6, v39, v5
	s_wait_dscnt 0x0
	v_max_num_f32_e32 v6, v6, v6
	v_max_num_f32_e32 v5, v5, v6
	ds_bpermute_b32 v6, v41, v5
	s_wait_dscnt 0x0
	v_max_num_f32_e32 v6, v6, v6
	s_delay_alu instid0(VALU_DEP_1) | instskip(SKIP_3) | instid1(VALU_DEP_1)
	v_max_num_f32_e32 v5, v5, v6
	ds_bpermute_b32 v6, v53, v5
	s_wait_dscnt 0x0
	v_max_num_f32_e32 v6, v6, v6
	v_max_num_f32_e32 v5, v5, v6
	ds_bpermute_b32 v6, v54, v5
	s_wait_dscnt 0x0
	v_max_num_f32_e32 v6, v6, v6
	s_delay_alu instid0(VALU_DEP_1) | instskip(SKIP_3) | instid1(VALU_DEP_1)
	v_max_num_f32_e32 v5, v5, v6
	ds_bpermute_b32 v6, v55, v5
	s_wait_dscnt 0x0
	v_max_num_f32_e32 v6, v6, v6
	v_dual_add_f32 v4, 0x40051340, v43 :: v_dual_max_num_f32 v5, v5, v6
	s_delay_alu instid0(VALU_DEP_1) | instskip(SKIP_1) | instid1(VALU_DEP_3)
	v_max3_num_f32 v4, v187, v7, v4
	v_add_nc_u32_e32 v6, v17, v129
	v_sub_f32_e32 v29, v29, v5
	ds_bpermute_b32 v7, v39, v4
	s_wait_dscnt 0x0
	v_max_num_f32_e32 v7, v7, v7
	s_delay_alu instid0(VALU_DEP_1) | instskip(SKIP_3) | instid1(VALU_DEP_1)
	v_max_num_f32_e32 v4, v4, v7
	ds_bpermute_b32 v7, v41, v4
	s_wait_dscnt 0x0
	v_max_num_f32_e32 v7, v7, v7
	v_max_num_f32_e32 v4, v4, v7
	ds_bpermute_b32 v7, v53, v4
	s_wait_dscnt 0x0
	v_max_num_f32_e32 v7, v7, v7
	s_delay_alu instid0(VALU_DEP_1) | instskip(SKIP_3) | instid1(VALU_DEP_1)
	v_max_num_f32_e32 v4, v4, v7
	ds_bpermute_b32 v7, v54, v4
	s_wait_dscnt 0x0
	v_max_num_f32_e32 v7, v7, v7
	v_max_num_f32_e32 v4, v4, v7
	ds_bpermute_b32 v7, v55, v4
	s_wait_dscnt 0x0
	v_max_num_f32_e32 v7, v7, v7
	s_delay_alu instid0(VALU_DEP_1) | instskip(SKIP_1) | instid1(VALU_DEP_1)
	v_max_num_f32_e32 v4, v4, v7
	v_ashrrev_i32_e32 v7, 31, v6
	v_lshlrev_b64_e32 v[6:7], 1, v[6:7]
	s_delay_alu instid0(VALU_DEP_1) | instskip(SKIP_1) | instid1(VALU_DEP_2)
	v_add_co_u32 v6, vcc_lo, s34, v6
	s_wait_alu 0xfffd
	v_add_co_ci_u32_e64 v7, null, s35, v7, vcc_lo
	s_clause 0x1
	global_load_u16 v8, v[6:7], off
	global_load_u16 v6, v[6:7], off offset:64
	s_wait_loadcnt 0x1
	v_cvt_f32_f16_e32 v8, v8
	s_wait_loadcnt 0x0
	v_cvt_f32_f16_e32 v7, v6
	s_delay_alu instid0(VALU_DEP_1) | instskip(SKIP_2) | instid1(VALU_DEP_3)
	v_dual_add_f32 v46, v203, v8 :: v_dual_add_f32 v31, v40, v7
	v_add_f32_e32 v45, v204, v8
	v_add_f32_e32 v30, v44, v7
	v_dual_add_f32 v8, 0x40051340, v46 :: v_dual_add_f32 v7, 0x40051340, v31
	s_delay_alu instid0(VALU_DEP_2) | instskip(NEXT) | instid1(VALU_DEP_2)
	v_dual_add_f32 v9, 0x40051340, v45 :: v_dual_add_f32 v6, 0x40051340, v30
	v_max3_num_f32 v7, v181, v8, v7
	s_delay_alu instid0(VALU_DEP_2) | instskip(SKIP_4) | instid1(VALU_DEP_1)
	v_max3_num_f32 v6, v183, v9, v6
	ds_bpermute_b32 v8, v39, v7
	ds_bpermute_b32 v9, v39, v6
	s_wait_dscnt 0x0
	v_dual_max_num_f32 v8, v8, v8 :: v_dual_max_num_f32 v9, v9, v9
	v_dual_max_num_f32 v7, v7, v8 :: v_dual_max_num_f32 v6, v6, v9
	ds_bpermute_b32 v8, v41, v7
	ds_bpermute_b32 v9, v41, v6
	s_wait_dscnt 0x0
	v_dual_max_num_f32 v8, v8, v8 :: v_dual_max_num_f32 v9, v9, v9
	s_delay_alu instid0(VALU_DEP_1) | instskip(SKIP_4) | instid1(VALU_DEP_1)
	v_dual_max_num_f32 v7, v7, v8 :: v_dual_max_num_f32 v6, v6, v9
	ds_bpermute_b32 v8, v53, v7
	ds_bpermute_b32 v9, v53, v6
	s_wait_dscnt 0x0
	v_dual_max_num_f32 v8, v8, v8 :: v_dual_max_num_f32 v9, v9, v9
	v_dual_max_num_f32 v7, v7, v8 :: v_dual_max_num_f32 v6, v6, v9
	ds_bpermute_b32 v8, v54, v7
	ds_bpermute_b32 v9, v54, v6
	s_wait_dscnt 0x0
	v_dual_max_num_f32 v8, v8, v8 :: v_dual_max_num_f32 v9, v9, v9
	s_delay_alu instid0(VALU_DEP_1)
	v_dual_max_num_f32 v7, v7, v8 :: v_dual_max_num_f32 v6, v6, v9
	ds_bpermute_b32 v8, v55, v7
	ds_bpermute_b32 v9, v55, v6
	s_wait_dscnt 0x0
	v_dual_max_num_f32 v8, v8, v8 :: v_dual_max_num_f32 v9, v9, v9
	v_dual_sub_f32 v42, v42, v3 :: v_dual_sub_f32 v43, v43, v4
	s_delay_alu instid0(VALU_DEP_2) | instskip(NEXT) | instid1(VALU_DEP_1)
	v_dual_max_num_f32 v7, v7, v8 :: v_dual_add_nc_u32 v8, v17, v130
	v_dual_max_num_f32 v6, v6, v9 :: v_dual_sub_f32 v31, v31, v7
	s_delay_alu instid0(VALU_DEP_2) | instskip(NEXT) | instid1(VALU_DEP_1)
	v_ashrrev_i32_e32 v9, 31, v8
	v_lshlrev_b64_e32 v[8:9], 1, v[8:9]
	s_delay_alu instid0(VALU_DEP_1) | instskip(SKIP_1) | instid1(VALU_DEP_2)
	v_add_co_u32 v8, vcc_lo, s34, v8
	s_wait_alu 0xfffd
	v_add_co_ci_u32_e64 v9, null, s35, v9, vcc_lo
	s_clause 0x1
	global_load_u16 v10, v[8:9], off
	global_load_u16 v8, v[8:9], off offset:64
	s_wait_loadcnt 0x1
	v_cvt_f32_f16_e32 v10, v10
	s_wait_loadcnt 0x0
	v_cvt_f32_f16_e32 v9, v8
	s_delay_alu instid0(VALU_DEP_1) | instskip(SKIP_2) | instid1(VALU_DEP_3)
	v_dual_add_f32 v34, v201, v10 :: v_dual_add_f32 v33, v32, v9
	v_dual_add_f32 v47, v202, v10 :: v_dual_add_f32 v38, v36, v9
	v_sub_f32_e32 v46, v46, v7
	v_dual_add_f32 v10, 0x40051340, v34 :: v_dual_add_f32 v9, 0x40051340, v33
	s_delay_alu instid0(VALU_DEP_3) | instskip(NEXT) | instid1(VALU_DEP_2)
	v_dual_add_f32 v11, 0x40051340, v47 :: v_dual_add_f32 v8, 0x40051340, v38
	v_max3_num_f32 v9, v177, v10, v9
	s_delay_alu instid0(VALU_DEP_2) | instskip(SKIP_4) | instid1(VALU_DEP_1)
	v_max3_num_f32 v8, v178, v11, v8
	ds_bpermute_b32 v10, v39, v9
	ds_bpermute_b32 v11, v39, v8
	s_wait_dscnt 0x0
	v_dual_max_num_f32 v10, v10, v10 :: v_dual_max_num_f32 v11, v11, v11
	v_dual_max_num_f32 v9, v9, v10 :: v_dual_max_num_f32 v8, v8, v11
	ds_bpermute_b32 v10, v41, v9
	ds_bpermute_b32 v11, v41, v8
	s_wait_dscnt 0x0
	v_dual_max_num_f32 v10, v10, v10 :: v_dual_max_num_f32 v11, v11, v11
	s_delay_alu instid0(VALU_DEP_1) | instskip(SKIP_4) | instid1(VALU_DEP_1)
	v_dual_max_num_f32 v9, v9, v10 :: v_dual_max_num_f32 v8, v8, v11
	ds_bpermute_b32 v10, v53, v9
	ds_bpermute_b32 v11, v53, v8
	s_wait_dscnt 0x0
	v_dual_max_num_f32 v10, v10, v10 :: v_dual_max_num_f32 v11, v11, v11
	v_dual_max_num_f32 v9, v9, v10 :: v_dual_max_num_f32 v8, v8, v11
	ds_bpermute_b32 v10, v54, v9
	ds_bpermute_b32 v11, v54, v8
	s_wait_dscnt 0x0
	v_dual_max_num_f32 v10, v10, v10 :: v_dual_max_num_f32 v11, v11, v11
	s_delay_alu instid0(VALU_DEP_1)
	v_dual_max_num_f32 v9, v9, v10 :: v_dual_max_num_f32 v8, v8, v11
	ds_bpermute_b32 v10, v55, v9
	ds_bpermute_b32 v11, v55, v8
	s_wait_dscnt 0x0
	v_dual_max_num_f32 v10, v10, v10 :: v_dual_max_num_f32 v11, v11, v11
	v_dual_sub_f32 v50, v50, v5 :: v_dual_sub_f32 v45, v45, v6
	s_delay_alu instid0(VALU_DEP_2) | instskip(SKIP_1) | instid1(VALU_DEP_4)
	v_max_num_f32_e32 v9, v9, v10
	v_add_nc_u32_e32 v10, v17, v131
	v_max_num_f32_e32 v8, v8, v11
	s_delay_alu instid0(VALU_DEP_3) | instskip(NEXT) | instid1(VALU_DEP_3)
	v_dual_sub_f32 v30, v30, v6 :: v_dual_sub_f32 v33, v33, v9
	v_ashrrev_i32_e32 v11, 31, v10
	s_delay_alu instid0(VALU_DEP_1) | instskip(NEXT) | instid1(VALU_DEP_1)
	v_lshlrev_b64_e32 v[10:11], 1, v[10:11]
	v_add_co_u32 v10, vcc_lo, s34, v10
	s_wait_alu 0xfffd
	s_delay_alu instid0(VALU_DEP_2)
	v_add_co_ci_u32_e64 v11, null, s35, v11, vcc_lo
	s_clause 0x1
	global_load_u16 v12, v[10:11], off
	global_load_u16 v10, v[10:11], off offset:64
	s_wait_loadcnt 0x1
	v_cvt_f32_f16_e32 v12, v12
	s_wait_loadcnt 0x0
	v_cvt_f32_f16_e32 v11, v10
	s_delay_alu instid0(VALU_DEP_1) | instskip(SKIP_2) | instid1(VALU_DEP_3)
	v_dual_add_f32 v36, v199, v12 :: v_dual_add_f32 v35, v24, v11
	v_add_f32_e32 v49, v200, v12
	v_dual_add_f32 v37, v28, v11 :: v_dual_sub_f32 v34, v34, v9
	v_dual_add_f32 v12, 0x40051340, v36 :: v_dual_add_f32 v11, 0x40051340, v35
	s_delay_alu instid0(VALU_DEP_3) | instskip(NEXT) | instid1(VALU_DEP_3)
	v_add_f32_e32 v13, 0x40051340, v49
	v_add_f32_e32 v10, 0x40051340, v37
	s_delay_alu instid0(VALU_DEP_3) | instskip(NEXT) | instid1(VALU_DEP_2)
	v_max3_num_f32 v11, v173, v12, v11
	v_max3_num_f32 v10, v175, v13, v10
	ds_bpermute_b32 v12, v39, v11
	ds_bpermute_b32 v13, v39, v10
	s_wait_dscnt 0x0
	v_dual_max_num_f32 v12, v12, v12 :: v_dual_max_num_f32 v13, v13, v13
	s_delay_alu instid0(VALU_DEP_1) | instskip(SKIP_4) | instid1(VALU_DEP_1)
	v_dual_max_num_f32 v11, v11, v12 :: v_dual_max_num_f32 v10, v10, v13
	ds_bpermute_b32 v12, v41, v11
	ds_bpermute_b32 v13, v41, v10
	s_wait_dscnt 0x0
	v_dual_max_num_f32 v12, v12, v12 :: v_dual_max_num_f32 v13, v13, v13
	v_dual_max_num_f32 v11, v11, v12 :: v_dual_max_num_f32 v10, v10, v13
	ds_bpermute_b32 v12, v53, v11
	ds_bpermute_b32 v13, v53, v10
	s_wait_dscnt 0x0
	v_dual_max_num_f32 v12, v12, v12 :: v_dual_max_num_f32 v13, v13, v13
	s_delay_alu instid0(VALU_DEP_1) | instskip(SKIP_4) | instid1(VALU_DEP_1)
	v_dual_max_num_f32 v11, v11, v12 :: v_dual_max_num_f32 v10, v10, v13
	ds_bpermute_b32 v12, v54, v11
	ds_bpermute_b32 v13, v54, v10
	s_wait_dscnt 0x0
	v_dual_max_num_f32 v12, v12, v12 :: v_dual_max_num_f32 v13, v13, v13
	v_dual_max_num_f32 v11, v11, v12 :: v_dual_max_num_f32 v10, v10, v13
	ds_bpermute_b32 v12, v55, v11
	ds_bpermute_b32 v13, v55, v10
	s_wait_dscnt 0x0
	v_dual_max_num_f32 v12, v12, v12 :: v_dual_max_num_f32 v13, v13, v13
	v_sub_f32_e32 v38, v38, v8
	s_delay_alu instid0(VALU_DEP_2) | instskip(SKIP_1) | instid1(VALU_DEP_2)
	v_max_num_f32_e32 v11, v11, v12
	v_add_nc_u32_e32 v12, v17, v132
	v_dual_max_num_f32 v10, v10, v13 :: v_dual_sub_f32 v35, v35, v11
	s_delay_alu instid0(VALU_DEP_2) | instskip(NEXT) | instid1(VALU_DEP_1)
	v_ashrrev_i32_e32 v13, 31, v12
	v_lshlrev_b64_e32 v[12:13], 1, v[12:13]
	s_delay_alu instid0(VALU_DEP_1) | instskip(SKIP_1) | instid1(VALU_DEP_2)
	v_add_co_u32 v12, vcc_lo, s34, v12
	s_wait_alu 0xfffd
	v_add_co_ci_u32_e64 v13, null, s35, v13, vcc_lo
	s_clause 0x1
	global_load_u16 v18, v[12:13], off
	global_load_u16 v12, v[12:13], off offset:64
	s_wait_loadcnt 0x1
	v_cvt_f32_f16_e32 v18, v18
	s_wait_loadcnt 0x0
	v_cvt_f32_f16_e32 v13, v12
	s_delay_alu instid0(VALU_DEP_1) | instskip(SKIP_1) | instid1(VALU_DEP_1)
	v_dual_add_f32 v21, v197, v18 :: v_dual_add_f32 v22, v20, v13
	v_dual_add_f32 v20, v16, v13 :: v_dual_add_f32 v23, v198, v18
	;; [unrolled: 1-line block ×3, first 2 shown]
	s_delay_alu instid0(VALU_DEP_2) | instskip(NEXT) | instid1(VALU_DEP_2)
	v_add_f32_e32 v19, 0x40051340, v23
	v_max3_num_f32 v13, v169, v18, v13
	ds_bpermute_b32 v16, v39, v13
	s_wait_dscnt 0x0
	v_max_num_f32_e32 v16, v16, v16
	s_delay_alu instid0(VALU_DEP_1) | instskip(NEXT) | instid1(VALU_DEP_1)
	v_dual_add_f32 v12, 0x40051340, v22 :: v_dual_max_num_f32 v13, v13, v16
	v_max3_num_f32 v12, v171, v19, v12
	ds_bpermute_b32 v16, v41, v13
	ds_bpermute_b32 v19, v39, v12
	s_wait_dscnt 0x0
	v_dual_max_num_f32 v16, v16, v16 :: v_dual_max_num_f32 v19, v19, v19
	s_delay_alu instid0(VALU_DEP_1) | instskip(SKIP_4) | instid1(VALU_DEP_1)
	v_dual_max_num_f32 v13, v13, v16 :: v_dual_max_num_f32 v12, v12, v19
	ds_bpermute_b32 v16, v53, v13
	ds_bpermute_b32 v19, v41, v12
	s_wait_dscnt 0x0
	v_dual_max_num_f32 v16, v16, v16 :: v_dual_max_num_f32 v19, v19, v19
	v_dual_max_num_f32 v13, v13, v16 :: v_dual_max_num_f32 v12, v12, v19
	ds_bpermute_b32 v16, v54, v13
	ds_bpermute_b32 v19, v53, v12
	s_wait_dscnt 0x0
	v_dual_max_num_f32 v16, v16, v16 :: v_dual_max_num_f32 v19, v19, v19
	s_delay_alu instid0(VALU_DEP_1) | instskip(SKIP_4) | instid1(VALU_DEP_1)
	v_dual_max_num_f32 v13, v13, v16 :: v_dual_max_num_f32 v12, v12, v19
	ds_bpermute_b32 v16, v55, v13
	ds_bpermute_b32 v19, v54, v12
	s_wait_dscnt 0x0
	v_dual_max_num_f32 v16, v16, v16 :: v_dual_max_num_f32 v19, v19, v19
	v_dual_max_num_f32 v13, v13, v16 :: v_dual_max_num_f32 v12, v12, v19
	v_add_nc_u32_e32 v16, v17, v133
	s_delay_alu instid0(VALU_DEP_2) | instskip(SKIP_2) | instid1(VALU_DEP_1)
	v_sub_f32_e32 v21, v21, v13
	ds_bpermute_b32 v19, v55, v12
	v_ashrrev_i32_e32 v17, 31, v16
	v_lshlrev_b64_e32 v[16:17], 1, v[16:17]
	s_delay_alu instid0(VALU_DEP_1) | instskip(SKIP_1) | instid1(VALU_DEP_2)
	v_add_co_u32 v16, vcc_lo, s34, v16
	s_wait_alu 0xfffd
	v_add_co_ci_u32_e64 v17, null, s35, v17, vcc_lo
	s_clause 0x1
	global_load_u16 v18, v[16:17], off
	global_load_u16 v16, v[16:17], off offset:64
	s_wait_dscnt 0x0
	v_max_num_f32_e32 v19, v19, v19
	s_wait_loadcnt 0x0
	s_barrier_signal -1
	s_barrier_wait -1
	global_inv scope:SCOPE_SE
	v_sub_f32_e32 v37, v37, v10
	v_cvt_f32_f16_e32 v24, v18
	v_cvt_f32_f16_e32 v16, v16
	v_max_num_f32_e32 v12, v12, v19
	s_delay_alu instid0(VALU_DEP_3) | instskip(NEXT) | instid1(VALU_DEP_3)
	v_add_f32_e32 v19, v196, v24
	v_add_f32_e32 v18, v14, v16
	;; [unrolled: 1-line block ×3, first 2 shown]
	s_delay_alu instid0(VALU_DEP_3) | instskip(NEXT) | instid1(VALU_DEP_2)
	v_add_f32_e32 v28, 0x40051340, v19
	v_dual_add_f32 v14, 0x40051340, v18 :: v_dual_add_f32 v15, 0x40051340, v16
	v_sub_f32_e32 v20, v20, v13
	s_delay_alu instid0(VALU_DEP_2) | instskip(SKIP_4) | instid1(VALU_DEP_1)
	v_max3_num_f32 v14, v167, v28, v14
	v_sub_f32_e32 v28, v194, v0
	ds_bpermute_b32 v17, v39, v14
	s_wait_dscnt 0x0
	v_max_num_f32_e32 v17, v17, v17
	v_max_num_f32_e32 v14, v14, v17
	ds_bpermute_b32 v17, v41, v14
	s_wait_dscnt 0x0
	v_max_num_f32_e32 v17, v17, v17
	s_delay_alu instid0(VALU_DEP_1) | instskip(SKIP_3) | instid1(VALU_DEP_1)
	v_max_num_f32_e32 v14, v14, v17
	ds_bpermute_b32 v17, v53, v14
	s_wait_dscnt 0x0
	v_max_num_f32_e32 v17, v17, v17
	v_max_num_f32_e32 v14, v14, v17
	ds_bpermute_b32 v17, v54, v14
	s_wait_dscnt 0x0
	v_max_num_f32_e32 v17, v17, v17
	s_delay_alu instid0(VALU_DEP_1) | instskip(SKIP_3) | instid1(VALU_DEP_1)
	v_max_num_f32_e32 v14, v14, v17
	ds_bpermute_b32 v17, v55, v14
	s_wait_dscnt 0x0
	v_max_num_f32_e32 v17, v17, v17
	v_dual_max_num_f32 v14, v14, v17 :: v_dual_add_f32 v17, v195, v24
	v_sub_f32_e32 v23, v23, v12
	v_sub_f32_e32 v22, v22, v12
	s_delay_alu instid0(VALU_DEP_3) | instskip(NEXT) | instid1(VALU_DEP_1)
	v_add_f32_e32 v24, 0x40051340, v17
	v_max3_num_f32 v15, v165, v24, v15
	ds_bpermute_b32 v24, v39, v15
	s_wait_dscnt 0x0
	v_max_num_f32_e32 v24, v24, v24
	s_delay_alu instid0(VALU_DEP_1) | instskip(SKIP_3) | instid1(VALU_DEP_1)
	v_max_num_f32_e32 v15, v15, v24
	ds_bpermute_b32 v24, v41, v15
	s_wait_dscnt 0x0
	v_max_num_f32_e32 v24, v24, v24
	v_max_num_f32_e32 v15, v15, v24
	ds_bpermute_b32 v24, v53, v15
	s_wait_dscnt 0x0
	v_max_num_f32_e32 v24, v24, v24
	s_delay_alu instid0(VALU_DEP_1) | instskip(SKIP_3) | instid1(VALU_DEP_1)
	v_max_num_f32_e32 v15, v15, v24
	ds_bpermute_b32 v24, v54, v15
	s_wait_dscnt 0x0
	v_max_num_f32_e32 v24, v24, v24
	v_max_num_f32_e32 v15, v15, v24
	ds_bpermute_b32 v24, v55, v15
	s_wait_dscnt 0x0
	v_max_num_f32_e32 v24, v24, v24
	s_delay_alu instid0(VALU_DEP_1) | instskip(SKIP_1) | instid1(VALU_DEP_1)
	v_max_num_f32_e32 v15, v15, v24
	v_sub_f32_e32 v24, v61, v0
	v_dual_sub_f32 v17, v17, v15 :: v_dual_mul_f32 v32, 0x3fb8aa3b, v24
	v_cmp_ngt_f32_e32 vcc_lo, 0xc2ce8ed0, v24
	s_delay_alu instid0(VALU_DEP_2) | instskip(SKIP_1) | instid1(VALU_DEP_2)
	v_fma_f32 v39, 0x3fb8aa3b, v24, -v32
	v_rndne_f32_e32 v40, v32
	v_fmac_f32_e32 v39, 0x32a5705f, v24
	s_delay_alu instid0(VALU_DEP_2) | instskip(NEXT) | instid1(VALU_DEP_1)
	v_sub_f32_e32 v32, v32, v40
	v_add_f32_e32 v32, v32, v39
	v_cvt_i32_f32_e32 v39, v40
	s_delay_alu instid0(VALU_DEP_2) | instskip(NEXT) | instid1(TRANS32_DEP_1)
	v_exp_f32_e32 v32, v32
	v_ldexp_f32 v32, v32, v39
	s_wait_alu 0xfffd
	s_delay_alu instid0(VALU_DEP_1) | instskip(SKIP_2) | instid1(VALU_DEP_2)
	v_cndmask_b32_e32 v32, 0, v32, vcc_lo
	v_cmp_nlt_f32_e32 vcc_lo, 0x42b17218, v24
	s_wait_alu 0xfffd
	v_cndmask_b32_e32 v24, 0x7f800000, v32, vcc_lo
	v_sub_f32_e32 v32, v58, v0
	s_delay_alu instid0(VALU_DEP_2) | instskip(NEXT) | instid1(VALU_DEP_2)
	v_cvt_f16_f32_e32 v52, v24
	v_mul_f32_e32 v39, 0x3fb8aa3b, v32
	v_cmp_ngt_f32_e32 vcc_lo, 0xc2ce8ed0, v32
	s_delay_alu instid0(VALU_DEP_2) | instskip(SKIP_1) | instid1(VALU_DEP_1)
	v_fma_f32 v40, 0x3fb8aa3b, v32, -v39
	v_rndne_f32_e32 v41, v39
	v_dual_fmac_f32 v40, 0x32a5705f, v32 :: v_dual_sub_f32 v39, v39, v41
	s_delay_alu instid0(VALU_DEP_1) | instskip(SKIP_2) | instid1(VALU_DEP_3)
	v_add_f32_e32 v39, v39, v40
	v_cvt_i32_f32_e32 v40, v41
	v_dual_sub_f32 v36, v36, v11 :: v_dual_sub_f32 v19, v19, v14
	v_exp_f32_e32 v39, v39
	s_delay_alu instid0(TRANS32_DEP_1) | instskip(SKIP_1) | instid1(VALU_DEP_1)
	v_ldexp_f32 v39, v39, v40
	s_wait_alu 0xfffd
	v_cndmask_b32_e32 v39, 0, v39, vcc_lo
	v_cmp_nlt_f32_e32 vcc_lo, 0x42b17218, v32
	s_wait_alu 0xfffd
	s_delay_alu instid0(VALU_DEP_2) | instskip(SKIP_2) | instid1(VALU_DEP_2)
	v_cndmask_b32_e32 v32, 0x7f800000, v39, vcc_lo
	v_mul_f32_e32 v39, 0x3fb8aa3b, v28
	v_cmp_ngt_f32_e32 vcc_lo, 0xc2ce8ed0, v28
	v_fma_f32 v40, 0x3fb8aa3b, v28, -v39
	v_rndne_f32_e32 v41, v39
	s_delay_alu instid0(VALU_DEP_1) | instskip(NEXT) | instid1(VALU_DEP_1)
	v_dual_fmac_f32 v40, 0x32a5705f, v28 :: v_dual_sub_f32 v39, v39, v41
	v_add_f32_e32 v39, v39, v40
	v_cvt_i32_f32_e32 v40, v41
	s_delay_alu instid0(VALU_DEP_2) | instskip(NEXT) | instid1(TRANS32_DEP_1)
	v_exp_f32_e32 v39, v39
	v_ldexp_f32 v39, v39, v40
	s_wait_alu 0xfffd
	s_delay_alu instid0(VALU_DEP_1) | instskip(NEXT) | instid1(VALU_DEP_1)
	v_dual_mul_f32 v40, 0x3fb8aa3b, v26 :: v_dual_cndmask_b32 v39, 0, v39
	v_fma_f32 v41, 0x3fb8aa3b, v26, -v40
	v_rndne_f32_e32 v44, v40
	v_cmp_nlt_f32_e32 vcc_lo, 0x42b17218, v28
	s_delay_alu instid0(VALU_DEP_2) | instskip(SKIP_3) | instid1(VALU_DEP_3)
	v_dual_fmac_f32 v41, 0x32a5705f, v26 :: v_dual_sub_f32 v40, v40, v44
	s_wait_alu 0xfffd
	v_cndmask_b32_e32 v28, 0x7f800000, v39, vcc_lo
	v_cmp_ngt_f32_e32 vcc_lo, 0xc2ce8ed0, v26
	v_add_f32_e32 v40, v40, v41
	v_cvt_i32_f32_e32 v41, v44
	s_delay_alu instid0(VALU_DEP_2) | instskip(NEXT) | instid1(TRANS32_DEP_1)
	v_exp_f32_e32 v40, v40
	v_ldexp_f32 v40, v40, v41
	s_wait_alu 0xfffd
	s_delay_alu instid0(VALU_DEP_1) | instskip(SKIP_2) | instid1(VALU_DEP_2)
	v_cndmask_b32_e32 v40, 0, v40, vcc_lo
	v_cmp_nlt_f32_e32 vcc_lo, 0x42b17218, v26
	s_wait_alu 0xfffd
	v_cndmask_b32_e32 v26, 0x7f800000, v40, vcc_lo
	v_mul_f32_e32 v40, 0x3fb8aa3b, v25
	v_cmp_ngt_f32_e32 vcc_lo, 0xc2ce8ed0, v25
	s_delay_alu instid0(VALU_DEP_3) | instskip(NEXT) | instid1(VALU_DEP_3)
	v_cvt_f16_f32_e32 v54, v26
	v_fma_f32 v41, 0x3fb8aa3b, v25, -v40
	v_rndne_f32_e32 v44, v40
	s_delay_alu instid0(VALU_DEP_1) | instskip(NEXT) | instid1(VALU_DEP_1)
	v_dual_fmac_f32 v41, 0x32a5705f, v25 :: v_dual_sub_f32 v40, v40, v44
	v_add_f32_e32 v40, v40, v41
	v_cvt_i32_f32_e32 v41, v44
	s_delay_alu instid0(VALU_DEP_2) | instskip(NEXT) | instid1(TRANS32_DEP_1)
	v_exp_f32_e32 v40, v40
	v_ldexp_f32 v40, v40, v41
	s_wait_alu 0xfffd
	s_delay_alu instid0(VALU_DEP_1) | instskip(SKIP_2) | instid1(VALU_DEP_2)
	v_cndmask_b32_e32 v40, 0, v40, vcc_lo
	v_cmp_nlt_f32_e32 vcc_lo, 0x42b17218, v25
	s_wait_alu 0xfffd
	v_cndmask_b32_e32 v40, 0x7f800000, v40, vcc_lo
	s_delay_alu instid0(VALU_DEP_1) | instskip(SKIP_3) | instid1(VALU_DEP_3)
	v_add_f32_e32 v25, v26, v40
	v_add_f32_e32 v24, v24, v32
	v_cvt_f16_f32_e32 v48, v40
	v_cvt_f16_f32_e32 v32, v32
	v_fmac_f32_e32 v24, v192, v28
	v_cvt_f16_f32_e32 v28, v28
	s_delay_alu instid0(VALU_DEP_1) | instskip(NEXT) | instid1(VALU_DEP_1)
	v_and_b32_e32 v28, 0xffff, v28
	v_mul_u32_u24_e32 v28, 0x10001, v28
	s_delay_alu instid0(VALU_DEP_1) | instskip(SKIP_1) | instid1(VALU_DEP_1)
	v_pk_mul_f16 v39, v163, v28
	v_sub_f32_e32 v28, v193, v1
	v_mul_f32_e32 v26, 0x3fb8aa3b, v28
	v_cmp_ngt_f32_e32 vcc_lo, 0xc2ce8ed0, v28
	s_delay_alu instid0(VALU_DEP_2) | instskip(SKIP_1) | instid1(VALU_DEP_2)
	v_fma_f32 v40, 0x3fb8aa3b, v28, -v26
	v_rndne_f32_e32 v41, v26
	v_fmac_f32_e32 v40, 0x32a5705f, v28
	s_delay_alu instid0(VALU_DEP_2) | instskip(NEXT) | instid1(VALU_DEP_1)
	v_sub_f32_e32 v26, v26, v41
	v_add_f32_e32 v26, v26, v40
	v_cvt_i32_f32_e32 v40, v41
	s_delay_alu instid0(VALU_DEP_2) | instskip(NEXT) | instid1(TRANS32_DEP_1)
	v_exp_f32_e32 v26, v26
	v_ldexp_f32 v26, v26, v40
	s_wait_alu 0xfffd
	s_delay_alu instid0(VALU_DEP_1) | instskip(SKIP_3) | instid1(VALU_DEP_3)
	v_cndmask_b32_e32 v26, 0, v26, vcc_lo
	v_cmp_nlt_f32_e32 vcc_lo, 0x42b17218, v28
	v_sub_f32_e32 v28, v191, v2
	s_wait_alu 0xfffd
	v_cndmask_b32_e32 v26, 0x7f800000, v26, vcc_lo
	s_delay_alu instid0(VALU_DEP_1) | instskip(SKIP_2) | instid1(VALU_DEP_2)
	v_fmac_f32_e32 v25, v190, v26
	v_cvt_f16_f32_e32 v26, v26
	v_sub_f32_e32 v16, v16, v15
	v_and_b32_e32 v26, 0xffff, v26
	s_delay_alu instid0(VALU_DEP_1) | instskip(NEXT) | instid1(VALU_DEP_1)
	v_mul_u32_u24_e32 v26, 0x10001, v26
	v_pk_mul_f16 v40, v162, v26
	v_sub_f32_e32 v26, v59, v2
	s_delay_alu instid0(VALU_DEP_1) | instskip(SKIP_2) | instid1(VALU_DEP_3)
	v_mul_f32_e32 v41, 0x3fb8aa3b, v26
	v_cmp_ngt_f32_e32 vcc_lo, 0xc2ce8ed0, v26
	v_sub_f32_e32 v18, v18, v14
	v_fma_f32 v44, 0x3fb8aa3b, v26, -v41
	v_rndne_f32_e32 v53, v41
	s_delay_alu instid0(VALU_DEP_1) | instskip(NEXT) | instid1(VALU_DEP_1)
	v_dual_fmac_f32 v44, 0x32a5705f, v26 :: v_dual_sub_f32 v41, v41, v53
	v_add_f32_e32 v41, v41, v44
	v_cvt_i32_f32_e32 v44, v53
	s_delay_alu instid0(VALU_DEP_2) | instskip(NEXT) | instid1(TRANS32_DEP_1)
	v_exp_f32_e32 v41, v41
	v_ldexp_f32 v41, v41, v44
	s_wait_alu 0xfffd
	s_delay_alu instid0(VALU_DEP_1) | instskip(SKIP_2) | instid1(VALU_DEP_2)
	v_cndmask_b32_e32 v41, 0, v41, vcc_lo
	v_cmp_nlt_f32_e32 vcc_lo, 0x42b17218, v26
	s_wait_alu 0xfffd
	v_dual_cndmask_b32 v26, 0x7f800000, v41 :: v_dual_sub_f32 v41, v57, v2
	s_delay_alu instid0(VALU_DEP_1) | instskip(NEXT) | instid1(VALU_DEP_2)
	v_cvt_f16_f32_e32 v56, v26
	v_mul_f32_e32 v44, 0x3fb8aa3b, v41
	v_cmp_ngt_f32_e32 vcc_lo, 0xc2ce8ed0, v41
	s_delay_alu instid0(VALU_DEP_2) | instskip(SKIP_1) | instid1(VALU_DEP_1)
	v_fma_f32 v53, 0x3fb8aa3b, v41, -v44
	v_rndne_f32_e32 v55, v44
	v_dual_fmac_f32 v53, 0x32a5705f, v41 :: v_dual_sub_f32 v44, v44, v55
	s_delay_alu instid0(VALU_DEP_1) | instskip(SKIP_1) | instid1(VALU_DEP_2)
	v_add_f32_e32 v44, v44, v53
	v_cvt_i32_f32_e32 v53, v55
	v_exp_f32_e32 v44, v44
	s_delay_alu instid0(TRANS32_DEP_1) | instskip(SKIP_1) | instid1(VALU_DEP_1)
	v_ldexp_f32 v44, v44, v53
	s_wait_alu 0xfffd
	v_cndmask_b32_e32 v44, 0, v44, vcc_lo
	v_cmp_nlt_f32_e32 vcc_lo, 0x42b17218, v41
	s_wait_alu 0xfffd
	s_delay_alu instid0(VALU_DEP_2) | instskip(SKIP_1) | instid1(VALU_DEP_2)
	v_cndmask_b32_e32 v41, 0x7f800000, v44, vcc_lo
	v_cmp_ngt_f32_e32 vcc_lo, 0xc2ce8ed0, v28
	v_add_f32_e32 v26, v26, v41
	v_cvt_f16_f32_e32 v53, v41
	v_mul_f32_e32 v41, 0x3fb8aa3b, v28
	s_delay_alu instid0(VALU_DEP_1) | instskip(SKIP_1) | instid1(VALU_DEP_1)
	v_fma_f32 v44, 0x3fb8aa3b, v28, -v41
	v_rndne_f32_e32 v55, v41
	v_dual_fmac_f32 v44, 0x32a5705f, v28 :: v_dual_sub_f32 v41, v41, v55
	s_delay_alu instid0(VALU_DEP_1) | instskip(SKIP_1) | instid1(VALU_DEP_2)
	v_add_f32_e32 v41, v41, v44
	v_cvt_i32_f32_e32 v44, v55
	v_exp_f32_e32 v41, v41
	s_delay_alu instid0(TRANS32_DEP_1) | instskip(SKIP_1) | instid1(VALU_DEP_1)
	v_ldexp_f32 v41, v41, v44
	s_wait_alu 0xfffd
	v_dual_mul_f32 v44, 0x3fb8aa3b, v42 :: v_dual_cndmask_b32 v41, 0, v41
	s_delay_alu instid0(VALU_DEP_1) | instskip(SKIP_2) | instid1(VALU_DEP_2)
	v_fma_f32 v55, 0x3fb8aa3b, v42, -v44
	v_rndne_f32_e32 v57, v44
	v_cmp_nlt_f32_e32 vcc_lo, 0x42b17218, v28
	v_dual_fmac_f32 v55, 0x32a5705f, v42 :: v_dual_sub_f32 v44, v44, v57
	s_wait_alu 0xfffd
	v_cndmask_b32_e32 v28, 0x7f800000, v41, vcc_lo
	v_cmp_ngt_f32_e32 vcc_lo, 0xc2ce8ed0, v42
	s_delay_alu instid0(VALU_DEP_3) | instskip(SKIP_1) | instid1(VALU_DEP_4)
	v_add_f32_e32 v44, v44, v55
	v_cvt_i32_f32_e32 v55, v57
	v_fmac_f32_e32 v26, v188, v28
	v_cvt_f16_f32_e32 v28, v28
	s_delay_alu instid0(VALU_DEP_4) | instskip(NEXT) | instid1(VALU_DEP_1)
	v_exp_f32_e32 v44, v44
	v_and_b32_e32 v28, 0xffff, v28
	s_delay_alu instid0(VALU_DEP_1) | instskip(NEXT) | instid1(TRANS32_DEP_1)
	v_mul_u32_u24_e32 v28, 0x10001, v28
	v_ldexp_f32 v44, v44, v55
	s_delay_alu instid0(VALU_DEP_2) | instskip(SKIP_2) | instid1(VALU_DEP_3)
	v_pk_mul_f16 v41, v161, v28
	v_sub_f32_e32 v28, v189, v3
	s_wait_alu 0xfffd
	v_cndmask_b32_e32 v44, 0, v44, vcc_lo
	v_cmp_nlt_f32_e32 vcc_lo, 0x42b17218, v42
	s_wait_alu 0xfffd
	s_delay_alu instid0(VALU_DEP_2) | instskip(SKIP_2) | instid1(VALU_DEP_3)
	v_cndmask_b32_e32 v42, 0x7f800000, v44, vcc_lo
	v_mul_f32_e32 v44, 0x3fb8aa3b, v27
	v_cmp_ngt_f32_e32 vcc_lo, 0xc2ce8ed0, v27
	v_cvt_f16_f32_e32 v57, v42
	s_delay_alu instid0(VALU_DEP_3) | instskip(SKIP_1) | instid1(VALU_DEP_3)
	v_fma_f32 v55, 0x3fb8aa3b, v27, -v44
	v_rndne_f32_e32 v58, v44
	v_pack_b32_f16 v57, v56, v57
	s_delay_alu instid0(VALU_DEP_2)
	v_dual_fmac_f32 v55, 0x32a5705f, v27 :: v_dual_sub_f32 v44, v44, v58
	v_pack_b32_f16 v56, v52, v54
	v_pack_b32_f16 v54, v32, v48
	v_sub_f32_e32 v48, v178, v8
	v_sub_f32_e32 v32, v47, v8
	v_add_f32_e32 v44, v44, v55
	v_cvt_i32_f32_e32 v55, v58
	s_delay_alu instid0(VALU_DEP_3) | instskip(NEXT) | instid1(VALU_DEP_3)
	v_mul_f32_e32 v47, 0x3fb8aa3b, v32
	v_exp_f32_e32 v44, v44
	s_delay_alu instid0(TRANS32_DEP_1) | instskip(SKIP_1) | instid1(VALU_DEP_1)
	v_ldexp_f32 v44, v44, v55
	s_wait_alu 0xfffd
	v_cndmask_b32_e32 v44, 0, v44, vcc_lo
	v_cmp_nlt_f32_e32 vcc_lo, 0x42b17218, v27
	s_wait_alu 0xfffd
	s_delay_alu instid0(VALU_DEP_2) | instskip(SKIP_1) | instid1(VALU_DEP_2)
	v_cndmask_b32_e32 v44, 0x7f800000, v44, vcc_lo
	v_cmp_ngt_f32_e32 vcc_lo, 0xc2ce8ed0, v28
	v_add_f32_e32 v27, v42, v44
	v_mul_f32_e32 v42, 0x3fb8aa3b, v28
	v_cvt_f16_f32_e32 v55, v44
	s_delay_alu instid0(VALU_DEP_2) | instskip(SKIP_1) | instid1(VALU_DEP_3)
	v_fma_f32 v44, 0x3fb8aa3b, v28, -v42
	v_rndne_f32_e32 v58, v42
	v_pack_b32_f16 v55, v53, v55
	s_delay_alu instid0(VALU_DEP_3) | instskip(NEXT) | instid1(VALU_DEP_3)
	v_fmac_f32_e32 v44, 0x32a5705f, v28
	v_sub_f32_e32 v42, v42, v58
	s_delay_alu instid0(VALU_DEP_1) | instskip(SKIP_1) | instid1(VALU_DEP_2)
	v_add_f32_e32 v42, v42, v44
	v_cvt_i32_f32_e32 v44, v58
	v_exp_f32_e32 v42, v42
	s_delay_alu instid0(TRANS32_DEP_1) | instskip(SKIP_2) | instid1(VALU_DEP_2)
	v_ldexp_f32 v42, v42, v44
	v_sub_f32_e32 v44, v187, v4
	s_wait_alu 0xfffd
	v_cndmask_b32_e32 v42, 0, v42, vcc_lo
	v_cmp_nlt_f32_e32 vcc_lo, 0x42b17218, v28
	s_wait_alu 0xfffd
	s_delay_alu instid0(VALU_DEP_2) | instskip(NEXT) | instid1(VALU_DEP_1)
	v_cndmask_b32_e32 v28, 0x7f800000, v42, vcc_lo
	v_fmac_f32_e32 v27, v186, v28
	v_cvt_f16_f32_e32 v28, v28
	s_delay_alu instid0(VALU_DEP_1) | instskip(NEXT) | instid1(VALU_DEP_1)
	v_and_b32_e32 v28, 0xffff, v28
	v_mul_u32_u24_e32 v28, 0x10001, v28
	s_delay_alu instid0(VALU_DEP_1) | instskip(SKIP_1) | instid1(VALU_DEP_1)
	v_pk_mul_f16 v42, v160, v28
	v_sub_f32_e32 v28, v51, v4
	v_mul_f32_e32 v51, 0x3fb8aa3b, v28
	v_cmp_ngt_f32_e32 vcc_lo, 0xc2ce8ed0, v28
	s_delay_alu instid0(VALU_DEP_2) | instskip(SKIP_1) | instid1(VALU_DEP_1)
	v_fma_f32 v58, 0x3fb8aa3b, v28, -v51
	v_rndne_f32_e32 v59, v51
	v_dual_fmac_f32 v58, 0x32a5705f, v28 :: v_dual_sub_f32 v51, v51, v59
	s_delay_alu instid0(VALU_DEP_1) | instskip(SKIP_1) | instid1(VALU_DEP_2)
	v_add_f32_e32 v51, v51, v58
	v_cvt_i32_f32_e32 v58, v59
	v_exp_f32_e32 v51, v51
	s_delay_alu instid0(TRANS32_DEP_1) | instskip(SKIP_1) | instid1(VALU_DEP_1)
	v_ldexp_f32 v51, v51, v58
	s_wait_alu 0xfffd
	v_cndmask_b32_e32 v51, 0, v51, vcc_lo
	v_cmp_nlt_f32_e32 vcc_lo, 0x42b17218, v28
	s_wait_alu 0xfffd
	s_delay_alu instid0(VALU_DEP_2) | instskip(SKIP_2) | instid1(VALU_DEP_3)
	v_cndmask_b32_e32 v28, 0x7f800000, v51, vcc_lo
	v_mul_f32_e32 v51, 0x3fb8aa3b, v43
	v_cmp_ngt_f32_e32 vcc_lo, 0xc2ce8ed0, v43
	v_cvt_f16_f32_e32 v58, v28
	s_delay_alu instid0(VALU_DEP_3) | instskip(SKIP_1) | instid1(VALU_DEP_2)
	v_fma_f32 v59, 0x3fb8aa3b, v43, -v51
	v_rndne_f32_e32 v60, v51
	v_fmac_f32_e32 v59, 0x32a5705f, v43
	s_delay_alu instid0(VALU_DEP_2) | instskip(NEXT) | instid1(VALU_DEP_1)
	v_sub_f32_e32 v51, v51, v60
	v_add_f32_e32 v51, v51, v59
	v_cvt_i32_f32_e32 v59, v60
	s_delay_alu instid0(VALU_DEP_2) | instskip(NEXT) | instid1(TRANS32_DEP_1)
	v_exp_f32_e32 v51, v51
	v_ldexp_f32 v51, v51, v59
	s_wait_alu 0xfffd
	s_delay_alu instid0(VALU_DEP_1) | instskip(SKIP_2) | instid1(VALU_DEP_2)
	v_cndmask_b32_e32 v51, 0, v51, vcc_lo
	v_cmp_nlt_f32_e32 vcc_lo, 0x42b17218, v43
	s_wait_alu 0xfffd
	v_cndmask_b32_e32 v43, 0x7f800000, v51, vcc_lo
	v_cmp_ngt_f32_e32 vcc_lo, 0xc2ce8ed0, v44
	s_delay_alu instid0(VALU_DEP_2) | instskip(SKIP_2) | instid1(VALU_DEP_1)
	v_add_f32_e32 v28, v28, v43
	v_cvt_f16_f32_e32 v51, v43
	v_mul_f32_e32 v43, 0x3fb8aa3b, v44
	v_fma_f32 v59, 0x3fb8aa3b, v44, -v43
	v_rndne_f32_e32 v60, v43
	s_delay_alu instid0(VALU_DEP_2) | instskip(NEXT) | instid1(VALU_DEP_2)
	v_fmac_f32_e32 v59, 0x32a5705f, v44
	v_sub_f32_e32 v43, v43, v60
	s_delay_alu instid0(VALU_DEP_1) | instskip(SKIP_1) | instid1(VALU_DEP_2)
	v_add_f32_e32 v43, v43, v59
	v_cvt_i32_f32_e32 v59, v60
	v_exp_f32_e32 v43, v43
	s_delay_alu instid0(TRANS32_DEP_1) | instskip(SKIP_2) | instid1(VALU_DEP_2)
	v_ldexp_f32 v43, v43, v59
	v_mul_f32_e32 v59, 0x3fb8aa3b, v50
	s_wait_alu 0xfffd
	v_cndmask_b32_e32 v43, 0, v43, vcc_lo
	s_delay_alu instid0(VALU_DEP_2) | instskip(SKIP_3) | instid1(VALU_DEP_3)
	v_fma_f32 v60, 0x3fb8aa3b, v50, -v59
	v_rndne_f32_e32 v61, v59
	v_cmp_nlt_f32_e32 vcc_lo, 0x42b17218, v44
	v_sub_f32_e32 v44, v185, v5
	v_dual_fmac_f32 v60, 0x32a5705f, v50 :: v_dual_sub_f32 v59, v59, v61
	s_wait_alu 0xfffd
	v_cndmask_b32_e32 v43, 0x7f800000, v43, vcc_lo
	v_cmp_ngt_f32_e32 vcc_lo, 0xc2ce8ed0, v50
	s_delay_alu instid0(VALU_DEP_3) | instskip(SKIP_1) | instid1(VALU_DEP_2)
	v_add_f32_e32 v59, v59, v60
	v_cvt_i32_f32_e32 v60, v61
	v_exp_f32_e32 v59, v59
	s_delay_alu instid0(TRANS32_DEP_1) | instskip(SKIP_1) | instid1(VALU_DEP_1)
	v_ldexp_f32 v59, v59, v60
	s_wait_alu 0xfffd
	v_cndmask_b32_e32 v59, 0, v59, vcc_lo
	v_cmp_nlt_f32_e32 vcc_lo, 0x42b17218, v50
	s_wait_alu 0xfffd
	s_delay_alu instid0(VALU_DEP_2) | instskip(SKIP_2) | instid1(VALU_DEP_3)
	v_cndmask_b32_e32 v50, 0x7f800000, v59, vcc_lo
	v_mul_f32_e32 v59, 0x3fb8aa3b, v29
	v_cmp_ngt_f32_e32 vcc_lo, 0xc2ce8ed0, v29
	v_cvt_f16_f32_e32 v60, v50
	s_delay_alu instid0(VALU_DEP_3) | instskip(SKIP_1) | instid1(VALU_DEP_3)
	v_fma_f32 v61, 0x3fb8aa3b, v29, -v59
	v_rndne_f32_e32 v62, v59
	v_pack_b32_f16 v58, v58, v60
	s_delay_alu instid0(VALU_DEP_3) | instskip(NEXT) | instid1(VALU_DEP_3)
	v_fmac_f32_e32 v61, 0x32a5705f, v29
	v_sub_f32_e32 v59, v59, v62
	s_delay_alu instid0(VALU_DEP_1) | instskip(SKIP_1) | instid1(VALU_DEP_2)
	v_add_f32_e32 v59, v59, v61
	v_cvt_i32_f32_e32 v61, v62
	v_exp_f32_e32 v59, v59
	s_delay_alu instid0(TRANS32_DEP_1) | instskip(SKIP_1) | instid1(VALU_DEP_1)
	v_ldexp_f32 v59, v59, v61
	s_wait_alu 0xfffd
	v_cndmask_b32_e32 v59, 0, v59, vcc_lo
	v_cmp_nlt_f32_e32 vcc_lo, 0x42b17218, v29
	s_wait_alu 0xfffd
	s_delay_alu instid0(VALU_DEP_2) | instskip(SKIP_1) | instid1(VALU_DEP_2)
	v_cndmask_b32_e32 v59, 0x7f800000, v59, vcc_lo
	v_cmp_ngt_f32_e32 vcc_lo, 0xc2ce8ed0, v44
	v_add_f32_e32 v29, v50, v59
	v_cvt_f16_f32_e32 v50, v59
	v_mul_f32_e32 v59, 0x3fb8aa3b, v44
	s_delay_alu instid0(VALU_DEP_1) | instskip(SKIP_1) | instid1(VALU_DEP_2)
	v_fma_f32 v61, 0x3fb8aa3b, v44, -v59
	v_rndne_f32_e32 v62, v59
	v_fmac_f32_e32 v61, 0x32a5705f, v44
	s_delay_alu instid0(VALU_DEP_2) | instskip(NEXT) | instid1(VALU_DEP_1)
	v_sub_f32_e32 v59, v59, v62
	v_add_f32_e32 v59, v59, v61
	v_cvt_i32_f32_e32 v61, v62
	s_delay_alu instid0(VALU_DEP_2) | instskip(NEXT) | instid1(TRANS32_DEP_1)
	v_exp_f32_e32 v59, v59
	v_ldexp_f32 v59, v59, v61
	v_mul_f32_e32 v61, 0x3fb8aa3b, v45
	s_wait_alu 0xfffd
	s_delay_alu instid0(VALU_DEP_2) | instskip(NEXT) | instid1(VALU_DEP_2)
	v_cndmask_b32_e32 v59, 0, v59, vcc_lo
	v_fma_f32 v62, 0x3fb8aa3b, v45, -v61
	v_rndne_f32_e32 v63, v61
	v_cmp_nlt_f32_e32 vcc_lo, 0x42b17218, v44
	s_delay_alu instid0(VALU_DEP_2)
	v_dual_fmac_f32 v62, 0x32a5705f, v45 :: v_dual_sub_f32 v61, v61, v63
	s_wait_alu 0xfffd
	v_cndmask_b32_e32 v44, 0x7f800000, v59, vcc_lo
	v_cmp_ngt_f32_e32 vcc_lo, 0xc2ce8ed0, v45
	v_sub_f32_e32 v59, v183, v6
	v_add_f32_e32 v61, v61, v62
	v_cvt_i32_f32_e32 v62, v63
	s_delay_alu instid0(VALU_DEP_2) | instskip(NEXT) | instid1(TRANS32_DEP_1)
	v_exp_f32_e32 v61, v61
	v_ldexp_f32 v61, v61, v62
	s_wait_alu 0xfffd
	s_delay_alu instid0(VALU_DEP_1) | instskip(NEXT) | instid1(VALU_DEP_1)
	v_dual_mul_f32 v62, 0x3fb8aa3b, v30 :: v_dual_cndmask_b32 v61, 0, v61
	v_fma_f32 v63, 0x3fb8aa3b, v30, -v62
	v_rndne_f32_e32 v80, v62
	v_cmp_nlt_f32_e32 vcc_lo, 0x42b17218, v45
	s_delay_alu instid0(VALU_DEP_2) | instskip(SKIP_3) | instid1(VALU_DEP_3)
	v_dual_fmac_f32 v63, 0x32a5705f, v30 :: v_dual_sub_f32 v62, v62, v80
	s_wait_alu 0xfffd
	v_cndmask_b32_e32 v45, 0x7f800000, v61, vcc_lo
	v_cmp_ngt_f32_e32 vcc_lo, 0xc2ce8ed0, v30
	v_add_f32_e32 v62, v62, v63
	v_cvt_i32_f32_e32 v63, v80
	s_delay_alu instid0(VALU_DEP_4) | instskip(NEXT) | instid1(VALU_DEP_3)
	v_cvt_f16_f32_e32 v61, v45
	v_exp_f32_e32 v62, v62
	s_delay_alu instid0(TRANS32_DEP_1) | instskip(SKIP_1) | instid1(VALU_DEP_1)
	v_ldexp_f32 v62, v62, v63
	s_wait_alu 0xfffd
	v_cndmask_b32_e32 v62, 0, v62, vcc_lo
	v_cmp_nlt_f32_e32 vcc_lo, 0x42b17218, v30
	s_wait_alu 0xfffd
	s_delay_alu instid0(VALU_DEP_2) | instskip(SKIP_1) | instid1(VALU_DEP_2)
	v_cndmask_b32_e32 v62, 0x7f800000, v62, vcc_lo
	v_cmp_ngt_f32_e32 vcc_lo, 0xc2ce8ed0, v59
	v_dual_add_f32 v30, v45, v62 :: v_dual_mul_f32 v45, 0x3fb8aa3b, v59
	v_cvt_f16_f32_e32 v62, v62
	s_delay_alu instid0(VALU_DEP_2) | instskip(SKIP_1) | instid1(VALU_DEP_2)
	v_fma_f32 v63, 0x3fb8aa3b, v59, -v45
	v_rndne_f32_e32 v80, v45
	v_fmac_f32_e32 v63, 0x32a5705f, v59
	s_delay_alu instid0(VALU_DEP_2) | instskip(NEXT) | instid1(VALU_DEP_1)
	v_sub_f32_e32 v45, v45, v80
	v_add_f32_e32 v45, v45, v63
	v_cvt_i32_f32_e32 v63, v80
	s_delay_alu instid0(VALU_DEP_2) | instskip(NEXT) | instid1(TRANS32_DEP_1)
	v_exp_f32_e32 v45, v45
	v_ldexp_f32 v45, v45, v63
	v_mul_f32_e32 v63, 0x3fb8aa3b, v46
	s_wait_alu 0xfffd
	s_delay_alu instid0(VALU_DEP_2) | instskip(NEXT) | instid1(VALU_DEP_2)
	v_cndmask_b32_e32 v45, 0, v45, vcc_lo
	v_fma_f32 v80, 0x3fb8aa3b, v46, -v63
	v_rndne_f32_e32 v81, v63
	v_cmp_nlt_f32_e32 vcc_lo, 0x42b17218, v59
	s_delay_alu instid0(VALU_DEP_3) | instskip(NEXT) | instid1(VALU_DEP_3)
	v_dual_sub_f32 v59, v181, v7 :: v_dual_fmac_f32 v80, 0x32a5705f, v46
	v_sub_f32_e32 v63, v63, v81
	s_wait_alu 0xfffd
	v_cndmask_b32_e32 v45, 0x7f800000, v45, vcc_lo
	v_cmp_ngt_f32_e32 vcc_lo, 0xc2ce8ed0, v46
	s_delay_alu instid0(VALU_DEP_3) | instskip(SKIP_1) | instid1(VALU_DEP_2)
	v_add_f32_e32 v63, v63, v80
	v_cvt_i32_f32_e32 v80, v81
	v_exp_f32_e32 v63, v63
	s_delay_alu instid0(TRANS32_DEP_1) | instskip(SKIP_2) | instid1(VALU_DEP_2)
	v_ldexp_f32 v63, v63, v80
	v_mul_f32_e32 v80, 0x3fb8aa3b, v31
	s_wait_alu 0xfffd
	v_cndmask_b32_e32 v63, 0, v63, vcc_lo
	s_delay_alu instid0(VALU_DEP_2) | instskip(SKIP_2) | instid1(VALU_DEP_2)
	v_fma_f32 v81, 0x3fb8aa3b, v31, -v80
	v_rndne_f32_e32 v82, v80
	v_cmp_nlt_f32_e32 vcc_lo, 0x42b17218, v46
	v_dual_fmac_f32 v81, 0x32a5705f, v31 :: v_dual_sub_f32 v80, v80, v82
	s_wait_alu 0xfffd
	v_cndmask_b32_e32 v46, 0x7f800000, v63, vcc_lo
	v_cmp_ngt_f32_e32 vcc_lo, 0xc2ce8ed0, v31
	s_delay_alu instid0(VALU_DEP_3) | instskip(SKIP_1) | instid1(VALU_DEP_4)
	v_add_f32_e32 v80, v80, v81
	v_cvt_i32_f32_e32 v81, v82
	v_cvt_f16_f32_e32 v63, v46
	s_delay_alu instid0(VALU_DEP_3) | instskip(NEXT) | instid1(TRANS32_DEP_1)
	v_exp_f32_e32 v80, v80
	v_ldexp_f32 v80, v80, v81
	s_wait_alu 0xfffd
	s_delay_alu instid0(VALU_DEP_1) | instskip(SKIP_2) | instid1(VALU_DEP_2)
	v_cndmask_b32_e32 v80, 0, v80, vcc_lo
	v_cmp_nlt_f32_e32 vcc_lo, 0x42b17218, v31
	s_wait_alu 0xfffd
	v_cndmask_b32_e32 v80, 0x7f800000, v80, vcc_lo
	v_cmp_ngt_f32_e32 vcc_lo, 0xc2ce8ed0, v59
	s_delay_alu instid0(VALU_DEP_2) | instskip(SKIP_1) | instid1(VALU_DEP_2)
	v_dual_add_f32 v31, v46, v80 :: v_dual_mul_f32 v46, 0x3fb8aa3b, v59
	v_cvt_f16_f32_e32 v80, v80
	v_fma_f32 v81, 0x3fb8aa3b, v59, -v46
	v_rndne_f32_e32 v82, v46
	s_delay_alu instid0(VALU_DEP_1) | instskip(NEXT) | instid1(VALU_DEP_1)
	v_dual_fmac_f32 v81, 0x32a5705f, v59 :: v_dual_sub_f32 v46, v46, v82
	v_add_f32_e32 v46, v46, v81
	v_cvt_i32_f32_e32 v81, v82
	s_delay_alu instid0(VALU_DEP_2) | instskip(NEXT) | instid1(TRANS32_DEP_1)
	v_exp_f32_e32 v46, v46
	v_ldexp_f32 v46, v46, v81
	s_wait_alu 0xfffd
	s_delay_alu instid0(VALU_DEP_1) | instskip(SKIP_3) | instid1(VALU_DEP_3)
	v_cndmask_b32_e32 v46, 0, v46, vcc_lo
	v_cmp_nlt_f32_e32 vcc_lo, 0x42b17218, v59
	v_pack_b32_f16 v59, v61, v63
	s_wait_alu 0xfffd
	v_cndmask_b32_e32 v46, 0x7f800000, v46, vcc_lo
	ds_store_b128 v140, v[56:59]
	v_pack_b32_f16 v56, v51, v50
	v_fma_f32 v50, 0x3fb8aa3b, v32, -v47
	v_rndne_f32_e32 v51, v47
	v_dual_fmac_f32 v31, v179, v46 :: v_dual_fmac_f32 v28, v184, v43
	v_cmp_ngt_f32_e32 vcc_lo, 0xc2ce8ed0, v32
	s_delay_alu instid0(VALU_DEP_3) | instskip(SKIP_2) | instid1(VALU_DEP_3)
	v_dual_fmac_f32 v50, 0x32a5705f, v32 :: v_dual_sub_f32 v47, v47, v51
	v_pack_b32_f16 v57, v62, v80
	v_cvt_f16_f32_e32 v43, v43
	v_add_f32_e32 v47, v47, v50
	v_cvt_i32_f32_e32 v50, v51
	v_fmac_f32_e32 v29, v182, v44
	v_cvt_f16_f32_e32 v44, v44
	ds_store_b128 v140, v[54:57] offset:512
	v_exp_f32_e32 v47, v47
	v_and_b32_e32 v43, 0xffff, v43
	s_delay_alu instid0(VALU_DEP_1) | instskip(NEXT) | instid1(TRANS32_DEP_1)
	v_mul_u32_u24_e32 v43, 0x10001, v43
	v_ldexp_f32 v47, v47, v50
	s_delay_alu instid0(VALU_DEP_2) | instskip(SKIP_1) | instid1(VALU_DEP_2)
	v_pk_mul_f16 v43, v159, v43
	s_wait_alu 0xfffd
	v_cndmask_b32_e32 v47, 0, v47, vcc_lo
	v_cmp_nlt_f32_e32 vcc_lo, 0x42b17218, v32
	s_wait_alu 0xfffd
	s_delay_alu instid0(VALU_DEP_2) | instskip(SKIP_2) | instid1(VALU_DEP_3)
	v_cndmask_b32_e32 v32, 0x7f800000, v47, vcc_lo
	v_mul_f32_e32 v47, 0x3fb8aa3b, v38
	v_cmp_ngt_f32_e32 vcc_lo, 0xc2ce8ed0, v38
	v_cvt_f16_f32_e32 v57, v32
	s_delay_alu instid0(VALU_DEP_3) | instskip(SKIP_2) | instid1(VALU_DEP_2)
	v_fma_f32 v50, 0x3fb8aa3b, v38, -v47
	v_rndne_f32_e32 v51, v47
	v_and_b32_e32 v44, 0xffff, v44
	v_dual_fmac_f32 v50, 0x32a5705f, v38 :: v_dual_sub_f32 v47, v47, v51
	s_delay_alu instid0(VALU_DEP_2) | instskip(NEXT) | instid1(VALU_DEP_2)
	v_mul_u32_u24_e32 v44, 0x10001, v44
	v_add_f32_e32 v47, v47, v50
	v_cvt_i32_f32_e32 v50, v51
	s_delay_alu instid0(VALU_DEP_3) | instskip(NEXT) | instid1(VALU_DEP_3)
	v_pk_mul_f16 v44, v158, v44
	v_exp_f32_e32 v47, v47
	s_delay_alu instid0(TRANS32_DEP_1) | instskip(SKIP_1) | instid1(VALU_DEP_1)
	v_ldexp_f32 v47, v47, v50
	s_wait_alu 0xfffd
	v_cndmask_b32_e32 v47, 0, v47, vcc_lo
	v_cmp_nlt_f32_e32 vcc_lo, 0x42b17218, v38
	s_wait_alu 0xfffd
	s_delay_alu instid0(VALU_DEP_2) | instskip(SKIP_1) | instid1(VALU_DEP_2)
	v_cndmask_b32_e32 v38, 0x7f800000, v47, vcc_lo
	v_cmp_ngt_f32_e32 vcc_lo, 0xc2ce8ed0, v48
	v_add_f32_e32 v32, v32, v38
	v_cvt_f16_f32_e32 v55, v38
	v_mul_f32_e32 v38, 0x3fb8aa3b, v48
	s_delay_alu instid0(VALU_DEP_1) | instskip(SKIP_1) | instid1(VALU_DEP_1)
	v_fma_f32 v47, 0x3fb8aa3b, v48, -v38
	v_rndne_f32_e32 v50, v38
	v_dual_fmac_f32 v47, 0x32a5705f, v48 :: v_dual_sub_f32 v38, v38, v50
	s_delay_alu instid0(VALU_DEP_1) | instskip(SKIP_1) | instid1(VALU_DEP_2)
	v_add_f32_e32 v38, v38, v47
	v_cvt_i32_f32_e32 v47, v50
	v_exp_f32_e32 v38, v38
	s_delay_alu instid0(TRANS32_DEP_1) | instskip(SKIP_1) | instid1(VALU_DEP_1)
	v_ldexp_f32 v38, v38, v47
	s_wait_alu 0xfffd
	v_cndmask_b32_e32 v38, 0, v38, vcc_lo
	v_cmp_nlt_f32_e32 vcc_lo, 0x42b17218, v48
	v_mul_f32_e32 v48, 0x3fb8aa3b, v34
	s_wait_alu 0xfffd
	s_delay_alu instid0(VALU_DEP_3) | instskip(NEXT) | instid1(VALU_DEP_2)
	v_cndmask_b32_e32 v38, 0x7f800000, v38, vcc_lo
	v_fma_f32 v50, 0x3fb8aa3b, v34, -v48
	v_rndne_f32_e32 v51, v48
	v_cmp_ngt_f32_e32 vcc_lo, 0xc2ce8ed0, v34
	s_delay_alu instid0(VALU_DEP_4) | instskip(NEXT) | instid1(VALU_DEP_4)
	v_fmac_f32_e32 v32, v176, v38
	v_fmac_f32_e32 v50, 0x32a5705f, v34
	s_delay_alu instid0(VALU_DEP_4) | instskip(SKIP_1) | instid1(VALU_DEP_2)
	v_sub_f32_e32 v48, v48, v51
	v_cvt_f16_f32_e32 v38, v38
	v_add_f32_e32 v48, v48, v50
	v_cvt_i32_f32_e32 v50, v51
	s_delay_alu instid0(VALU_DEP_3) | instskip(NEXT) | instid1(VALU_DEP_3)
	v_and_b32_e32 v38, 0xffff, v38
	v_exp_f32_e32 v48, v48
	s_delay_alu instid0(VALU_DEP_1) | instskip(NEXT) | instid1(VALU_DEP_1)
	v_mul_u32_u24_e32 v38, 0x10001, v38
	v_pk_mul_f16 v47, v155, v38
	v_sub_f32_e32 v38, v177, v9
	s_delay_alu instid0(TRANS32_DEP_1) | instskip(SKIP_1) | instid1(VALU_DEP_1)
	v_ldexp_f32 v48, v48, v50
	s_wait_alu 0xfffd
	v_cndmask_b32_e32 v48, 0, v48, vcc_lo
	v_cmp_nlt_f32_e32 vcc_lo, 0x42b17218, v34
	s_wait_alu 0xfffd
	s_delay_alu instid0(VALU_DEP_2) | instskip(SKIP_2) | instid1(VALU_DEP_3)
	v_cndmask_b32_e32 v34, 0x7f800000, v48, vcc_lo
	v_mul_f32_e32 v48, 0x3fb8aa3b, v33
	v_cmp_ngt_f32_e32 vcc_lo, 0xc2ce8ed0, v33
	v_cvt_f16_f32_e32 v59, v34
	s_delay_alu instid0(VALU_DEP_3) | instskip(SKIP_1) | instid1(VALU_DEP_2)
	v_fma_f32 v50, 0x3fb8aa3b, v33, -v48
	v_rndne_f32_e32 v51, v48
	v_fmac_f32_e32 v50, 0x32a5705f, v33
	s_delay_alu instid0(VALU_DEP_2) | instskip(NEXT) | instid1(VALU_DEP_1)
	v_sub_f32_e32 v48, v48, v51
	v_add_f32_e32 v48, v48, v50
	v_cvt_i32_f32_e32 v50, v51
	s_delay_alu instid0(VALU_DEP_2) | instskip(NEXT) | instid1(TRANS32_DEP_1)
	v_exp_f32_e32 v48, v48
	v_ldexp_f32 v48, v48, v50
	s_wait_alu 0xfffd
	s_delay_alu instid0(VALU_DEP_1) | instskip(SKIP_2) | instid1(VALU_DEP_2)
	v_cndmask_b32_e32 v48, 0, v48, vcc_lo
	v_cmp_nlt_f32_e32 vcc_lo, 0x42b17218, v33
	s_wait_alu 0xfffd
	v_cndmask_b32_e32 v48, 0x7f800000, v48, vcc_lo
	v_cmp_ngt_f32_e32 vcc_lo, 0xc2ce8ed0, v38
	s_delay_alu instid0(VALU_DEP_2) | instskip(SKIP_1) | instid1(VALU_DEP_2)
	v_dual_add_f32 v33, v34, v48 :: v_dual_mul_f32 v34, 0x3fb8aa3b, v38
	v_cvt_f16_f32_e32 v56, v48
	v_fma_f32 v48, 0x3fb8aa3b, v38, -v34
	v_rndne_f32_e32 v50, v34
	s_delay_alu instid0(VALU_DEP_2) | instskip(NEXT) | instid1(VALU_DEP_2)
	v_fmac_f32_e32 v48, 0x32a5705f, v38
	v_sub_f32_e32 v34, v34, v50
	s_delay_alu instid0(VALU_DEP_1) | instskip(SKIP_1) | instid1(VALU_DEP_2)
	v_add_f32_e32 v34, v34, v48
	v_cvt_i32_f32_e32 v48, v50
	v_exp_f32_e32 v34, v34
	s_delay_alu instid0(TRANS32_DEP_1) | instskip(SKIP_1) | instid1(VALU_DEP_1)
	v_ldexp_f32 v34, v34, v48
	s_wait_alu 0xfffd
	v_cndmask_b32_e32 v34, 0, v34, vcc_lo
	v_cmp_nlt_f32_e32 vcc_lo, 0x42b17218, v38
	v_sub_f32_e32 v38, v175, v10
	s_wait_alu 0xfffd
	s_delay_alu instid0(VALU_DEP_3) | instskip(NEXT) | instid1(VALU_DEP_1)
	v_cndmask_b32_e32 v34, 0x7f800000, v34, vcc_lo
	v_fmac_f32_e32 v33, v174, v34
	v_cvt_f16_f32_e32 v34, v34
	s_delay_alu instid0(VALU_DEP_1) | instskip(NEXT) | instid1(VALU_DEP_1)
	v_and_b32_e32 v34, 0xffff, v34
	v_mul_u32_u24_e32 v34, 0x10001, v34
	s_delay_alu instid0(VALU_DEP_1) | instskip(SKIP_1) | instid1(VALU_DEP_1)
	v_pk_mul_f16 v48, v154, v34
	v_sub_f32_e32 v34, v49, v10
	v_mul_f32_e32 v49, 0x3fb8aa3b, v34
	v_cmp_ngt_f32_e32 vcc_lo, 0xc2ce8ed0, v34
	s_delay_alu instid0(VALU_DEP_2) | instskip(SKIP_1) | instid1(VALU_DEP_1)
	v_fma_f32 v50, 0x3fb8aa3b, v34, -v49
	v_rndne_f32_e32 v51, v49
	v_dual_fmac_f32 v50, 0x32a5705f, v34 :: v_dual_sub_f32 v49, v49, v51
	s_delay_alu instid0(VALU_DEP_1) | instskip(SKIP_1) | instid1(VALU_DEP_2)
	v_add_f32_e32 v49, v49, v50
	v_cvt_i32_f32_e32 v50, v51
	v_exp_f32_e32 v49, v49
	s_delay_alu instid0(TRANS32_DEP_1) | instskip(SKIP_1) | instid1(VALU_DEP_1)
	v_ldexp_f32 v49, v49, v50
	s_wait_alu 0xfffd
	v_cndmask_b32_e32 v49, 0, v49, vcc_lo
	v_fmac_f32_e32 v30, v180, v45
	v_cmp_nlt_f32_e32 vcc_lo, 0x42b17218, v34
	v_cvt_f16_f32_e32 v45, v45
	s_wait_alu 0xfffd
	v_cndmask_b32_e32 v34, 0x7f800000, v49, vcc_lo
	v_mul_f32_e32 v49, 0x3fb8aa3b, v37
	v_cmp_ngt_f32_e32 vcc_lo, 0xc2ce8ed0, v37
	v_and_b32_e32 v45, 0xffff, v45
	s_delay_alu instid0(VALU_DEP_4) | instskip(NEXT) | instid1(VALU_DEP_4)
	v_cvt_f16_f32_e32 v61, v34
	v_fma_f32 v50, 0x3fb8aa3b, v37, -v49
	v_rndne_f32_e32 v51, v49
	s_delay_alu instid0(VALU_DEP_4) | instskip(NEXT) | instid1(VALU_DEP_2)
	v_mul_u32_u24_e32 v45, 0x10001, v45
	v_dual_fmac_f32 v50, 0x32a5705f, v37 :: v_dual_sub_f32 v49, v49, v51
	s_delay_alu instid0(VALU_DEP_2) | instskip(NEXT) | instid1(VALU_DEP_2)
	v_pk_mul_f16 v45, v157, v45
	v_add_f32_e32 v49, v49, v50
	v_cvt_i32_f32_e32 v50, v51
	s_delay_alu instid0(VALU_DEP_2) | instskip(NEXT) | instid1(TRANS32_DEP_1)
	v_exp_f32_e32 v49, v49
	v_ldexp_f32 v49, v49, v50
	s_wait_alu 0xfffd
	s_delay_alu instid0(VALU_DEP_1) | instskip(SKIP_2) | instid1(VALU_DEP_2)
	v_cndmask_b32_e32 v49, 0, v49, vcc_lo
	v_cmp_nlt_f32_e32 vcc_lo, 0x42b17218, v37
	s_wait_alu 0xfffd
	v_cndmask_b32_e32 v37, 0x7f800000, v49, vcc_lo
	v_cmp_ngt_f32_e32 vcc_lo, 0xc2ce8ed0, v38
	s_delay_alu instid0(VALU_DEP_2) | instskip(SKIP_2) | instid1(VALU_DEP_1)
	v_add_f32_e32 v34, v34, v37
	v_cvt_f16_f32_e32 v58, v37
	v_mul_f32_e32 v37, 0x3fb8aa3b, v38
	v_fma_f32 v49, 0x3fb8aa3b, v38, -v37
	v_rndne_f32_e32 v50, v37
	s_delay_alu instid0(VALU_DEP_2) | instskip(NEXT) | instid1(VALU_DEP_2)
	v_fmac_f32_e32 v49, 0x32a5705f, v38
	v_sub_f32_e32 v37, v37, v50
	s_delay_alu instid0(VALU_DEP_1) | instskip(SKIP_1) | instid1(VALU_DEP_2)
	v_add_f32_e32 v37, v37, v49
	v_cvt_i32_f32_e32 v49, v50
	v_exp_f32_e32 v37, v37
	s_delay_alu instid0(TRANS32_DEP_1) | instskip(SKIP_1) | instid1(VALU_DEP_1)
	v_ldexp_f32 v37, v37, v49
	s_wait_alu 0xfffd
	v_cndmask_b32_e32 v37, 0, v37, vcc_lo
	v_cmp_nlt_f32_e32 vcc_lo, 0x42b17218, v38
	v_mul_f32_e32 v38, 0x3fb8aa3b, v36
	s_wait_alu 0xfffd
	s_delay_alu instid0(VALU_DEP_3) | instskip(NEXT) | instid1(VALU_DEP_2)
	v_cndmask_b32_e32 v37, 0x7f800000, v37, vcc_lo
	v_fma_f32 v50, 0x3fb8aa3b, v36, -v38
	v_rndne_f32_e32 v51, v38
	v_cmp_ngt_f32_e32 vcc_lo, 0xc2ce8ed0, v36
	s_delay_alu instid0(VALU_DEP_4) | instskip(NEXT) | instid1(VALU_DEP_4)
	v_fmac_f32_e32 v34, v172, v37
	v_fmac_f32_e32 v50, 0x32a5705f, v36
	s_delay_alu instid0(VALU_DEP_4) | instskip(SKIP_1) | instid1(VALU_DEP_1)
	v_sub_f32_e32 v38, v38, v51
	v_cvt_f16_f32_e32 v37, v37
	v_dual_add_f32 v38, v38, v50 :: v_dual_and_b32 v37, 0xffff, v37
	v_cvt_i32_f32_e32 v50, v51
	s_delay_alu instid0(VALU_DEP_2) | instskip(NEXT) | instid1(VALU_DEP_2)
	v_exp_f32_e32 v38, v38
	v_mul_u32_u24_e32 v37, 0x10001, v37
	s_delay_alu instid0(VALU_DEP_1) | instskip(SKIP_2) | instid1(TRANS32_DEP_1)
	v_pk_mul_f16 v49, v153, v37
	v_sub_f32_e32 v37, v173, v11
	v_cvt_f16_f32_e32 v46, v46
	v_ldexp_f32 v38, v38, v50
	s_delay_alu instid0(VALU_DEP_2) | instskip(SKIP_1) | instid1(VALU_DEP_2)
	v_and_b32_e32 v46, 0xffff, v46
	s_wait_alu 0xfffd
	v_cndmask_b32_e32 v38, 0, v38, vcc_lo
	v_cmp_nlt_f32_e32 vcc_lo, 0x42b17218, v36
	s_delay_alu instid0(VALU_DEP_3) | instskip(SKIP_1) | instid1(VALU_DEP_3)
	v_mul_u32_u24_e32 v46, 0x10001, v46
	s_wait_alu 0xfffd
	v_cndmask_b32_e32 v36, 0x7f800000, v38, vcc_lo
	v_mul_f32_e32 v38, 0x3fb8aa3b, v35
	v_cmp_ngt_f32_e32 vcc_lo, 0xc2ce8ed0, v35
	v_pk_mul_f16 v46, v156, v46
	s_delay_alu instid0(VALU_DEP_4) | instskip(NEXT) | instid1(VALU_DEP_4)
	v_cvt_f16_f32_e32 v62, v36
	v_fma_f32 v50, 0x3fb8aa3b, v35, -v38
	v_rndne_f32_e32 v51, v38
	s_delay_alu instid0(VALU_DEP_2) | instskip(NEXT) | instid1(VALU_DEP_2)
	v_fmac_f32_e32 v50, 0x32a5705f, v35
	v_sub_f32_e32 v38, v38, v51
	s_delay_alu instid0(VALU_DEP_1) | instskip(SKIP_1) | instid1(VALU_DEP_2)
	v_add_f32_e32 v38, v38, v50
	v_cvt_i32_f32_e32 v50, v51
	v_exp_f32_e32 v38, v38
	s_delay_alu instid0(TRANS32_DEP_1) | instskip(SKIP_1) | instid1(VALU_DEP_1)
	v_ldexp_f32 v38, v38, v50
	s_wait_alu 0xfffd
	v_cndmask_b32_e32 v38, 0, v38, vcc_lo
	v_cmp_nlt_f32_e32 vcc_lo, 0x42b17218, v35
	s_wait_alu 0xfffd
	s_delay_alu instid0(VALU_DEP_2) | instskip(SKIP_1) | instid1(VALU_DEP_2)
	v_cndmask_b32_e32 v38, 0x7f800000, v38, vcc_lo
	v_cmp_ngt_f32_e32 vcc_lo, 0xc2ce8ed0, v37
	v_dual_add_f32 v35, v36, v38 :: v_dual_mul_f32 v36, 0x3fb8aa3b, v37
	v_cvt_f16_f32_e32 v60, v38
	s_delay_alu instid0(VALU_DEP_2) | instskip(SKIP_1) | instid1(VALU_DEP_2)
	v_fma_f32 v38, 0x3fb8aa3b, v37, -v36
	v_rndne_f32_e32 v50, v36
	v_fmac_f32_e32 v38, 0x32a5705f, v37
	s_delay_alu instid0(VALU_DEP_2) | instskip(NEXT) | instid1(VALU_DEP_1)
	v_sub_f32_e32 v36, v36, v50
	v_add_f32_e32 v36, v36, v38
	v_cvt_i32_f32_e32 v38, v50
	s_delay_alu instid0(VALU_DEP_2) | instskip(NEXT) | instid1(TRANS32_DEP_1)
	v_exp_f32_e32 v36, v36
	v_ldexp_f32 v36, v36, v38
	s_wait_alu 0xfffd
	s_delay_alu instid0(VALU_DEP_1) | instskip(SKIP_3) | instid1(VALU_DEP_3)
	v_cndmask_b32_e32 v36, 0, v36, vcc_lo
	v_cmp_nlt_f32_e32 vcc_lo, 0x42b17218, v37
	v_sub_f32_e32 v37, v171, v12
	s_wait_alu 0xfffd
	v_cndmask_b32_e32 v36, 0x7f800000, v36, vcc_lo
	v_cmp_ngt_f32_e32 vcc_lo, 0xc2ce8ed0, v23
	s_delay_alu instid0(VALU_DEP_2) | instskip(SKIP_1) | instid1(VALU_DEP_1)
	v_fmac_f32_e32 v35, v170, v36
	v_cvt_f16_f32_e32 v36, v36
	v_and_b32_e32 v36, 0xffff, v36
	s_delay_alu instid0(VALU_DEP_1) | instskip(NEXT) | instid1(VALU_DEP_1)
	v_mul_u32_u24_e32 v36, 0x10001, v36
	v_pk_mul_f16 v50, v152, v36
	v_mul_f32_e32 v36, 0x3fb8aa3b, v23
	s_delay_alu instid0(VALU_DEP_1) | instskip(SKIP_1) | instid1(VALU_DEP_2)
	v_fma_f32 v38, 0x3fb8aa3b, v23, -v36
	v_rndne_f32_e32 v51, v36
	v_fmac_f32_e32 v38, 0x32a5705f, v23
	s_delay_alu instid0(VALU_DEP_2) | instskip(NEXT) | instid1(VALU_DEP_1)
	v_sub_f32_e32 v36, v36, v51
	v_add_f32_e32 v36, v36, v38
	v_cvt_i32_f32_e32 v38, v51
	s_delay_alu instid0(VALU_DEP_2) | instskip(NEXT) | instid1(TRANS32_DEP_1)
	v_exp_f32_e32 v36, v36
	v_ldexp_f32 v36, v36, v38
	s_wait_alu 0xfffd
	s_delay_alu instid0(VALU_DEP_1) | instskip(SKIP_2) | instid1(VALU_DEP_2)
	v_cndmask_b32_e32 v36, 0, v36, vcc_lo
	v_cmp_nlt_f32_e32 vcc_lo, 0x42b17218, v23
	s_wait_alu 0xfffd
	v_cndmask_b32_e32 v23, 0x7f800000, v36, vcc_lo
	v_mul_f32_e32 v36, 0x3fb8aa3b, v22
	v_cmp_ngt_f32_e32 vcc_lo, 0xc2ce8ed0, v22
	s_delay_alu instid0(VALU_DEP_3) | instskip(NEXT) | instid1(VALU_DEP_3)
	v_cvt_f16_f32_e32 v63, v23
	v_fma_f32 v38, 0x3fb8aa3b, v22, -v36
	v_rndne_f32_e32 v51, v36
	s_delay_alu instid0(VALU_DEP_2) | instskip(NEXT) | instid1(VALU_DEP_2)
	v_fmac_f32_e32 v38, 0x32a5705f, v22
	v_sub_f32_e32 v36, v36, v51
	s_delay_alu instid0(VALU_DEP_1) | instskip(SKIP_1) | instid1(VALU_DEP_2)
	v_add_f32_e32 v36, v36, v38
	v_cvt_i32_f32_e32 v38, v51
	v_exp_f32_e32 v36, v36
	s_delay_alu instid0(TRANS32_DEP_1) | instskip(SKIP_1) | instid1(VALU_DEP_1)
	v_ldexp_f32 v36, v36, v38
	s_wait_alu 0xfffd
	v_cndmask_b32_e32 v36, 0, v36, vcc_lo
	v_cmp_nlt_f32_e32 vcc_lo, 0x42b17218, v22
	s_wait_alu 0xfffd
	s_delay_alu instid0(VALU_DEP_2) | instskip(SKIP_1) | instid1(VALU_DEP_2)
	v_cndmask_b32_e32 v22, 0x7f800000, v36, vcc_lo
	v_cmp_ngt_f32_e32 vcc_lo, 0xc2ce8ed0, v37
	v_dual_add_f32 v36, v23, v22 :: v_dual_mul_f32 v23, 0x3fb8aa3b, v37
	v_cvt_f16_f32_e32 v22, v22
	s_delay_alu instid0(VALU_DEP_2) | instskip(SKIP_1) | instid1(VALU_DEP_1)
	v_fma_f32 v38, 0x3fb8aa3b, v37, -v23
	v_rndne_f32_e32 v51, v23
	v_dual_fmac_f32 v38, 0x32a5705f, v37 :: v_dual_sub_f32 v23, v23, v51
	s_delay_alu instid0(VALU_DEP_1) | instskip(SKIP_1) | instid1(VALU_DEP_2)
	v_add_f32_e32 v23, v23, v38
	v_cvt_i32_f32_e32 v38, v51
	v_exp_f32_e32 v23, v23
	s_delay_alu instid0(TRANS32_DEP_1) | instskip(SKIP_1) | instid1(VALU_DEP_1)
	v_ldexp_f32 v23, v23, v38
	s_wait_alu 0xfffd
	v_cndmask_b32_e32 v23, 0, v23, vcc_lo
	v_cmp_nlt_f32_e32 vcc_lo, 0x42b17218, v37
	v_mul_f32_e32 v37, 0x3fb8aa3b, v21
	s_wait_alu 0xfffd
	s_delay_alu instid0(VALU_DEP_3) | instskip(NEXT) | instid1(VALU_DEP_2)
	v_cndmask_b32_e32 v23, 0x7f800000, v23, vcc_lo
	v_fma_f32 v38, 0x3fb8aa3b, v21, -v37
	v_rndne_f32_e32 v52, v37
	v_cmp_ngt_f32_e32 vcc_lo, 0xc2ce8ed0, v21
	s_delay_alu instid0(VALU_DEP_4) | instskip(NEXT) | instid1(VALU_DEP_3)
	v_fmac_f32_e32 v36, v168, v23
	v_dual_fmac_f32 v38, 0x32a5705f, v21 :: v_dual_sub_f32 v37, v37, v52
	v_cvt_f16_f32_e32 v23, v23
	s_delay_alu instid0(VALU_DEP_2) | instskip(SKIP_1) | instid1(VALU_DEP_3)
	v_add_f32_e32 v37, v37, v38
	v_cvt_i32_f32_e32 v38, v52
	v_and_b32_e32 v23, 0xffff, v23
	s_delay_alu instid0(VALU_DEP_3) | instskip(NEXT) | instid1(VALU_DEP_1)
	v_exp_f32_e32 v37, v37
	v_mul_u32_u24_e32 v23, 0x10001, v23
	s_delay_alu instid0(VALU_DEP_1) | instskip(SKIP_1) | instid1(TRANS32_DEP_1)
	v_pk_mul_f16 v51, v151, v23
	v_sub_f32_e32 v23, v169, v13
	v_ldexp_f32 v37, v37, v38
	s_wait_alu 0xfffd
	s_delay_alu instid0(VALU_DEP_1) | instskip(SKIP_2) | instid1(VALU_DEP_2)
	v_cndmask_b32_e32 v37, 0, v37, vcc_lo
	v_cmp_nlt_f32_e32 vcc_lo, 0x42b17218, v21
	s_wait_alu 0xfffd
	v_cndmask_b32_e32 v21, 0x7f800000, v37, vcc_lo
	v_mul_f32_e32 v37, 0x3fb8aa3b, v20
	v_cmp_ngt_f32_e32 vcc_lo, 0xc2ce8ed0, v20
	s_delay_alu instid0(VALU_DEP_3) | instskip(NEXT) | instid1(VALU_DEP_3)
	v_cvt_f16_f32_e32 v80, v21
	v_fma_f32 v38, 0x3fb8aa3b, v20, -v37
	v_rndne_f32_e32 v52, v37
	s_delay_alu instid0(VALU_DEP_2) | instskip(NEXT) | instid1(VALU_DEP_2)
	v_fmac_f32_e32 v38, 0x32a5705f, v20
	v_sub_f32_e32 v37, v37, v52
	s_delay_alu instid0(VALU_DEP_1) | instskip(SKIP_1) | instid1(VALU_DEP_2)
	v_add_f32_e32 v37, v37, v38
	v_cvt_i32_f32_e32 v38, v52
	v_exp_f32_e32 v37, v37
	s_delay_alu instid0(TRANS32_DEP_1) | instskip(SKIP_1) | instid1(VALU_DEP_1)
	v_ldexp_f32 v37, v37, v38
	s_wait_alu 0xfffd
	v_cndmask_b32_e32 v37, 0, v37, vcc_lo
	v_cmp_nlt_f32_e32 vcc_lo, 0x42b17218, v20
	s_wait_alu 0xfffd
	s_delay_alu instid0(VALU_DEP_2) | instskip(SKIP_1) | instid1(VALU_DEP_2)
	v_cndmask_b32_e32 v20, 0x7f800000, v37, vcc_lo
	v_cmp_ngt_f32_e32 vcc_lo, 0xc2ce8ed0, v23
	v_add_f32_e32 v37, v21, v20
	v_mul_f32_e32 v21, 0x3fb8aa3b, v23
	v_cvt_f16_f32_e32 v20, v20
	s_delay_alu instid0(VALU_DEP_2) | instskip(SKIP_1) | instid1(VALU_DEP_1)
	v_fma_f32 v38, 0x3fb8aa3b, v23, -v21
	v_rndne_f32_e32 v52, v21
	v_dual_fmac_f32 v38, 0x32a5705f, v23 :: v_dual_sub_f32 v21, v21, v52
	s_delay_alu instid0(VALU_DEP_1) | instskip(SKIP_1) | instid1(VALU_DEP_2)
	v_add_f32_e32 v21, v21, v38
	v_cvt_i32_f32_e32 v38, v52
	v_exp_f32_e32 v21, v21
	s_delay_alu instid0(TRANS32_DEP_1) | instskip(SKIP_1) | instid1(VALU_DEP_1)
	v_ldexp_f32 v21, v21, v38
	s_wait_alu 0xfffd
	v_cndmask_b32_e32 v21, 0, v21, vcc_lo
	v_cmp_nlt_f32_e32 vcc_lo, 0x42b17218, v23
	v_mul_f32_e32 v23, 0x3fb8aa3b, v19
	s_wait_alu 0xfffd
	s_delay_alu instid0(VALU_DEP_3) | instskip(NEXT) | instid1(VALU_DEP_2)
	v_cndmask_b32_e32 v21, 0x7f800000, v21, vcc_lo
	v_fma_f32 v38, 0x3fb8aa3b, v19, -v23
	v_rndne_f32_e32 v53, v23
	v_cmp_ngt_f32_e32 vcc_lo, 0xc2ce8ed0, v19
	s_delay_alu instid0(VALU_DEP_3) | instskip(NEXT) | instid1(VALU_DEP_3)
	v_dual_fmac_f32 v37, v166, v21 :: v_dual_fmac_f32 v38, 0x32a5705f, v19
	v_sub_f32_e32 v23, v23, v53
	v_cvt_f16_f32_e32 v21, v21
	s_delay_alu instid0(VALU_DEP_2) | instskip(SKIP_1) | instid1(VALU_DEP_3)
	v_add_f32_e32 v23, v23, v38
	v_cvt_i32_f32_e32 v38, v53
	v_and_b32_e32 v21, 0xffff, v21
	s_delay_alu instid0(VALU_DEP_3) | instskip(NEXT) | instid1(VALU_DEP_1)
	v_exp_f32_e32 v23, v23
	v_mul_u32_u24_e32 v21, 0x10001, v21
	s_delay_alu instid0(VALU_DEP_1) | instskip(SKIP_1) | instid1(TRANS32_DEP_1)
	v_pk_mul_f16 v52, v150, v21
	v_sub_f32_e32 v21, v167, v14
	v_ldexp_f32 v23, v23, v38
	s_wait_alu 0xfffd
	s_delay_alu instid0(VALU_DEP_1) | instskip(NEXT) | instid1(VALU_DEP_1)
	v_dual_mul_f32 v38, 0x3fb8aa3b, v18 :: v_dual_cndmask_b32 v23, 0, v23
	v_fma_f32 v53, 0x3fb8aa3b, v18, -v38
	v_rndne_f32_e32 v54, v38
	v_cmp_nlt_f32_e32 vcc_lo, 0x42b17218, v19
	s_delay_alu instid0(VALU_DEP_3) | instskip(SKIP_1) | instid1(VALU_DEP_3)
	v_fmac_f32_e32 v53, 0x32a5705f, v18
	s_wait_alu 0xfffd
	v_dual_sub_f32 v38, v38, v54 :: v_dual_cndmask_b32 v19, 0x7f800000, v23
	v_cmp_ngt_f32_e32 vcc_lo, 0xc2ce8ed0, v18
	s_delay_alu instid0(VALU_DEP_2) | instskip(SKIP_1) | instid1(VALU_DEP_4)
	v_add_f32_e32 v38, v38, v53
	v_cvt_i32_f32_e32 v53, v54
	v_cvt_f16_f32_e32 v23, v19
	s_delay_alu instid0(VALU_DEP_3) | instskip(NEXT) | instid1(TRANS32_DEP_1)
	v_exp_f32_e32 v38, v38
	v_ldexp_f32 v38, v38, v53
	s_wait_alu 0xfffd
	s_delay_alu instid0(VALU_DEP_1) | instskip(SKIP_2) | instid1(VALU_DEP_2)
	v_cndmask_b32_e32 v38, 0, v38, vcc_lo
	v_cmp_nlt_f32_e32 vcc_lo, 0x42b17218, v18
	s_wait_alu 0xfffd
	v_cndmask_b32_e32 v18, 0x7f800000, v38, vcc_lo
	v_cmp_ngt_f32_e32 vcc_lo, 0xc2ce8ed0, v21
	s_delay_alu instid0(VALU_DEP_2) | instskip(SKIP_2) | instid1(VALU_DEP_1)
	v_add_f32_e32 v38, v19, v18
	v_cvt_f16_f32_e32 v81, v18
	v_mul_f32_e32 v18, 0x3fb8aa3b, v21
	v_fma_f32 v19, 0x3fb8aa3b, v21, -v18
	v_rndne_f32_e32 v53, v18
	s_delay_alu instid0(VALU_DEP_2) | instskip(NEXT) | instid1(VALU_DEP_2)
	v_fmac_f32_e32 v19, 0x32a5705f, v21
	v_sub_f32_e32 v18, v18, v53
	s_delay_alu instid0(VALU_DEP_1) | instskip(SKIP_1) | instid1(VALU_DEP_2)
	v_add_f32_e32 v18, v18, v19
	v_cvt_i32_f32_e32 v19, v53
	v_exp_f32_e32 v18, v18
	s_delay_alu instid0(TRANS32_DEP_1) | instskip(SKIP_1) | instid1(VALU_DEP_1)
	v_ldexp_f32 v18, v18, v19
	s_wait_alu 0xfffd
	v_dual_mul_f32 v19, 0x3fb8aa3b, v17 :: v_dual_cndmask_b32 v18, 0, v18
	v_cmp_nlt_f32_e32 vcc_lo, 0x42b17218, v21
	s_delay_alu instid0(VALU_DEP_2) | instskip(SKIP_3) | instid1(VALU_DEP_3)
	v_fma_f32 v21, 0x3fb8aa3b, v17, -v19
	v_rndne_f32_e32 v54, v19
	s_wait_alu 0xfffd
	v_cndmask_b32_e32 v18, 0x7f800000, v18, vcc_lo
	v_fmac_f32_e32 v21, 0x32a5705f, v17
	s_delay_alu instid0(VALU_DEP_3) | instskip(SKIP_1) | instid1(VALU_DEP_4)
	v_sub_f32_e32 v19, v19, v54
	v_cmp_ngt_f32_e32 vcc_lo, 0xc2ce8ed0, v17
	v_fmac_f32_e32 v38, v164, v18
	v_cvt_f16_f32_e32 v18, v18
	s_delay_alu instid0(VALU_DEP_4) | instskip(SKIP_1) | instid1(VALU_DEP_3)
	v_add_f32_e32 v19, v19, v21
	v_cvt_i32_f32_e32 v21, v54
	v_and_b32_e32 v18, 0xffff, v18
	s_delay_alu instid0(VALU_DEP_3) | instskip(NEXT) | instid1(VALU_DEP_1)
	v_exp_f32_e32 v19, v19
	v_mul_u32_u24_e32 v18, 0x10001, v18
	s_delay_alu instid0(VALU_DEP_1) | instskip(NEXT) | instid1(TRANS32_DEP_1)
	v_pk_mul_f16 v53, v149, v18
	v_ldexp_f32 v19, v19, v21
	v_dual_mul_f32 v21, 0x3fb8aa3b, v16 :: v_dual_sub_f32 v18, v165, v15
	s_wait_alu 0xfffd
	s_delay_alu instid0(VALU_DEP_2) | instskip(NEXT) | instid1(VALU_DEP_2)
	v_cndmask_b32_e32 v19, 0, v19, vcc_lo
	v_fma_f32 v54, 0x3fb8aa3b, v16, -v21
	v_rndne_f32_e32 v82, v21
	v_cmp_nlt_f32_e32 vcc_lo, 0x42b17218, v17
	s_delay_alu instid0(VALU_DEP_2) | instskip(SKIP_3) | instid1(VALU_DEP_3)
	v_dual_fmac_f32 v54, 0x32a5705f, v16 :: v_dual_sub_f32 v21, v21, v82
	s_wait_alu 0xfffd
	v_cndmask_b32_e32 v17, 0x7f800000, v19, vcc_lo
	v_cmp_ngt_f32_e32 vcc_lo, 0xc2ce8ed0, v16
	v_add_f32_e32 v21, v21, v54
	v_cvt_i32_f32_e32 v54, v82
	s_delay_alu instid0(VALU_DEP_4) | instskip(NEXT) | instid1(VALU_DEP_3)
	v_cvt_f16_f32_e32 v19, v17
	v_exp_f32_e32 v21, v21
	s_delay_alu instid0(VALU_DEP_1) | instskip(NEXT) | instid1(TRANS32_DEP_1)
	v_pack_b32_f16 v19, v23, v19
	v_ldexp_f32 v21, v21, v54
	s_wait_alu 0xfffd
	s_delay_alu instid0(VALU_DEP_1) | instskip(SKIP_2) | instid1(VALU_DEP_2)
	v_cndmask_b32_e32 v21, 0, v21, vcc_lo
	v_cmp_nlt_f32_e32 vcc_lo, 0x42b17218, v16
	s_wait_alu 0xfffd
	v_cndmask_b32_e32 v16, 0x7f800000, v21, vcc_lo
	v_cmp_ngt_f32_e32 vcc_lo, 0xc2ce8ed0, v18
	s_delay_alu instid0(VALU_DEP_2) | instskip(SKIP_2) | instid1(VALU_DEP_1)
	v_add_f32_e32 v17, v17, v16
	v_cvt_f16_f32_e32 v21, v16
	v_mul_f32_e32 v16, 0x3fb8aa3b, v18
	v_fma_f32 v54, 0x3fb8aa3b, v18, -v16
	v_rndne_f32_e32 v82, v16
	s_delay_alu instid0(VALU_DEP_2) | instskip(NEXT) | instid1(VALU_DEP_2)
	v_fmac_f32_e32 v54, 0x32a5705f, v18
	v_sub_f32_e32 v16, v16, v82
	s_delay_alu instid0(VALU_DEP_1) | instskip(SKIP_1) | instid1(VALU_DEP_2)
	v_add_f32_e32 v16, v16, v54
	v_cvt_i32_f32_e32 v54, v82
	v_exp_f32_e32 v16, v16
	s_delay_alu instid0(TRANS32_DEP_1) | instskip(SKIP_1) | instid1(VALU_DEP_1)
	v_ldexp_f32 v16, v16, v54
	s_wait_alu 0xfffd
	v_cndmask_b32_e32 v16, 0, v16, vcc_lo
	v_cmp_nlt_f32_e32 vcc_lo, 0x42b17218, v18
	v_mov_b32_e32 v18, v112
	v_mov_b32_e32 v112, v17
	v_pack_b32_f16 v17, v61, v62
	s_wait_alu 0xfffd
	v_cndmask_b32_e32 v16, 0x7f800000, v16, vcc_lo
	s_delay_alu instid0(VALU_DEP_1) | instskip(SKIP_2) | instid1(VALU_DEP_2)
	v_fmac_f32_e32 v112, v18, v16
	v_cvt_f16_f32_e32 v16, v16
	v_pack_b32_f16 v18, v63, v80
	v_and_b32_e32 v16, 0xffff, v16
	s_delay_alu instid0(VALU_DEP_1) | instskip(NEXT) | instid1(VALU_DEP_1)
	v_mul_u32_u24_e32 v16, 0x10001, v16
	v_pk_mul_f16 v54, v148, v16
	v_pack_b32_f16 v16, v57, v59
	ds_store_b128 v140, v[16:19] offset:1024
	v_pack_b32_f16 v19, v81, v21
	v_pack_b32_f16 v18, v22, v20
	;; [unrolled: 1-line block ×4, first 2 shown]
	ds_store_b128 v140, v[16:19] offset:1536
	s_wait_alu 0xfffe
	v_add_co_u32 v16, vcc_lo, s24, v72
	s_wait_alu 0xfffd
	v_add_co_ci_u32_e64 v17, null, s25, v73, vcc_lo
	s_delay_alu instid0(VALU_DEP_2) | instskip(SKIP_1) | instid1(VALU_DEP_2)
	v_add_co_u32 v22, vcc_lo, v16, v139
	s_wait_alu 0xfffd
	v_add_co_ci_u32_e64 v23, null, 0, v17, vcc_lo
	v_add_co_u32 v16, vcc_lo, s24, v74
	s_wait_alu 0xfffd
	v_add_co_ci_u32_e64 v17, null, s25, v75, vcc_lo
	global_load_b128 v[55:58], v[22:23], off
	v_add_co_u32 v20, vcc_lo, v16, v139
	s_wait_alu 0xfffd
	v_add_co_ci_u32_e64 v21, null, 0, v17, vcc_lo
	v_add_co_u32 v16, vcc_lo, s24, v76
	s_wait_alu 0xfffd
	v_add_co_ci_u32_e64 v17, null, s25, v77, vcc_lo
	global_load_b128 v[20:23], v[20:21], off
	v_add_co_u32 v18, vcc_lo, v16, v139
	s_wait_alu 0xfffd
	v_add_co_ci_u32_e64 v19, null, 0, v17, vcc_lo
	v_add_co_u32 v16, vcc_lo, s24, v78
	s_wait_alu 0xfffd
	v_add_co_ci_u32_e64 v17, null, s25, v79, vcc_lo
	s_delay_alu instid0(VALU_DEP_2) | instskip(SKIP_1) | instid1(VALU_DEP_2)
	v_add_co_u32 v16, vcc_lo, v16, v139
	s_wait_alu 0xfffd
	v_add_co_ci_u32_e64 v17, null, 0, v17, vcc_lo
	s_wait_loadcnt 0x1
	ds_store_b128 v134, v[55:58]
	s_wait_loadcnt 0x0
	ds_store_b128 v136, v[20:23]
	global_load_b128 v[18:21], v[18:19], off
	s_wait_loadcnt 0x0
	ds_store_b128 v137, v[18:21]
	global_load_b128 v[16:19], v[16:17], off
	s_wait_loadcnt 0x0
	ds_store_b128 v138, v[16:19]
	s_wait_dscnt 0x0
	s_barrier_signal -1
	s_barrier_wait -1
	global_inv scope:SCOPE_SE
	ds_load_2addr_b32 v[80:81], v119 offset1:32
	ds_load_b128 v[16:19], v135
	ds_load_b128 v[20:23], v135 offset:16
	ds_load_b128 v[55:58], v135 offset:32
	ds_load_b128 v[59:62], v135 offset:48
	s_wait_dscnt 0x3
	v_lshrrev_b32_e32 v63, 16, v16
	v_and_b32_e32 v16, 0xffff, v16
	v_lshrrev_b32_e32 v82, 16, v17
	v_lshrrev_b32_e32 v83, 16, v18
	;; [unrolled: 1-line block ×3, first 2 shown]
	v_mul_u32_u24_e32 v63, 0x10001, v63
	v_mul_u32_u24_e32 v85, 0x10001, v16
	v_and_b32_e32 v16, 0xffff, v17
	v_mul_u32_u24_e32 v82, 0x10001, v82
	v_mul_u32_u24_e32 v83, 0x10001, v83
	v_pk_fma_f16 v40, v80, v63, v40
	v_mul_u32_u24_e32 v84, 0x10001, v84
	v_mul_u32_u24_e32 v86, 0x10001, v16
	v_and_b32_e32 v16, 0xffff, v18
	v_pk_fma_f16 v39, v80, v85, v39
	v_pk_fma_f16 v42, v80, v82, v42
	;; [unrolled: 1-line block ×4, first 2 shown]
	v_mul_u32_u24_e32 v87, 0x10001, v16
	v_and_b32_e32 v16, 0xffff, v19
	v_pk_fma_f16 v46, v80, v84, v46
	s_delay_alu instid0(VALU_DEP_3) | instskip(NEXT) | instid1(VALU_DEP_3)
	v_pk_fma_f16 v43, v80, v87, v43
	v_mul_u32_u24_e32 v88, 0x10001, v16
	ds_load_b128 v[16:19], v135 offset:1024
	v_pk_fma_f16 v45, v80, v88, v45
	s_wait_dscnt 0x0
	v_lshrrev_b32_e32 v89, 16, v16
	v_and_b32_e32 v16, 0xffff, v16
	v_lshrrev_b32_e32 v90, 16, v17
	v_and_b32_e32 v17, 0xffff, v17
	v_lshrrev_b32_e32 v91, 16, v18
	v_lshrrev_b32_e32 v92, 16, v19
	v_mul_u32_u24_e32 v16, 0x10001, v16
	v_and_b32_e32 v18, 0xffff, v18
	v_mul_u32_u24_e32 v17, 0x10001, v17
	v_and_b32_e32 v19, 0xffff, v19
	v_mul_u32_u24_e32 v89, 0x10001, v89
	v_pk_fma_f16 v47, v80, v16, v47
	v_lshrrev_b32_e32 v16, 16, v20
	v_mul_u32_u24_e32 v18, 0x10001, v18
	v_mul_u32_u24_e32 v19, 0x10001, v19
	v_pk_fma_f16 v49, v80, v17, v49
	v_lshrrev_b32_e32 v17, 16, v21
	v_mul_u32_u24_e32 v63, 0x10001, v16
	v_and_b32_e32 v16, 0xffff, v21
	v_mul_u32_u24_e32 v90, 0x10001, v90
	v_mul_u32_u24_e32 v91, 0x10001, v91
	;; [unrolled: 1-line block ×3, first 2 shown]
	v_pk_fma_f16 v51, v80, v18, v51
	v_mul_u32_u24_e32 v21, 0x10001, v16
	v_and_b32_e32 v16, 0xffff, v22
	v_pk_fma_f16 v53, v80, v19, v53
	v_lshrrev_b32_e32 v18, 16, v22
	v_lshrrev_b32_e32 v19, 16, v23
	v_pk_fma_f16 v48, v80, v89, v48
	v_mul_u32_u24_e32 v22, 0x10001, v16
	v_and_b32_e32 v16, 0xffff, v23
	v_pk_fma_f16 v50, v80, v90, v50
	v_pk_fma_f16 v52, v80, v91, v52
	;; [unrolled: 1-line block ×3, first 2 shown]
	v_mul_u32_u24_e32 v80, 0x10001, v17
	v_mul_u32_u24_e32 v82, 0x10001, v18
	;; [unrolled: 1-line block ×4, first 2 shown]
	ds_load_b128 v[16:19], v135 offset:1040
	v_pk_fma_f16 v22, v81, v22, v43
	v_pk_fma_f16 v43, v81, v82, v44
	;; [unrolled: 1-line block ×4, first 2 shown]
	v_and_b32_e32 v20, 0xffff, v20
	v_pk_fma_f16 v40, v81, v63, v40
	v_pk_fma_f16 v42, v81, v80, v42
	;; [unrolled: 1-line block ×3, first 2 shown]
	s_delay_alu instid0(VALU_DEP_4) | instskip(NEXT) | instid1(VALU_DEP_1)
	v_mul_u32_u24_e32 v20, 0x10001, v20
	v_pk_fma_f16 v39, v81, v20, v39
	ds_load_2addr_b32 v[20:21], v119 offset0:64 offset1:96
	s_wait_dscnt 0x1
	v_lshrrev_b32_e32 v84, 16, v16
	v_and_b32_e32 v16, 0xffff, v16
	v_lshrrev_b32_e32 v85, 16, v17
	v_lshrrev_b32_e32 v86, 16, v18
	;; [unrolled: 1-line block ×3, first 2 shown]
	v_mul_u32_u24_e32 v84, 0x10001, v84
	v_mul_u32_u24_e32 v16, 0x10001, v16
	v_and_b32_e32 v17, 0xffff, v17
	v_mul_u32_u24_e32 v85, 0x10001, v85
	v_and_b32_e32 v18, 0xffff, v18
	;; [unrolled: 2-line block ×3, first 2 shown]
	v_mul_u32_u24_e32 v87, 0x10001, v87
	v_pk_fma_f16 v45, v81, v16, v47
	v_lshrrev_b32_e32 v16, 16, v55
	v_mul_u32_u24_e32 v17, 0x10001, v17
	v_mul_u32_u24_e32 v18, 0x10001, v18
	;; [unrolled: 1-line block ×3, first 2 shown]
	v_pk_fma_f16 v46, v81, v84, v48
	v_pk_fma_f16 v48, v81, v85, v50
	;; [unrolled: 1-line block ×4, first 2 shown]
	v_mul_u32_u24_e32 v54, 0x10001, v16
	v_and_b32_e32 v16, 0xffff, v56
	v_pk_fma_f16 v47, v81, v17, v49
	v_pk_fma_f16 v49, v81, v18, v51
	v_pk_fma_f16 v51, v81, v19, v53
	v_and_b32_e32 v53, 0xffff, v55
	v_mul_u32_u24_e32 v55, 0x10001, v16
	v_and_b32_e32 v16, 0xffff, v57
	v_lshrrev_b32_e32 v17, 16, v56
	v_lshrrev_b32_e32 v18, 16, v57
	;; [unrolled: 1-line block ×3, first 2 shown]
	v_mul_u32_u24_e32 v53, 0x10001, v53
	v_mul_u32_u24_e32 v57, 0x10001, v16
	v_and_b32_e32 v16, 0xffff, v58
	v_mul_u32_u24_e32 v56, 0x10001, v17
	v_mul_u32_u24_e32 v63, 0x10001, v18
	;; [unrolled: 1-line block ×3, first 2 shown]
	s_wait_dscnt 0x0
	v_pk_fma_f16 v39, v20, v53, v39
	v_mul_u32_u24_e32 v58, 0x10001, v16
	ds_load_b128 v[16:19], v135 offset:1056
	v_pk_fma_f16 v40, v20, v54, v40
	v_pk_fma_f16 v42, v20, v56, v42
	;; [unrolled: 1-line block ×7, first 2 shown]
	s_wait_dscnt 0x0
	v_lshrrev_b32_e32 v81, 16, v16
	v_and_b32_e32 v16, 0xffff, v16
	v_lshrrev_b32_e32 v82, 16, v17
	v_lshrrev_b32_e32 v83, 16, v18
	;; [unrolled: 1-line block ×3, first 2 shown]
	v_and_b32_e32 v17, 0xffff, v17
	v_mul_u32_u24_e32 v16, 0x10001, v16
	v_and_b32_e32 v18, 0xffff, v18
	v_and_b32_e32 v19, 0xffff, v19
	v_mul_u32_u24_e32 v81, 0x10001, v81
	v_mul_u32_u24_e32 v17, 0x10001, v17
	v_pk_fma_f16 v45, v20, v16, v45
	v_lshrrev_b32_e32 v16, 16, v59
	v_mul_u32_u24_e32 v18, 0x10001, v18
	v_mul_u32_u24_e32 v19, 0x10001, v19
	;; [unrolled: 1-line block ×5, first 2 shown]
	v_and_b32_e32 v16, 0xffff, v60
	v_mul_u32_u24_e32 v84, 0x10001, v84
	v_pk_fma_f16 v47, v20, v17, v47
	v_pk_fma_f16 v49, v20, v18, v49
	;; [unrolled: 1-line block ×3, first 2 shown]
	v_mul_u32_u24_e32 v54, 0x10001, v16
	v_and_b32_e32 v16, 0xffff, v61
	v_lshrrev_b32_e32 v17, 16, v60
	v_lshrrev_b32_e32 v18, 16, v61
	;; [unrolled: 1-line block ×3, first 2 shown]
	v_pk_fma_f16 v46, v20, v81, v46
	v_mul_u32_u24_e32 v56, 0x10001, v16
	v_and_b32_e32 v16, 0xffff, v62
	v_pk_fma_f16 v48, v20, v82, v48
	v_pk_fma_f16 v50, v20, v83, v50
	;; [unrolled: 1-line block ×3, first 2 shown]
	v_and_b32_e32 v52, 0xffff, v59
	v_mul_u32_u24_e32 v55, 0x10001, v17
	v_mul_u32_u24_e32 v57, 0x10001, v18
	v_mul_u32_u24_e32 v58, 0x10001, v16
	v_mul_u32_u24_e32 v59, 0x10001, v19
	ds_load_b128 v[16:19], v135 offset:1072
	v_mul_u32_u24_e32 v52, 0x10001, v52
	v_pk_fma_f16 v40, v21, v53, v40
	v_pk_fma_f16 v41, v21, v54, v41
	v_pk_fma_f16 v42, v21, v55, v42
	v_pk_fma_f16 v22, v21, v56, v22
	v_pk_fma_f16 v39, v21, v52, v39
	v_pk_fma_f16 v43, v21, v57, v43
	v_pk_fma_f16 v23, v21, v58, v23
	v_pk_fma_f16 v44, v21, v59, v44
	s_wait_dscnt 0x0
	v_lshrrev_b32_e32 v60, 16, v16
	v_lshrrev_b32_e32 v61, 16, v17
	;; [unrolled: 1-line block ×4, first 2 shown]
	v_and_b32_e32 v16, 0xffff, v16
	v_and_b32_e32 v17, 0xffff, v17
	;; [unrolled: 1-line block ×4, first 2 shown]
	v_mul_u32_u24_e32 v60, 0x10001, v60
	v_mul_u32_u24_e32 v16, 0x10001, v16
	v_mul_u32_u24_e32 v17, 0x10001, v17
	v_mul_u32_u24_e32 v61, 0x10001, v61
	v_mul_u32_u24_e32 v18, 0x10001, v18
	v_mul_u32_u24_e32 v62, 0x10001, v62
	v_mul_u32_u24_e32 v19, 0x10001, v19
	v_mul_u32_u24_e32 v63, 0x10001, v63
	v_pk_fma_f16 v45, v21, v16, v45
	v_pk_fma_f16 v46, v21, v60, v46
	;; [unrolled: 1-line block ×8, first 2 shown]
	ds_load_2addr_b32 v[20:21], v119 offset0:128 offset1:160
	ds_load_b128 v[16:19], v135 offset:64
	s_wait_dscnt 0x0
	v_lshrrev_b32_e32 v53, 16, v16
	v_and_b32_e32 v16, 0xffff, v16
	v_lshrrev_b32_e32 v54, 16, v17
	v_lshrrev_b32_e32 v55, 16, v18
	;; [unrolled: 1-line block ×3, first 2 shown]
	v_mul_u32_u24_e32 v53, 0x10001, v53
	v_mul_u32_u24_e32 v57, 0x10001, v16
	v_and_b32_e32 v16, 0xffff, v17
	v_mul_u32_u24_e32 v54, 0x10001, v54
	v_mul_u32_u24_e32 v55, 0x10001, v55
	v_mul_u32_u24_e32 v56, 0x10001, v56
	v_pk_fma_f16 v39, v20, v57, v39
	v_mul_u32_u24_e32 v58, 0x10001, v16
	v_and_b32_e32 v16, 0xffff, v18
	v_pk_fma_f16 v40, v20, v53, v40
	v_pk_fma_f16 v42, v20, v54, v42
	;; [unrolled: 1-line block ×4, first 2 shown]
	v_mul_u32_u24_e32 v59, 0x10001, v16
	v_and_b32_e32 v16, 0xffff, v19
	v_pk_fma_f16 v44, v20, v56, v44
	s_delay_alu instid0(VALU_DEP_3) | instskip(NEXT) | instid1(VALU_DEP_3)
	v_pk_fma_f16 v22, v20, v59, v22
	v_mul_u32_u24_e32 v60, 0x10001, v16
	ds_load_b128 v[16:19], v135 offset:1088
	v_pk_fma_f16 v23, v20, v60, v23
	s_wait_dscnt 0x0
	v_lshrrev_b32_e32 v61, 16, v16
	v_lshrrev_b32_e32 v62, 16, v17
	;; [unrolled: 1-line block ×4, first 2 shown]
	v_and_b32_e32 v16, 0xffff, v16
	v_and_b32_e32 v17, 0xffff, v17
	;; [unrolled: 1-line block ×4, first 2 shown]
	v_mul_u32_u24_e32 v61, 0x10001, v61
	v_mul_u32_u24_e32 v16, 0x10001, v16
	;; [unrolled: 1-line block ×6, first 2 shown]
	v_pk_fma_f16 v45, v20, v16, v45
	v_pk_fma_f16 v47, v20, v17, v47
	;; [unrolled: 1-line block ×4, first 2 shown]
	ds_load_b128 v[16:19], v135 offset:80
	v_mul_u32_u24_e32 v63, 0x10001, v63
	v_mul_u32_u24_e32 v80, 0x10001, v80
	v_pk_fma_f16 v46, v20, v61, v46
	v_pk_fma_f16 v48, v20, v62, v48
	s_delay_alu instid0(VALU_DEP_4) | instskip(NEXT) | instid1(VALU_DEP_4)
	v_pk_fma_f16 v50, v20, v63, v50
	v_pk_fma_f16 v20, v20, v80, v52
	s_wait_dscnt 0x0
	v_lshrrev_b32_e32 v52, 16, v16
	v_and_b32_e32 v16, 0xffff, v16
	v_lshrrev_b32_e32 v53, 16, v17
	v_lshrrev_b32_e32 v54, 16, v18
	;; [unrolled: 1-line block ×3, first 2 shown]
	v_mul_u32_u24_e32 v52, 0x10001, v52
	v_mul_u32_u24_e32 v56, 0x10001, v16
	v_and_b32_e32 v16, 0xffff, v17
	v_mul_u32_u24_e32 v53, 0x10001, v53
	v_mul_u32_u24_e32 v54, 0x10001, v54
	;; [unrolled: 1-line block ×3, first 2 shown]
	v_pk_fma_f16 v39, v21, v56, v39
	v_mul_u32_u24_e32 v57, 0x10001, v16
	v_and_b32_e32 v16, 0xffff, v18
	v_pk_fma_f16 v40, v21, v52, v40
	v_pk_fma_f16 v42, v21, v53, v42
	;; [unrolled: 1-line block ×4, first 2 shown]
	v_mul_u32_u24_e32 v58, 0x10001, v16
	v_and_b32_e32 v16, 0xffff, v19
	v_pk_fma_f16 v44, v21, v55, v44
	s_delay_alu instid0(VALU_DEP_3) | instskip(NEXT) | instid1(VALU_DEP_3)
	v_pk_fma_f16 v22, v21, v58, v22
	v_mul_u32_u24_e32 v59, 0x10001, v16
	ds_load_b128 v[16:19], v135 offset:1104
	v_pk_fma_f16 v23, v21, v59, v23
	s_wait_dscnt 0x0
	v_lshrrev_b32_e32 v60, 16, v16
	v_lshrrev_b32_e32 v61, 16, v17
	;; [unrolled: 1-line block ×4, first 2 shown]
	v_and_b32_e32 v16, 0xffff, v16
	v_and_b32_e32 v17, 0xffff, v17
	;; [unrolled: 1-line block ×4, first 2 shown]
	v_mul_u32_u24_e32 v60, 0x10001, v60
	v_mul_u32_u24_e32 v16, 0x10001, v16
	;; [unrolled: 1-line block ×8, first 2 shown]
	v_pk_fma_f16 v45, v21, v16, v45
	v_pk_fma_f16 v46, v21, v60, v46
	;; [unrolled: 1-line block ×8, first 2 shown]
	ds_load_2addr_b32 v[20:21], v119 offset0:192 offset1:224
	ds_load_b128 v[16:19], v135 offset:96
	s_wait_dscnt 0x0
	v_lshrrev_b32_e32 v53, 16, v16
	v_and_b32_e32 v16, 0xffff, v16
	v_lshrrev_b32_e32 v54, 16, v17
	v_lshrrev_b32_e32 v55, 16, v18
	;; [unrolled: 1-line block ×3, first 2 shown]
	v_mul_u32_u24_e32 v53, 0x10001, v53
	v_mul_u32_u24_e32 v57, 0x10001, v16
	v_and_b32_e32 v16, 0xffff, v17
	v_mul_u32_u24_e32 v54, 0x10001, v54
	v_mul_u32_u24_e32 v55, 0x10001, v55
	;; [unrolled: 1-line block ×3, first 2 shown]
	v_pk_fma_f16 v39, v20, v57, v39
	v_mul_u32_u24_e32 v58, 0x10001, v16
	v_and_b32_e32 v16, 0xffff, v18
	v_pk_fma_f16 v40, v20, v53, v40
	v_pk_fma_f16 v42, v20, v54, v42
	;; [unrolled: 1-line block ×4, first 2 shown]
	v_mul_u32_u24_e32 v59, 0x10001, v16
	v_and_b32_e32 v16, 0xffff, v19
	v_pk_fma_f16 v44, v20, v56, v44
	s_delay_alu instid0(VALU_DEP_3) | instskip(NEXT) | instid1(VALU_DEP_3)
	v_pk_fma_f16 v22, v20, v59, v22
	v_mul_u32_u24_e32 v60, 0x10001, v16
	ds_load_b128 v[16:19], v135 offset:1120
	v_pk_fma_f16 v23, v20, v60, v23
	s_wait_dscnt 0x0
	v_lshrrev_b32_e32 v61, 16, v16
	v_lshrrev_b32_e32 v62, 16, v17
	;; [unrolled: 1-line block ×4, first 2 shown]
	v_and_b32_e32 v16, 0xffff, v16
	v_and_b32_e32 v17, 0xffff, v17
	;; [unrolled: 1-line block ×4, first 2 shown]
	v_mul_u32_u24_e32 v61, 0x10001, v61
	v_mul_u32_u24_e32 v16, 0x10001, v16
	;; [unrolled: 1-line block ×6, first 2 shown]
	v_pk_fma_f16 v45, v20, v16, v45
	v_pk_fma_f16 v47, v20, v17, v47
	;; [unrolled: 1-line block ×4, first 2 shown]
	ds_load_b128 v[16:19], v135 offset:112
	v_mul_u32_u24_e32 v63, 0x10001, v63
	v_mul_u32_u24_e32 v80, 0x10001, v80
	v_pk_fma_f16 v46, v20, v61, v46
	v_pk_fma_f16 v48, v20, v62, v48
	s_delay_alu instid0(VALU_DEP_4) | instskip(NEXT) | instid1(VALU_DEP_4)
	v_pk_fma_f16 v50, v20, v63, v50
	v_pk_fma_f16 v20, v20, v80, v52
	s_wait_dscnt 0x0
	v_lshrrev_b32_e32 v52, 16, v16
	v_and_b32_e32 v16, 0xffff, v16
	v_lshrrev_b32_e32 v53, 16, v17
	v_lshrrev_b32_e32 v54, 16, v18
	;; [unrolled: 1-line block ×3, first 2 shown]
	v_mul_u32_u24_e32 v52, 0x10001, v52
	v_mul_u32_u24_e32 v56, 0x10001, v16
	v_and_b32_e32 v16, 0xffff, v17
	v_mul_u32_u24_e32 v53, 0x10001, v53
	v_mul_u32_u24_e32 v54, 0x10001, v54
	;; [unrolled: 1-line block ×3, first 2 shown]
	v_pk_fma_f16 v39, v21, v56, v39
	v_mul_u32_u24_e32 v57, 0x10001, v16
	v_and_b32_e32 v16, 0xffff, v18
	v_pk_fma_f16 v40, v21, v52, v40
	v_pk_fma_f16 v42, v21, v53, v42
	;; [unrolled: 1-line block ×4, first 2 shown]
	v_mul_u32_u24_e32 v58, 0x10001, v16
	v_and_b32_e32 v16, 0xffff, v19
	v_pk_fma_f16 v44, v21, v55, v44
	s_delay_alu instid0(VALU_DEP_3) | instskip(NEXT) | instid1(VALU_DEP_3)
	v_pk_fma_f16 v22, v21, v58, v22
	v_mul_u32_u24_e32 v59, 0x10001, v16
	ds_load_b128 v[16:19], v135 offset:1136
	v_pk_fma_f16 v23, v21, v59, v23
	s_wait_dscnt 0x0
	v_lshrrev_b32_e32 v60, 16, v16
	v_lshrrev_b32_e32 v61, 16, v17
	v_lshrrev_b32_e32 v62, 16, v18
	v_lshrrev_b32_e32 v63, 16, v19
	v_and_b32_e32 v16, 0xffff, v16
	v_and_b32_e32 v17, 0xffff, v17
	;; [unrolled: 1-line block ×4, first 2 shown]
	v_mul_u32_u24_e32 v60, 0x10001, v60
	v_mul_u32_u24_e32 v16, 0x10001, v16
	;; [unrolled: 1-line block ×8, first 2 shown]
	v_pk_fma_f16 v45, v21, v16, v45
	v_pk_fma_f16 v46, v21, v60, v46
	;; [unrolled: 1-line block ×8, first 2 shown]
	ds_load_2addr_b32 v[20:21], v141 offset1:32
	ds_load_b128 v[16:19], v135 offset:128
	s_wait_dscnt 0x0
	v_lshrrev_b32_e32 v53, 16, v16
	v_and_b32_e32 v16, 0xffff, v16
	v_lshrrev_b32_e32 v54, 16, v17
	v_lshrrev_b32_e32 v55, 16, v18
	;; [unrolled: 1-line block ×3, first 2 shown]
	v_mul_u32_u24_e32 v53, 0x10001, v53
	v_mul_u32_u24_e32 v57, 0x10001, v16
	v_and_b32_e32 v16, 0xffff, v17
	v_mul_u32_u24_e32 v54, 0x10001, v54
	v_mul_u32_u24_e32 v55, 0x10001, v55
	;; [unrolled: 1-line block ×3, first 2 shown]
	v_pk_fma_f16 v39, v20, v57, v39
	v_mul_u32_u24_e32 v58, 0x10001, v16
	v_and_b32_e32 v16, 0xffff, v18
	v_pk_fma_f16 v40, v20, v53, v40
	v_pk_fma_f16 v42, v20, v54, v42
	;; [unrolled: 1-line block ×4, first 2 shown]
	v_mul_u32_u24_e32 v59, 0x10001, v16
	v_and_b32_e32 v16, 0xffff, v19
	v_pk_fma_f16 v44, v20, v56, v44
	s_delay_alu instid0(VALU_DEP_3) | instskip(NEXT) | instid1(VALU_DEP_3)
	v_pk_fma_f16 v22, v20, v59, v22
	v_mul_u32_u24_e32 v60, 0x10001, v16
	ds_load_b128 v[16:19], v135 offset:1152
	v_pk_fma_f16 v23, v20, v60, v23
	s_wait_dscnt 0x0
	v_lshrrev_b32_e32 v61, 16, v16
	v_lshrrev_b32_e32 v62, 16, v17
	;; [unrolled: 1-line block ×4, first 2 shown]
	v_and_b32_e32 v16, 0xffff, v16
	v_and_b32_e32 v17, 0xffff, v17
	;; [unrolled: 1-line block ×4, first 2 shown]
	v_mul_u32_u24_e32 v61, 0x10001, v61
	v_mul_u32_u24_e32 v16, 0x10001, v16
	;; [unrolled: 1-line block ×6, first 2 shown]
	v_pk_fma_f16 v45, v20, v16, v45
	v_pk_fma_f16 v47, v20, v17, v47
	;; [unrolled: 1-line block ×4, first 2 shown]
	ds_load_b128 v[16:19], v135 offset:144
	v_mul_u32_u24_e32 v63, 0x10001, v63
	v_mul_u32_u24_e32 v80, 0x10001, v80
	v_pk_fma_f16 v46, v20, v61, v46
	v_pk_fma_f16 v48, v20, v62, v48
	s_delay_alu instid0(VALU_DEP_4) | instskip(NEXT) | instid1(VALU_DEP_4)
	v_pk_fma_f16 v50, v20, v63, v50
	v_pk_fma_f16 v20, v20, v80, v52
	s_wait_dscnt 0x0
	v_lshrrev_b32_e32 v52, 16, v16
	v_and_b32_e32 v16, 0xffff, v16
	v_lshrrev_b32_e32 v53, 16, v17
	v_lshrrev_b32_e32 v54, 16, v18
	v_lshrrev_b32_e32 v55, 16, v19
	v_mul_u32_u24_e32 v52, 0x10001, v52
	v_mul_u32_u24_e32 v56, 0x10001, v16
	v_and_b32_e32 v16, 0xffff, v17
	v_mul_u32_u24_e32 v53, 0x10001, v53
	v_mul_u32_u24_e32 v54, 0x10001, v54
	;; [unrolled: 1-line block ×3, first 2 shown]
	v_pk_fma_f16 v39, v21, v56, v39
	v_mul_u32_u24_e32 v57, 0x10001, v16
	v_and_b32_e32 v16, 0xffff, v18
	v_pk_fma_f16 v40, v21, v52, v40
	v_pk_fma_f16 v42, v21, v53, v42
	;; [unrolled: 1-line block ×4, first 2 shown]
	v_mul_u32_u24_e32 v58, 0x10001, v16
	v_and_b32_e32 v16, 0xffff, v19
	v_pk_fma_f16 v44, v21, v55, v44
	s_delay_alu instid0(VALU_DEP_3) | instskip(NEXT) | instid1(VALU_DEP_3)
	v_pk_fma_f16 v22, v21, v58, v22
	v_mul_u32_u24_e32 v59, 0x10001, v16
	ds_load_b128 v[16:19], v135 offset:1168
	v_pk_fma_f16 v23, v21, v59, v23
	s_wait_dscnt 0x0
	v_lshrrev_b32_e32 v60, 16, v16
	v_lshrrev_b32_e32 v61, 16, v17
	;; [unrolled: 1-line block ×4, first 2 shown]
	v_and_b32_e32 v16, 0xffff, v16
	v_and_b32_e32 v17, 0xffff, v17
	;; [unrolled: 1-line block ×4, first 2 shown]
	v_mul_u32_u24_e32 v60, 0x10001, v60
	v_mul_u32_u24_e32 v16, 0x10001, v16
	;; [unrolled: 1-line block ×8, first 2 shown]
	v_pk_fma_f16 v45, v21, v16, v45
	v_pk_fma_f16 v46, v21, v60, v46
	;; [unrolled: 1-line block ×8, first 2 shown]
	ds_load_2addr_b32 v[20:21], v141 offset0:64 offset1:96
	ds_load_b128 v[16:19], v135 offset:160
	s_wait_dscnt 0x0
	v_lshrrev_b32_e32 v53, 16, v16
	v_and_b32_e32 v16, 0xffff, v16
	v_lshrrev_b32_e32 v54, 16, v17
	v_lshrrev_b32_e32 v55, 16, v18
	;; [unrolled: 1-line block ×3, first 2 shown]
	v_mul_u32_u24_e32 v53, 0x10001, v53
	v_mul_u32_u24_e32 v57, 0x10001, v16
	v_and_b32_e32 v16, 0xffff, v17
	v_mul_u32_u24_e32 v54, 0x10001, v54
	v_mul_u32_u24_e32 v55, 0x10001, v55
	;; [unrolled: 1-line block ×3, first 2 shown]
	v_pk_fma_f16 v39, v20, v57, v39
	v_mul_u32_u24_e32 v58, 0x10001, v16
	v_and_b32_e32 v16, 0xffff, v18
	v_pk_fma_f16 v40, v20, v53, v40
	v_pk_fma_f16 v42, v20, v54, v42
	;; [unrolled: 1-line block ×4, first 2 shown]
	v_mul_u32_u24_e32 v59, 0x10001, v16
	v_and_b32_e32 v16, 0xffff, v19
	v_pk_fma_f16 v44, v20, v56, v44
	s_delay_alu instid0(VALU_DEP_3) | instskip(NEXT) | instid1(VALU_DEP_3)
	v_pk_fma_f16 v22, v20, v59, v22
	v_mul_u32_u24_e32 v60, 0x10001, v16
	ds_load_b128 v[16:19], v135 offset:1184
	v_pk_fma_f16 v23, v20, v60, v23
	s_wait_dscnt 0x0
	v_lshrrev_b32_e32 v61, 16, v16
	v_lshrrev_b32_e32 v62, 16, v17
	v_lshrrev_b32_e32 v63, 16, v18
	v_lshrrev_b32_e32 v80, 16, v19
	v_and_b32_e32 v16, 0xffff, v16
	v_and_b32_e32 v17, 0xffff, v17
	;; [unrolled: 1-line block ×4, first 2 shown]
	v_mul_u32_u24_e32 v61, 0x10001, v61
	v_mul_u32_u24_e32 v16, 0x10001, v16
	;; [unrolled: 1-line block ×6, first 2 shown]
	v_pk_fma_f16 v45, v20, v16, v45
	v_pk_fma_f16 v47, v20, v17, v47
	;; [unrolled: 1-line block ×4, first 2 shown]
	ds_load_b128 v[16:19], v135 offset:176
	v_mul_u32_u24_e32 v63, 0x10001, v63
	v_mul_u32_u24_e32 v80, 0x10001, v80
	v_pk_fma_f16 v46, v20, v61, v46
	v_pk_fma_f16 v48, v20, v62, v48
	s_delay_alu instid0(VALU_DEP_4) | instskip(NEXT) | instid1(VALU_DEP_4)
	v_pk_fma_f16 v50, v20, v63, v50
	v_pk_fma_f16 v20, v20, v80, v52
	s_wait_dscnt 0x0
	v_lshrrev_b32_e32 v52, 16, v16
	v_and_b32_e32 v16, 0xffff, v16
	v_lshrrev_b32_e32 v53, 16, v17
	v_lshrrev_b32_e32 v54, 16, v18
	;; [unrolled: 1-line block ×3, first 2 shown]
	v_mul_u32_u24_e32 v52, 0x10001, v52
	v_mul_u32_u24_e32 v56, 0x10001, v16
	v_and_b32_e32 v16, 0xffff, v17
	v_mul_u32_u24_e32 v53, 0x10001, v53
	v_mul_u32_u24_e32 v54, 0x10001, v54
	;; [unrolled: 1-line block ×3, first 2 shown]
	v_pk_fma_f16 v39, v21, v56, v39
	v_mul_u32_u24_e32 v57, 0x10001, v16
	v_and_b32_e32 v16, 0xffff, v18
	v_pk_fma_f16 v40, v21, v52, v40
	v_pk_fma_f16 v42, v21, v53, v42
	;; [unrolled: 1-line block ×4, first 2 shown]
	v_mul_u32_u24_e32 v58, 0x10001, v16
	v_and_b32_e32 v16, 0xffff, v19
	v_pk_fma_f16 v44, v21, v55, v44
	s_delay_alu instid0(VALU_DEP_3) | instskip(NEXT) | instid1(VALU_DEP_3)
	v_pk_fma_f16 v22, v21, v58, v22
	v_mul_u32_u24_e32 v59, 0x10001, v16
	ds_load_b128 v[16:19], v135 offset:1200
	v_pk_fma_f16 v23, v21, v59, v23
	s_wait_dscnt 0x0
	v_lshrrev_b32_e32 v60, 16, v16
	v_lshrrev_b32_e32 v61, 16, v17
	;; [unrolled: 1-line block ×4, first 2 shown]
	v_and_b32_e32 v16, 0xffff, v16
	v_and_b32_e32 v17, 0xffff, v17
	;; [unrolled: 1-line block ×4, first 2 shown]
	v_mul_u32_u24_e32 v60, 0x10001, v60
	v_mul_u32_u24_e32 v16, 0x10001, v16
	;; [unrolled: 1-line block ×8, first 2 shown]
	v_pk_fma_f16 v45, v21, v16, v45
	v_pk_fma_f16 v46, v21, v60, v46
	;; [unrolled: 1-line block ×8, first 2 shown]
	ds_load_2addr_b32 v[20:21], v141 offset0:128 offset1:160
	ds_load_b128 v[16:19], v135 offset:192
	s_wait_dscnt 0x0
	v_lshrrev_b32_e32 v53, 16, v16
	v_and_b32_e32 v16, 0xffff, v16
	v_lshrrev_b32_e32 v54, 16, v17
	v_lshrrev_b32_e32 v55, 16, v18
	;; [unrolled: 1-line block ×3, first 2 shown]
	v_mul_u32_u24_e32 v53, 0x10001, v53
	v_mul_u32_u24_e32 v57, 0x10001, v16
	v_and_b32_e32 v16, 0xffff, v17
	v_mul_u32_u24_e32 v54, 0x10001, v54
	v_mul_u32_u24_e32 v55, 0x10001, v55
	;; [unrolled: 1-line block ×3, first 2 shown]
	v_pk_fma_f16 v39, v20, v57, v39
	v_mul_u32_u24_e32 v58, 0x10001, v16
	v_and_b32_e32 v16, 0xffff, v18
	v_pk_fma_f16 v40, v20, v53, v40
	v_pk_fma_f16 v42, v20, v54, v42
	;; [unrolled: 1-line block ×4, first 2 shown]
	v_mul_u32_u24_e32 v59, 0x10001, v16
	v_and_b32_e32 v16, 0xffff, v19
	v_pk_fma_f16 v44, v20, v56, v44
	s_delay_alu instid0(VALU_DEP_3) | instskip(NEXT) | instid1(VALU_DEP_3)
	v_pk_fma_f16 v22, v20, v59, v22
	v_mul_u32_u24_e32 v60, 0x10001, v16
	ds_load_b128 v[16:19], v135 offset:1216
	v_pk_fma_f16 v23, v20, v60, v23
	s_wait_dscnt 0x0
	v_lshrrev_b32_e32 v61, 16, v16
	v_lshrrev_b32_e32 v62, 16, v17
	;; [unrolled: 1-line block ×4, first 2 shown]
	v_and_b32_e32 v16, 0xffff, v16
	v_and_b32_e32 v17, 0xffff, v17
	;; [unrolled: 1-line block ×4, first 2 shown]
	v_mul_u32_u24_e32 v61, 0x10001, v61
	v_mul_u32_u24_e32 v16, 0x10001, v16
	;; [unrolled: 1-line block ×6, first 2 shown]
	v_pk_fma_f16 v45, v20, v16, v45
	v_pk_fma_f16 v47, v20, v17, v47
	;; [unrolled: 1-line block ×4, first 2 shown]
	ds_load_b128 v[16:19], v135 offset:208
	v_mul_u32_u24_e32 v63, 0x10001, v63
	v_mul_u32_u24_e32 v80, 0x10001, v80
	v_pk_fma_f16 v46, v20, v61, v46
	v_pk_fma_f16 v48, v20, v62, v48
	s_delay_alu instid0(VALU_DEP_4) | instskip(NEXT) | instid1(VALU_DEP_4)
	v_pk_fma_f16 v50, v20, v63, v50
	v_pk_fma_f16 v20, v20, v80, v52
	s_wait_dscnt 0x0
	v_lshrrev_b32_e32 v52, 16, v16
	v_and_b32_e32 v16, 0xffff, v16
	v_lshrrev_b32_e32 v53, 16, v17
	v_lshrrev_b32_e32 v54, 16, v18
	;; [unrolled: 1-line block ×3, first 2 shown]
	v_mul_u32_u24_e32 v52, 0x10001, v52
	v_mul_u32_u24_e32 v56, 0x10001, v16
	v_and_b32_e32 v16, 0xffff, v17
	v_mul_u32_u24_e32 v53, 0x10001, v53
	v_mul_u32_u24_e32 v54, 0x10001, v54
	;; [unrolled: 1-line block ×3, first 2 shown]
	v_pk_fma_f16 v39, v21, v56, v39
	v_mul_u32_u24_e32 v57, 0x10001, v16
	v_and_b32_e32 v16, 0xffff, v18
	v_pk_fma_f16 v40, v21, v52, v40
	v_pk_fma_f16 v42, v21, v53, v42
	;; [unrolled: 1-line block ×4, first 2 shown]
	v_mul_u32_u24_e32 v58, 0x10001, v16
	v_and_b32_e32 v16, 0xffff, v19
	v_pk_fma_f16 v44, v21, v55, v44
	s_delay_alu instid0(VALU_DEP_3) | instskip(NEXT) | instid1(VALU_DEP_3)
	v_pk_fma_f16 v22, v21, v58, v22
	v_mul_u32_u24_e32 v59, 0x10001, v16
	ds_load_b128 v[16:19], v135 offset:1232
	v_pk_fma_f16 v23, v21, v59, v23
	s_wait_dscnt 0x0
	v_lshrrev_b32_e32 v60, 16, v16
	v_lshrrev_b32_e32 v61, 16, v17
	;; [unrolled: 1-line block ×4, first 2 shown]
	v_and_b32_e32 v16, 0xffff, v16
	v_and_b32_e32 v17, 0xffff, v17
	;; [unrolled: 1-line block ×4, first 2 shown]
	v_mul_u32_u24_e32 v60, 0x10001, v60
	v_mul_u32_u24_e32 v16, 0x10001, v16
	;; [unrolled: 1-line block ×8, first 2 shown]
	v_pk_fma_f16 v45, v21, v16, v45
	v_pk_fma_f16 v46, v21, v60, v46
	;; [unrolled: 1-line block ×8, first 2 shown]
	ds_load_2addr_b32 v[20:21], v141 offset0:192 offset1:224
	ds_load_b128 v[16:19], v135 offset:224
	s_wait_dscnt 0x0
	v_lshrrev_b32_e32 v53, 16, v16
	v_and_b32_e32 v16, 0xffff, v16
	v_lshrrev_b32_e32 v54, 16, v17
	v_lshrrev_b32_e32 v55, 16, v18
	v_lshrrev_b32_e32 v56, 16, v19
	v_mul_u32_u24_e32 v53, 0x10001, v53
	v_mul_u32_u24_e32 v57, 0x10001, v16
	v_and_b32_e32 v16, 0xffff, v17
	v_mul_u32_u24_e32 v54, 0x10001, v54
	v_mul_u32_u24_e32 v55, 0x10001, v55
	;; [unrolled: 1-line block ×3, first 2 shown]
	v_pk_fma_f16 v39, v20, v57, v39
	v_mul_u32_u24_e32 v58, 0x10001, v16
	v_and_b32_e32 v16, 0xffff, v18
	v_pk_fma_f16 v40, v20, v53, v40
	v_pk_fma_f16 v42, v20, v54, v42
	;; [unrolled: 1-line block ×4, first 2 shown]
	v_mul_u32_u24_e32 v59, 0x10001, v16
	v_and_b32_e32 v16, 0xffff, v19
	v_pk_fma_f16 v44, v20, v56, v44
	s_delay_alu instid0(VALU_DEP_3) | instskip(NEXT) | instid1(VALU_DEP_3)
	v_pk_fma_f16 v22, v20, v59, v22
	v_mul_u32_u24_e32 v60, 0x10001, v16
	ds_load_b128 v[16:19], v135 offset:1248
	v_pk_fma_f16 v23, v20, v60, v23
	s_wait_dscnt 0x0
	v_lshrrev_b32_e32 v61, 16, v16
	v_lshrrev_b32_e32 v62, 16, v17
	;; [unrolled: 1-line block ×4, first 2 shown]
	v_and_b32_e32 v16, 0xffff, v16
	v_and_b32_e32 v17, 0xffff, v17
	;; [unrolled: 1-line block ×4, first 2 shown]
	v_mul_u32_u24_e32 v61, 0x10001, v61
	v_mul_u32_u24_e32 v16, 0x10001, v16
	;; [unrolled: 1-line block ×6, first 2 shown]
	v_pk_fma_f16 v45, v20, v16, v45
	v_pk_fma_f16 v47, v20, v17, v47
	;; [unrolled: 1-line block ×4, first 2 shown]
	ds_load_b128 v[16:19], v135 offset:240
	v_mul_u32_u24_e32 v63, 0x10001, v63
	v_mul_u32_u24_e32 v80, 0x10001, v80
	v_pk_fma_f16 v46, v20, v61, v46
	v_pk_fma_f16 v48, v20, v62, v48
	s_delay_alu instid0(VALU_DEP_4) | instskip(NEXT) | instid1(VALU_DEP_4)
	v_pk_fma_f16 v50, v20, v63, v50
	v_pk_fma_f16 v20, v20, v80, v52
	s_wait_dscnt 0x0
	v_lshrrev_b32_e32 v52, 16, v16
	v_and_b32_e32 v16, 0xffff, v16
	v_lshrrev_b32_e32 v53, 16, v17
	v_lshrrev_b32_e32 v54, 16, v18
	;; [unrolled: 1-line block ×3, first 2 shown]
	v_mul_u32_u24_e32 v52, 0x10001, v52
	v_mul_u32_u24_e32 v56, 0x10001, v16
	v_and_b32_e32 v16, 0xffff, v17
	v_mul_u32_u24_e32 v53, 0x10001, v53
	v_mul_u32_u24_e32 v54, 0x10001, v54
	;; [unrolled: 1-line block ×3, first 2 shown]
	v_pk_fma_f16 v39, v21, v56, v39
	v_mul_u32_u24_e32 v57, 0x10001, v16
	v_and_b32_e32 v16, 0xffff, v18
	v_pk_fma_f16 v40, v21, v52, v40
	v_pk_fma_f16 v42, v21, v53, v42
	;; [unrolled: 1-line block ×4, first 2 shown]
	v_mul_u32_u24_e32 v58, 0x10001, v16
	v_and_b32_e32 v16, 0xffff, v19
	v_pk_fma_f16 v44, v21, v55, v44
	s_delay_alu instid0(VALU_DEP_3) | instskip(NEXT) | instid1(VALU_DEP_3)
	v_pk_fma_f16 v22, v21, v58, v22
	v_mul_u32_u24_e32 v59, 0x10001, v16
	ds_load_b128 v[16:19], v135 offset:1264
	v_pk_fma_f16 v23, v21, v59, v23
	s_wait_dscnt 0x0
	v_lshrrev_b32_e32 v60, 16, v16
	v_lshrrev_b32_e32 v61, 16, v17
	;; [unrolled: 1-line block ×4, first 2 shown]
	v_and_b32_e32 v16, 0xffff, v16
	v_and_b32_e32 v17, 0xffff, v17
	;; [unrolled: 1-line block ×4, first 2 shown]
	v_mul_u32_u24_e32 v60, 0x10001, v60
	v_mul_u32_u24_e32 v16, 0x10001, v16
	;; [unrolled: 1-line block ×8, first 2 shown]
	v_pk_fma_f16 v45, v21, v16, v45
	v_pk_fma_f16 v46, v21, v60, v46
	;; [unrolled: 1-line block ×8, first 2 shown]
	ds_load_2addr_b32 v[20:21], v142 offset1:32
	ds_load_b128 v[16:19], v135 offset:256
	s_wait_dscnt 0x0
	v_lshrrev_b32_e32 v53, 16, v16
	v_and_b32_e32 v16, 0xffff, v16
	v_lshrrev_b32_e32 v54, 16, v17
	v_lshrrev_b32_e32 v55, 16, v18
	;; [unrolled: 1-line block ×3, first 2 shown]
	v_mul_u32_u24_e32 v53, 0x10001, v53
	v_mul_u32_u24_e32 v57, 0x10001, v16
	v_and_b32_e32 v16, 0xffff, v17
	v_mul_u32_u24_e32 v54, 0x10001, v54
	v_mul_u32_u24_e32 v55, 0x10001, v55
	;; [unrolled: 1-line block ×3, first 2 shown]
	v_pk_fma_f16 v39, v20, v57, v39
	v_mul_u32_u24_e32 v58, 0x10001, v16
	v_and_b32_e32 v16, 0xffff, v18
	v_pk_fma_f16 v40, v20, v53, v40
	v_pk_fma_f16 v42, v20, v54, v42
	;; [unrolled: 1-line block ×4, first 2 shown]
	v_mul_u32_u24_e32 v59, 0x10001, v16
	v_and_b32_e32 v16, 0xffff, v19
	v_pk_fma_f16 v44, v20, v56, v44
	s_delay_alu instid0(VALU_DEP_3) | instskip(NEXT) | instid1(VALU_DEP_3)
	v_pk_fma_f16 v22, v20, v59, v22
	v_mul_u32_u24_e32 v60, 0x10001, v16
	ds_load_b128 v[16:19], v135 offset:1280
	v_pk_fma_f16 v23, v20, v60, v23
	s_wait_dscnt 0x0
	v_lshrrev_b32_e32 v61, 16, v16
	v_lshrrev_b32_e32 v62, 16, v17
	;; [unrolled: 1-line block ×4, first 2 shown]
	v_and_b32_e32 v16, 0xffff, v16
	v_and_b32_e32 v17, 0xffff, v17
	;; [unrolled: 1-line block ×4, first 2 shown]
	v_mul_u32_u24_e32 v61, 0x10001, v61
	v_mul_u32_u24_e32 v16, 0x10001, v16
	;; [unrolled: 1-line block ×6, first 2 shown]
	v_pk_fma_f16 v45, v20, v16, v45
	v_pk_fma_f16 v47, v20, v17, v47
	v_pk_fma_f16 v49, v20, v18, v49
	v_pk_fma_f16 v51, v20, v19, v51
	ds_load_b128 v[16:19], v135 offset:272
	v_mul_u32_u24_e32 v63, 0x10001, v63
	v_mul_u32_u24_e32 v80, 0x10001, v80
	v_pk_fma_f16 v46, v20, v61, v46
	v_pk_fma_f16 v48, v20, v62, v48
	s_delay_alu instid0(VALU_DEP_4) | instskip(NEXT) | instid1(VALU_DEP_4)
	v_pk_fma_f16 v50, v20, v63, v50
	v_pk_fma_f16 v20, v20, v80, v52
	s_wait_dscnt 0x0
	v_lshrrev_b32_e32 v52, 16, v16
	v_and_b32_e32 v16, 0xffff, v16
	v_lshrrev_b32_e32 v53, 16, v17
	v_lshrrev_b32_e32 v54, 16, v18
	;; [unrolled: 1-line block ×3, first 2 shown]
	v_mul_u32_u24_e32 v52, 0x10001, v52
	v_mul_u32_u24_e32 v56, 0x10001, v16
	v_and_b32_e32 v16, 0xffff, v17
	v_mul_u32_u24_e32 v53, 0x10001, v53
	v_mul_u32_u24_e32 v54, 0x10001, v54
	;; [unrolled: 1-line block ×3, first 2 shown]
	v_pk_fma_f16 v39, v21, v56, v39
	v_mul_u32_u24_e32 v57, 0x10001, v16
	v_and_b32_e32 v16, 0xffff, v18
	v_pk_fma_f16 v40, v21, v52, v40
	v_pk_fma_f16 v42, v21, v53, v42
	;; [unrolled: 1-line block ×4, first 2 shown]
	v_mul_u32_u24_e32 v58, 0x10001, v16
	v_and_b32_e32 v16, 0xffff, v19
	v_pk_fma_f16 v44, v21, v55, v44
	s_delay_alu instid0(VALU_DEP_3) | instskip(NEXT) | instid1(VALU_DEP_3)
	v_pk_fma_f16 v22, v21, v58, v22
	v_mul_u32_u24_e32 v59, 0x10001, v16
	ds_load_b128 v[16:19], v135 offset:1296
	v_pk_fma_f16 v23, v21, v59, v23
	s_wait_dscnt 0x0
	v_lshrrev_b32_e32 v60, 16, v16
	v_lshrrev_b32_e32 v61, 16, v17
	v_lshrrev_b32_e32 v62, 16, v18
	v_lshrrev_b32_e32 v63, 16, v19
	v_and_b32_e32 v16, 0xffff, v16
	v_and_b32_e32 v17, 0xffff, v17
	;; [unrolled: 1-line block ×4, first 2 shown]
	v_mul_u32_u24_e32 v60, 0x10001, v60
	v_mul_u32_u24_e32 v16, 0x10001, v16
	;; [unrolled: 1-line block ×8, first 2 shown]
	v_pk_fma_f16 v45, v21, v16, v45
	v_pk_fma_f16 v46, v21, v60, v46
	;; [unrolled: 1-line block ×8, first 2 shown]
	ds_load_2addr_b32 v[20:21], v142 offset0:64 offset1:96
	ds_load_b128 v[16:19], v135 offset:288
	s_wait_dscnt 0x0
	v_lshrrev_b32_e32 v53, 16, v16
	v_and_b32_e32 v16, 0xffff, v16
	v_lshrrev_b32_e32 v54, 16, v17
	v_lshrrev_b32_e32 v55, 16, v18
	;; [unrolled: 1-line block ×3, first 2 shown]
	v_mul_u32_u24_e32 v53, 0x10001, v53
	v_mul_u32_u24_e32 v57, 0x10001, v16
	v_and_b32_e32 v16, 0xffff, v17
	v_mul_u32_u24_e32 v54, 0x10001, v54
	v_mul_u32_u24_e32 v55, 0x10001, v55
	;; [unrolled: 1-line block ×3, first 2 shown]
	v_pk_fma_f16 v39, v20, v57, v39
	v_mul_u32_u24_e32 v58, 0x10001, v16
	v_and_b32_e32 v16, 0xffff, v18
	v_pk_fma_f16 v40, v20, v53, v40
	v_pk_fma_f16 v42, v20, v54, v42
	;; [unrolled: 1-line block ×4, first 2 shown]
	v_mul_u32_u24_e32 v59, 0x10001, v16
	v_and_b32_e32 v16, 0xffff, v19
	v_pk_fma_f16 v44, v20, v56, v44
	s_delay_alu instid0(VALU_DEP_3) | instskip(NEXT) | instid1(VALU_DEP_3)
	v_pk_fma_f16 v22, v20, v59, v22
	v_mul_u32_u24_e32 v60, 0x10001, v16
	ds_load_b128 v[16:19], v135 offset:1312
	v_pk_fma_f16 v23, v20, v60, v23
	s_wait_dscnt 0x0
	v_lshrrev_b32_e32 v61, 16, v16
	v_lshrrev_b32_e32 v62, 16, v17
	;; [unrolled: 1-line block ×4, first 2 shown]
	v_and_b32_e32 v16, 0xffff, v16
	v_and_b32_e32 v17, 0xffff, v17
	;; [unrolled: 1-line block ×4, first 2 shown]
	v_mul_u32_u24_e32 v61, 0x10001, v61
	v_mul_u32_u24_e32 v16, 0x10001, v16
	;; [unrolled: 1-line block ×6, first 2 shown]
	v_pk_fma_f16 v45, v20, v16, v45
	v_pk_fma_f16 v47, v20, v17, v47
	;; [unrolled: 1-line block ×4, first 2 shown]
	ds_load_b128 v[16:19], v135 offset:304
	v_mul_u32_u24_e32 v63, 0x10001, v63
	v_mul_u32_u24_e32 v80, 0x10001, v80
	v_pk_fma_f16 v46, v20, v61, v46
	v_pk_fma_f16 v48, v20, v62, v48
	s_delay_alu instid0(VALU_DEP_4) | instskip(NEXT) | instid1(VALU_DEP_4)
	v_pk_fma_f16 v50, v20, v63, v50
	v_pk_fma_f16 v20, v20, v80, v52
	s_wait_dscnt 0x0
	v_lshrrev_b32_e32 v52, 16, v16
	v_and_b32_e32 v16, 0xffff, v16
	v_lshrrev_b32_e32 v53, 16, v17
	v_lshrrev_b32_e32 v54, 16, v18
	;; [unrolled: 1-line block ×3, first 2 shown]
	v_mul_u32_u24_e32 v52, 0x10001, v52
	v_mul_u32_u24_e32 v56, 0x10001, v16
	v_and_b32_e32 v16, 0xffff, v17
	v_mul_u32_u24_e32 v53, 0x10001, v53
	v_mul_u32_u24_e32 v54, 0x10001, v54
	;; [unrolled: 1-line block ×3, first 2 shown]
	v_pk_fma_f16 v39, v21, v56, v39
	v_mul_u32_u24_e32 v57, 0x10001, v16
	v_and_b32_e32 v16, 0xffff, v18
	v_pk_fma_f16 v40, v21, v52, v40
	v_pk_fma_f16 v42, v21, v53, v42
	v_pk_fma_f16 v43, v21, v54, v43
	v_pk_fma_f16 v41, v21, v57, v41
	v_mul_u32_u24_e32 v58, 0x10001, v16
	v_and_b32_e32 v16, 0xffff, v19
	v_pk_fma_f16 v44, v21, v55, v44
	s_delay_alu instid0(VALU_DEP_3) | instskip(NEXT) | instid1(VALU_DEP_3)
	v_pk_fma_f16 v22, v21, v58, v22
	v_mul_u32_u24_e32 v59, 0x10001, v16
	ds_load_b128 v[16:19], v135 offset:1328
	v_pk_fma_f16 v23, v21, v59, v23
	s_wait_dscnt 0x0
	v_lshrrev_b32_e32 v60, 16, v16
	v_lshrrev_b32_e32 v61, 16, v17
	;; [unrolled: 1-line block ×4, first 2 shown]
	v_and_b32_e32 v16, 0xffff, v16
	v_and_b32_e32 v17, 0xffff, v17
	;; [unrolled: 1-line block ×4, first 2 shown]
	v_mul_u32_u24_e32 v60, 0x10001, v60
	v_mul_u32_u24_e32 v16, 0x10001, v16
	;; [unrolled: 1-line block ×8, first 2 shown]
	v_pk_fma_f16 v45, v21, v16, v45
	v_pk_fma_f16 v46, v21, v60, v46
	;; [unrolled: 1-line block ×8, first 2 shown]
	ds_load_2addr_b32 v[20:21], v142 offset0:128 offset1:160
	ds_load_b128 v[16:19], v135 offset:320
	s_wait_dscnt 0x0
	v_lshrrev_b32_e32 v53, 16, v16
	v_and_b32_e32 v16, 0xffff, v16
	v_lshrrev_b32_e32 v54, 16, v17
	v_lshrrev_b32_e32 v55, 16, v18
	;; [unrolled: 1-line block ×3, first 2 shown]
	v_mul_u32_u24_e32 v53, 0x10001, v53
	v_mul_u32_u24_e32 v57, 0x10001, v16
	v_and_b32_e32 v16, 0xffff, v17
	v_mul_u32_u24_e32 v54, 0x10001, v54
	v_mul_u32_u24_e32 v55, 0x10001, v55
	;; [unrolled: 1-line block ×3, first 2 shown]
	v_pk_fma_f16 v39, v20, v57, v39
	v_mul_u32_u24_e32 v58, 0x10001, v16
	v_and_b32_e32 v16, 0xffff, v18
	v_pk_fma_f16 v40, v20, v53, v40
	v_pk_fma_f16 v42, v20, v54, v42
	;; [unrolled: 1-line block ×4, first 2 shown]
	v_mul_u32_u24_e32 v59, 0x10001, v16
	v_and_b32_e32 v16, 0xffff, v19
	v_pk_fma_f16 v44, v20, v56, v44
	s_delay_alu instid0(VALU_DEP_3) | instskip(NEXT) | instid1(VALU_DEP_3)
	v_pk_fma_f16 v22, v20, v59, v22
	v_mul_u32_u24_e32 v60, 0x10001, v16
	ds_load_b128 v[16:19], v135 offset:1344
	v_pk_fma_f16 v23, v20, v60, v23
	s_wait_dscnt 0x0
	v_lshrrev_b32_e32 v61, 16, v16
	v_lshrrev_b32_e32 v62, 16, v17
	;; [unrolled: 1-line block ×4, first 2 shown]
	v_and_b32_e32 v16, 0xffff, v16
	v_and_b32_e32 v17, 0xffff, v17
	;; [unrolled: 1-line block ×4, first 2 shown]
	v_mul_u32_u24_e32 v61, 0x10001, v61
	v_mul_u32_u24_e32 v16, 0x10001, v16
	;; [unrolled: 1-line block ×6, first 2 shown]
	v_pk_fma_f16 v45, v20, v16, v45
	v_pk_fma_f16 v47, v20, v17, v47
	v_pk_fma_f16 v49, v20, v18, v49
	v_pk_fma_f16 v51, v20, v19, v51
	ds_load_b128 v[16:19], v135 offset:336
	v_mul_u32_u24_e32 v63, 0x10001, v63
	v_mul_u32_u24_e32 v80, 0x10001, v80
	v_pk_fma_f16 v46, v20, v61, v46
	v_pk_fma_f16 v48, v20, v62, v48
	s_delay_alu instid0(VALU_DEP_4) | instskip(NEXT) | instid1(VALU_DEP_4)
	v_pk_fma_f16 v50, v20, v63, v50
	v_pk_fma_f16 v20, v20, v80, v52
	s_wait_dscnt 0x0
	v_lshrrev_b32_e32 v52, 16, v16
	v_and_b32_e32 v16, 0xffff, v16
	v_lshrrev_b32_e32 v53, 16, v17
	v_lshrrev_b32_e32 v54, 16, v18
	;; [unrolled: 1-line block ×3, first 2 shown]
	v_mul_u32_u24_e32 v52, 0x10001, v52
	v_mul_u32_u24_e32 v56, 0x10001, v16
	v_and_b32_e32 v16, 0xffff, v17
	v_mul_u32_u24_e32 v53, 0x10001, v53
	v_mul_u32_u24_e32 v54, 0x10001, v54
	;; [unrolled: 1-line block ×3, first 2 shown]
	v_pk_fma_f16 v39, v21, v56, v39
	v_mul_u32_u24_e32 v57, 0x10001, v16
	v_and_b32_e32 v16, 0xffff, v18
	v_pk_fma_f16 v40, v21, v52, v40
	v_pk_fma_f16 v42, v21, v53, v42
	;; [unrolled: 1-line block ×4, first 2 shown]
	v_mul_u32_u24_e32 v58, 0x10001, v16
	v_and_b32_e32 v16, 0xffff, v19
	v_pk_fma_f16 v44, v21, v55, v44
	s_delay_alu instid0(VALU_DEP_3) | instskip(NEXT) | instid1(VALU_DEP_3)
	v_pk_fma_f16 v22, v21, v58, v22
	v_mul_u32_u24_e32 v59, 0x10001, v16
	ds_load_b128 v[16:19], v135 offset:1360
	v_pk_fma_f16 v23, v21, v59, v23
	s_wait_dscnt 0x0
	v_lshrrev_b32_e32 v60, 16, v16
	v_lshrrev_b32_e32 v61, 16, v17
	;; [unrolled: 1-line block ×4, first 2 shown]
	v_and_b32_e32 v16, 0xffff, v16
	v_and_b32_e32 v17, 0xffff, v17
	;; [unrolled: 1-line block ×4, first 2 shown]
	v_mul_u32_u24_e32 v60, 0x10001, v60
	v_mul_u32_u24_e32 v16, 0x10001, v16
	;; [unrolled: 1-line block ×8, first 2 shown]
	v_pk_fma_f16 v45, v21, v16, v45
	v_pk_fma_f16 v46, v21, v60, v46
	;; [unrolled: 1-line block ×8, first 2 shown]
	ds_load_2addr_b32 v[20:21], v142 offset0:192 offset1:224
	ds_load_b128 v[16:19], v135 offset:352
	s_wait_dscnt 0x0
	v_lshrrev_b32_e32 v53, 16, v16
	v_and_b32_e32 v16, 0xffff, v16
	v_lshrrev_b32_e32 v54, 16, v17
	v_lshrrev_b32_e32 v55, 16, v18
	;; [unrolled: 1-line block ×3, first 2 shown]
	v_mul_u32_u24_e32 v53, 0x10001, v53
	v_mul_u32_u24_e32 v57, 0x10001, v16
	v_and_b32_e32 v16, 0xffff, v17
	v_mul_u32_u24_e32 v54, 0x10001, v54
	v_mul_u32_u24_e32 v55, 0x10001, v55
	;; [unrolled: 1-line block ×3, first 2 shown]
	v_pk_fma_f16 v39, v20, v57, v39
	v_mul_u32_u24_e32 v58, 0x10001, v16
	v_and_b32_e32 v16, 0xffff, v18
	v_pk_fma_f16 v40, v20, v53, v40
	v_pk_fma_f16 v42, v20, v54, v42
	;; [unrolled: 1-line block ×4, first 2 shown]
	v_mul_u32_u24_e32 v59, 0x10001, v16
	v_and_b32_e32 v16, 0xffff, v19
	v_pk_fma_f16 v44, v20, v56, v44
	s_delay_alu instid0(VALU_DEP_3) | instskip(NEXT) | instid1(VALU_DEP_3)
	v_pk_fma_f16 v22, v20, v59, v22
	v_mul_u32_u24_e32 v60, 0x10001, v16
	ds_load_b128 v[16:19], v135 offset:1376
	v_pk_fma_f16 v23, v20, v60, v23
	s_wait_dscnt 0x0
	v_lshrrev_b32_e32 v61, 16, v16
	v_lshrrev_b32_e32 v62, 16, v17
	;; [unrolled: 1-line block ×4, first 2 shown]
	v_and_b32_e32 v16, 0xffff, v16
	v_and_b32_e32 v17, 0xffff, v17
	;; [unrolled: 1-line block ×4, first 2 shown]
	v_mul_u32_u24_e32 v61, 0x10001, v61
	v_mul_u32_u24_e32 v16, 0x10001, v16
	;; [unrolled: 1-line block ×6, first 2 shown]
	v_pk_fma_f16 v45, v20, v16, v45
	v_pk_fma_f16 v47, v20, v17, v47
	;; [unrolled: 1-line block ×4, first 2 shown]
	ds_load_b128 v[16:19], v135 offset:368
	v_mul_u32_u24_e32 v63, 0x10001, v63
	v_mul_u32_u24_e32 v80, 0x10001, v80
	v_pk_fma_f16 v46, v20, v61, v46
	v_pk_fma_f16 v48, v20, v62, v48
	s_delay_alu instid0(VALU_DEP_4) | instskip(NEXT) | instid1(VALU_DEP_4)
	v_pk_fma_f16 v50, v20, v63, v50
	v_pk_fma_f16 v20, v20, v80, v52
	s_wait_dscnt 0x0
	v_lshrrev_b32_e32 v52, 16, v16
	v_and_b32_e32 v16, 0xffff, v16
	v_lshrrev_b32_e32 v53, 16, v17
	v_lshrrev_b32_e32 v54, 16, v18
	;; [unrolled: 1-line block ×3, first 2 shown]
	v_mul_u32_u24_e32 v52, 0x10001, v52
	v_mul_u32_u24_e32 v56, 0x10001, v16
	v_and_b32_e32 v16, 0xffff, v17
	v_mul_u32_u24_e32 v53, 0x10001, v53
	v_mul_u32_u24_e32 v54, 0x10001, v54
	;; [unrolled: 1-line block ×3, first 2 shown]
	v_pk_fma_f16 v39, v21, v56, v39
	v_mul_u32_u24_e32 v57, 0x10001, v16
	v_and_b32_e32 v16, 0xffff, v18
	v_pk_fma_f16 v40, v21, v52, v40
	v_pk_fma_f16 v42, v21, v53, v42
	;; [unrolled: 1-line block ×4, first 2 shown]
	v_mul_u32_u24_e32 v58, 0x10001, v16
	v_and_b32_e32 v16, 0xffff, v19
	v_pk_fma_f16 v44, v21, v55, v44
	s_delay_alu instid0(VALU_DEP_3) | instskip(NEXT) | instid1(VALU_DEP_3)
	v_pk_fma_f16 v22, v21, v58, v22
	v_mul_u32_u24_e32 v59, 0x10001, v16
	ds_load_b128 v[16:19], v135 offset:1392
	v_pk_fma_f16 v23, v21, v59, v23
	s_wait_dscnt 0x0
	v_lshrrev_b32_e32 v60, 16, v16
	v_lshrrev_b32_e32 v61, 16, v17
	;; [unrolled: 1-line block ×4, first 2 shown]
	v_and_b32_e32 v16, 0xffff, v16
	v_and_b32_e32 v17, 0xffff, v17
	v_and_b32_e32 v18, 0xffff, v18
	v_and_b32_e32 v19, 0xffff, v19
	v_mul_u32_u24_e32 v60, 0x10001, v60
	v_mul_u32_u24_e32 v16, 0x10001, v16
	;; [unrolled: 1-line block ×8, first 2 shown]
	v_pk_fma_f16 v45, v21, v16, v45
	v_pk_fma_f16 v46, v21, v60, v46
	;; [unrolled: 1-line block ×8, first 2 shown]
	ds_load_2addr_b32 v[20:21], v143 offset1:32
	ds_load_b128 v[16:19], v135 offset:384
	s_wait_dscnt 0x0
	v_lshrrev_b32_e32 v53, 16, v16
	v_and_b32_e32 v16, 0xffff, v16
	v_lshrrev_b32_e32 v54, 16, v17
	v_lshrrev_b32_e32 v55, 16, v18
	;; [unrolled: 1-line block ×3, first 2 shown]
	v_mul_u32_u24_e32 v53, 0x10001, v53
	v_mul_u32_u24_e32 v57, 0x10001, v16
	v_and_b32_e32 v16, 0xffff, v17
	v_mul_u32_u24_e32 v54, 0x10001, v54
	v_mul_u32_u24_e32 v55, 0x10001, v55
	v_mul_u32_u24_e32 v56, 0x10001, v56
	v_pk_fma_f16 v39, v20, v57, v39
	v_mul_u32_u24_e32 v58, 0x10001, v16
	v_and_b32_e32 v16, 0xffff, v18
	v_pk_fma_f16 v40, v20, v53, v40
	v_pk_fma_f16 v42, v20, v54, v42
	v_pk_fma_f16 v43, v20, v55, v43
	v_pk_fma_f16 v41, v20, v58, v41
	v_mul_u32_u24_e32 v59, 0x10001, v16
	v_and_b32_e32 v16, 0xffff, v19
	v_pk_fma_f16 v44, v20, v56, v44
	s_delay_alu instid0(VALU_DEP_3) | instskip(NEXT) | instid1(VALU_DEP_3)
	v_pk_fma_f16 v22, v20, v59, v22
	v_mul_u32_u24_e32 v60, 0x10001, v16
	ds_load_b128 v[16:19], v135 offset:1408
	v_pk_fma_f16 v23, v20, v60, v23
	s_wait_dscnt 0x0
	v_lshrrev_b32_e32 v61, 16, v16
	v_lshrrev_b32_e32 v62, 16, v17
	;; [unrolled: 1-line block ×4, first 2 shown]
	v_and_b32_e32 v16, 0xffff, v16
	v_and_b32_e32 v17, 0xffff, v17
	;; [unrolled: 1-line block ×4, first 2 shown]
	v_mul_u32_u24_e32 v61, 0x10001, v61
	v_mul_u32_u24_e32 v16, 0x10001, v16
	;; [unrolled: 1-line block ×6, first 2 shown]
	v_pk_fma_f16 v45, v20, v16, v45
	v_pk_fma_f16 v47, v20, v17, v47
	;; [unrolled: 1-line block ×4, first 2 shown]
	ds_load_b128 v[16:19], v135 offset:400
	v_mul_u32_u24_e32 v63, 0x10001, v63
	v_mul_u32_u24_e32 v80, 0x10001, v80
	v_pk_fma_f16 v46, v20, v61, v46
	v_pk_fma_f16 v48, v20, v62, v48
	s_delay_alu instid0(VALU_DEP_4) | instskip(NEXT) | instid1(VALU_DEP_4)
	v_pk_fma_f16 v50, v20, v63, v50
	v_pk_fma_f16 v20, v20, v80, v52
	s_wait_dscnt 0x0
	v_lshrrev_b32_e32 v52, 16, v16
	v_and_b32_e32 v16, 0xffff, v16
	v_lshrrev_b32_e32 v53, 16, v17
	v_lshrrev_b32_e32 v54, 16, v18
	;; [unrolled: 1-line block ×3, first 2 shown]
	v_mul_u32_u24_e32 v52, 0x10001, v52
	v_mul_u32_u24_e32 v56, 0x10001, v16
	v_and_b32_e32 v16, 0xffff, v17
	v_mul_u32_u24_e32 v53, 0x10001, v53
	v_mul_u32_u24_e32 v54, 0x10001, v54
	;; [unrolled: 1-line block ×3, first 2 shown]
	v_pk_fma_f16 v39, v21, v56, v39
	v_mul_u32_u24_e32 v57, 0x10001, v16
	v_and_b32_e32 v16, 0xffff, v18
	v_pk_fma_f16 v40, v21, v52, v40
	v_pk_fma_f16 v42, v21, v53, v42
	;; [unrolled: 1-line block ×4, first 2 shown]
	v_mul_u32_u24_e32 v58, 0x10001, v16
	v_and_b32_e32 v16, 0xffff, v19
	v_pk_fma_f16 v44, v21, v55, v44
	s_delay_alu instid0(VALU_DEP_3) | instskip(NEXT) | instid1(VALU_DEP_3)
	v_pk_fma_f16 v22, v21, v58, v22
	v_mul_u32_u24_e32 v59, 0x10001, v16
	ds_load_b128 v[16:19], v135 offset:1424
	v_pk_fma_f16 v23, v21, v59, v23
	s_wait_dscnt 0x0
	v_lshrrev_b32_e32 v60, 16, v16
	v_lshrrev_b32_e32 v61, 16, v17
	;; [unrolled: 1-line block ×4, first 2 shown]
	v_and_b32_e32 v16, 0xffff, v16
	v_and_b32_e32 v17, 0xffff, v17
	;; [unrolled: 1-line block ×4, first 2 shown]
	v_mul_u32_u24_e32 v60, 0x10001, v60
	v_mul_u32_u24_e32 v16, 0x10001, v16
	v_mul_u32_u24_e32 v17, 0x10001, v17
	v_mul_u32_u24_e32 v61, 0x10001, v61
	v_mul_u32_u24_e32 v18, 0x10001, v18
	v_mul_u32_u24_e32 v62, 0x10001, v62
	v_mul_u32_u24_e32 v19, 0x10001, v19
	v_mul_u32_u24_e32 v63, 0x10001, v63
	v_pk_fma_f16 v45, v21, v16, v45
	v_pk_fma_f16 v46, v21, v60, v46
	;; [unrolled: 1-line block ×8, first 2 shown]
	ds_load_2addr_b32 v[20:21], v143 offset0:64 offset1:96
	ds_load_b128 v[16:19], v135 offset:416
	s_wait_dscnt 0x0
	v_lshrrev_b32_e32 v53, 16, v16
	v_and_b32_e32 v16, 0xffff, v16
	v_lshrrev_b32_e32 v54, 16, v17
	v_lshrrev_b32_e32 v55, 16, v18
	v_lshrrev_b32_e32 v56, 16, v19
	v_mul_u32_u24_e32 v53, 0x10001, v53
	v_mul_u32_u24_e32 v57, 0x10001, v16
	v_and_b32_e32 v16, 0xffff, v17
	v_mul_u32_u24_e32 v54, 0x10001, v54
	v_mul_u32_u24_e32 v55, 0x10001, v55
	;; [unrolled: 1-line block ×3, first 2 shown]
	v_pk_fma_f16 v39, v20, v57, v39
	v_mul_u32_u24_e32 v58, 0x10001, v16
	v_and_b32_e32 v16, 0xffff, v18
	v_pk_fma_f16 v40, v20, v53, v40
	v_pk_fma_f16 v42, v20, v54, v42
	;; [unrolled: 1-line block ×4, first 2 shown]
	v_mul_u32_u24_e32 v59, 0x10001, v16
	v_and_b32_e32 v16, 0xffff, v19
	v_pk_fma_f16 v44, v20, v56, v44
	s_delay_alu instid0(VALU_DEP_3) | instskip(NEXT) | instid1(VALU_DEP_3)
	v_pk_fma_f16 v22, v20, v59, v22
	v_mul_u32_u24_e32 v60, 0x10001, v16
	ds_load_b128 v[16:19], v135 offset:1440
	v_pk_fma_f16 v23, v20, v60, v23
	s_wait_dscnt 0x0
	v_lshrrev_b32_e32 v61, 16, v16
	v_lshrrev_b32_e32 v62, 16, v17
	;; [unrolled: 1-line block ×4, first 2 shown]
	v_and_b32_e32 v16, 0xffff, v16
	v_and_b32_e32 v17, 0xffff, v17
	;; [unrolled: 1-line block ×4, first 2 shown]
	v_mul_u32_u24_e32 v61, 0x10001, v61
	v_mul_u32_u24_e32 v16, 0x10001, v16
	;; [unrolled: 1-line block ×6, first 2 shown]
	v_pk_fma_f16 v45, v20, v16, v45
	v_pk_fma_f16 v47, v20, v17, v47
	;; [unrolled: 1-line block ×4, first 2 shown]
	ds_load_b128 v[16:19], v135 offset:432
	v_mul_u32_u24_e32 v63, 0x10001, v63
	v_mul_u32_u24_e32 v80, 0x10001, v80
	v_pk_fma_f16 v46, v20, v61, v46
	v_pk_fma_f16 v48, v20, v62, v48
	s_delay_alu instid0(VALU_DEP_4) | instskip(NEXT) | instid1(VALU_DEP_4)
	v_pk_fma_f16 v50, v20, v63, v50
	v_pk_fma_f16 v20, v20, v80, v52
	s_wait_dscnt 0x0
	v_lshrrev_b32_e32 v52, 16, v16
	v_and_b32_e32 v16, 0xffff, v16
	v_lshrrev_b32_e32 v53, 16, v17
	v_lshrrev_b32_e32 v54, 16, v18
	;; [unrolled: 1-line block ×3, first 2 shown]
	v_mul_u32_u24_e32 v52, 0x10001, v52
	v_mul_u32_u24_e32 v56, 0x10001, v16
	v_and_b32_e32 v16, 0xffff, v17
	v_mul_u32_u24_e32 v53, 0x10001, v53
	v_mul_u32_u24_e32 v54, 0x10001, v54
	;; [unrolled: 1-line block ×3, first 2 shown]
	v_pk_fma_f16 v39, v21, v56, v39
	v_mul_u32_u24_e32 v57, 0x10001, v16
	v_and_b32_e32 v16, 0xffff, v18
	v_pk_fma_f16 v40, v21, v52, v40
	v_pk_fma_f16 v42, v21, v53, v42
	;; [unrolled: 1-line block ×4, first 2 shown]
	v_mul_u32_u24_e32 v58, 0x10001, v16
	v_and_b32_e32 v16, 0xffff, v19
	v_pk_fma_f16 v44, v21, v55, v44
	s_delay_alu instid0(VALU_DEP_3) | instskip(NEXT) | instid1(VALU_DEP_3)
	v_pk_fma_f16 v22, v21, v58, v22
	v_mul_u32_u24_e32 v59, 0x10001, v16
	ds_load_b128 v[16:19], v135 offset:1456
	v_pk_fma_f16 v23, v21, v59, v23
	s_wait_dscnt 0x0
	v_lshrrev_b32_e32 v60, 16, v16
	v_lshrrev_b32_e32 v61, 16, v17
	;; [unrolled: 1-line block ×4, first 2 shown]
	v_and_b32_e32 v16, 0xffff, v16
	v_and_b32_e32 v17, 0xffff, v17
	;; [unrolled: 1-line block ×4, first 2 shown]
	v_mul_u32_u24_e32 v60, 0x10001, v60
	v_mul_u32_u24_e32 v16, 0x10001, v16
	;; [unrolled: 1-line block ×8, first 2 shown]
	v_pk_fma_f16 v45, v21, v16, v45
	v_pk_fma_f16 v46, v21, v60, v46
	;; [unrolled: 1-line block ×8, first 2 shown]
	ds_load_2addr_b32 v[20:21], v143 offset0:128 offset1:160
	ds_load_b128 v[16:19], v135 offset:448
	s_wait_dscnt 0x0
	v_lshrrev_b32_e32 v53, 16, v16
	v_and_b32_e32 v16, 0xffff, v16
	v_lshrrev_b32_e32 v54, 16, v17
	v_lshrrev_b32_e32 v55, 16, v18
	;; [unrolled: 1-line block ×3, first 2 shown]
	v_mul_u32_u24_e32 v53, 0x10001, v53
	v_mul_u32_u24_e32 v57, 0x10001, v16
	v_and_b32_e32 v16, 0xffff, v17
	v_mul_u32_u24_e32 v54, 0x10001, v54
	v_mul_u32_u24_e32 v55, 0x10001, v55
	;; [unrolled: 1-line block ×3, first 2 shown]
	v_pk_fma_f16 v39, v20, v57, v39
	v_mul_u32_u24_e32 v58, 0x10001, v16
	v_and_b32_e32 v16, 0xffff, v18
	v_pk_fma_f16 v40, v20, v53, v40
	v_pk_fma_f16 v42, v20, v54, v42
	;; [unrolled: 1-line block ×4, first 2 shown]
	v_mul_u32_u24_e32 v59, 0x10001, v16
	v_and_b32_e32 v16, 0xffff, v19
	v_pk_fma_f16 v44, v20, v56, v44
	s_delay_alu instid0(VALU_DEP_3) | instskip(NEXT) | instid1(VALU_DEP_3)
	v_pk_fma_f16 v22, v20, v59, v22
	v_mul_u32_u24_e32 v60, 0x10001, v16
	ds_load_b128 v[16:19], v135 offset:1472
	v_pk_fma_f16 v23, v20, v60, v23
	s_wait_dscnt 0x0
	v_lshrrev_b32_e32 v61, 16, v16
	v_lshrrev_b32_e32 v62, 16, v17
	v_lshrrev_b32_e32 v63, 16, v18
	v_lshrrev_b32_e32 v80, 16, v19
	v_and_b32_e32 v16, 0xffff, v16
	v_and_b32_e32 v17, 0xffff, v17
	;; [unrolled: 1-line block ×4, first 2 shown]
	v_mul_u32_u24_e32 v61, 0x10001, v61
	v_mul_u32_u24_e32 v16, 0x10001, v16
	;; [unrolled: 1-line block ×6, first 2 shown]
	v_pk_fma_f16 v45, v20, v16, v45
	v_pk_fma_f16 v47, v20, v17, v47
	;; [unrolled: 1-line block ×4, first 2 shown]
	ds_load_b128 v[16:19], v135 offset:464
	v_mul_u32_u24_e32 v63, 0x10001, v63
	v_mul_u32_u24_e32 v80, 0x10001, v80
	v_pk_fma_f16 v46, v20, v61, v46
	v_pk_fma_f16 v48, v20, v62, v48
	s_delay_alu instid0(VALU_DEP_4) | instskip(NEXT) | instid1(VALU_DEP_4)
	v_pk_fma_f16 v50, v20, v63, v50
	v_pk_fma_f16 v20, v20, v80, v52
	s_wait_dscnt 0x0
	v_lshrrev_b32_e32 v52, 16, v16
	v_and_b32_e32 v16, 0xffff, v16
	v_lshrrev_b32_e32 v53, 16, v17
	v_lshrrev_b32_e32 v54, 16, v18
	;; [unrolled: 1-line block ×3, first 2 shown]
	v_mul_u32_u24_e32 v52, 0x10001, v52
	v_mul_u32_u24_e32 v56, 0x10001, v16
	v_and_b32_e32 v16, 0xffff, v17
	v_mul_u32_u24_e32 v53, 0x10001, v53
	v_mul_u32_u24_e32 v54, 0x10001, v54
	;; [unrolled: 1-line block ×3, first 2 shown]
	v_pk_fma_f16 v39, v21, v56, v39
	v_mul_u32_u24_e32 v57, 0x10001, v16
	v_and_b32_e32 v16, 0xffff, v18
	v_pk_fma_f16 v40, v21, v52, v40
	v_pk_fma_f16 v42, v21, v53, v42
	v_pk_fma_f16 v43, v21, v54, v43
	v_pk_fma_f16 v41, v21, v57, v41
	v_mul_u32_u24_e32 v58, 0x10001, v16
	v_and_b32_e32 v16, 0xffff, v19
	v_pk_fma_f16 v44, v21, v55, v44
	s_delay_alu instid0(VALU_DEP_3) | instskip(NEXT) | instid1(VALU_DEP_3)
	v_pk_fma_f16 v22, v21, v58, v22
	v_mul_u32_u24_e32 v59, 0x10001, v16
	ds_load_b128 v[16:19], v135 offset:1488
	v_pk_fma_f16 v23, v21, v59, v23
	s_wait_dscnt 0x0
	v_lshrrev_b32_e32 v60, 16, v16
	v_lshrrev_b32_e32 v61, 16, v17
	;; [unrolled: 1-line block ×4, first 2 shown]
	v_and_b32_e32 v16, 0xffff, v16
	v_and_b32_e32 v17, 0xffff, v17
	;; [unrolled: 1-line block ×4, first 2 shown]
	v_mul_u32_u24_e32 v60, 0x10001, v60
	v_mul_u32_u24_e32 v16, 0x10001, v16
	;; [unrolled: 1-line block ×8, first 2 shown]
	v_pk_fma_f16 v45, v21, v16, v45
	v_pk_fma_f16 v46, v21, v60, v46
	;; [unrolled: 1-line block ×8, first 2 shown]
	ds_load_2addr_b32 v[20:21], v143 offset0:192 offset1:224
	ds_load_b128 v[16:19], v135 offset:480
	s_wait_dscnt 0x0
	v_lshrrev_b32_e32 v53, 16, v16
	v_and_b32_e32 v16, 0xffff, v16
	v_lshrrev_b32_e32 v54, 16, v17
	v_lshrrev_b32_e32 v55, 16, v18
	;; [unrolled: 1-line block ×3, first 2 shown]
	v_mul_u32_u24_e32 v53, 0x10001, v53
	v_mul_u32_u24_e32 v57, 0x10001, v16
	v_and_b32_e32 v16, 0xffff, v17
	v_mul_u32_u24_e32 v54, 0x10001, v54
	v_mul_u32_u24_e32 v55, 0x10001, v55
	;; [unrolled: 1-line block ×3, first 2 shown]
	v_pk_fma_f16 v39, v20, v57, v39
	v_mul_u32_u24_e32 v58, 0x10001, v16
	v_and_b32_e32 v16, 0xffff, v18
	v_pk_fma_f16 v40, v20, v53, v40
	v_pk_fma_f16 v42, v20, v54, v42
	;; [unrolled: 1-line block ×4, first 2 shown]
	v_mul_u32_u24_e32 v59, 0x10001, v16
	v_and_b32_e32 v16, 0xffff, v19
	v_pk_fma_f16 v44, v20, v56, v44
	s_delay_alu instid0(VALU_DEP_3) | instskip(NEXT) | instid1(VALU_DEP_3)
	v_pk_fma_f16 v22, v20, v59, v22
	v_mul_u32_u24_e32 v60, 0x10001, v16
	ds_load_b128 v[16:19], v135 offset:1504
	v_pk_fma_f16 v23, v20, v60, v23
	s_wait_dscnt 0x0
	v_lshrrev_b32_e32 v61, 16, v16
	v_lshrrev_b32_e32 v62, 16, v17
	;; [unrolled: 1-line block ×4, first 2 shown]
	v_and_b32_e32 v16, 0xffff, v16
	v_and_b32_e32 v17, 0xffff, v17
	v_and_b32_e32 v18, 0xffff, v18
	v_and_b32_e32 v19, 0xffff, v19
	v_mul_u32_u24_e32 v61, 0x10001, v61
	v_mul_u32_u24_e32 v16, 0x10001, v16
	;; [unrolled: 1-line block ×6, first 2 shown]
	v_pk_fma_f16 v45, v20, v16, v45
	v_pk_fma_f16 v47, v20, v17, v47
	;; [unrolled: 1-line block ×4, first 2 shown]
	ds_load_b128 v[16:19], v135 offset:496
	v_mul_u32_u24_e32 v63, 0x10001, v63
	v_mul_u32_u24_e32 v80, 0x10001, v80
	v_pk_fma_f16 v46, v20, v61, v46
	v_pk_fma_f16 v48, v20, v62, v48
	s_delay_alu instid0(VALU_DEP_4) | instskip(NEXT) | instid1(VALU_DEP_4)
	v_pk_fma_f16 v50, v20, v63, v50
	v_pk_fma_f16 v20, v20, v80, v52
	s_wait_dscnt 0x0
	v_lshrrev_b32_e32 v52, 16, v16
	v_and_b32_e32 v16, 0xffff, v16
	v_lshrrev_b32_e32 v53, 16, v17
	v_lshrrev_b32_e32 v54, 16, v18
	;; [unrolled: 1-line block ×3, first 2 shown]
	v_mul_u32_u24_e32 v52, 0x10001, v52
	v_mul_u32_u24_e32 v56, 0x10001, v16
	v_and_b32_e32 v16, 0xffff, v17
	v_mul_u32_u24_e32 v53, 0x10001, v53
	v_mul_u32_u24_e32 v54, 0x10001, v54
	;; [unrolled: 1-line block ×3, first 2 shown]
	v_pk_fma_f16 v39, v21, v56, v39
	v_mul_u32_u24_e32 v57, 0x10001, v16
	v_and_b32_e32 v16, 0xffff, v18
	v_pk_fma_f16 v40, v21, v52, v40
	v_pk_fma_f16 v42, v21, v53, v42
	v_pk_fma_f16 v43, v21, v54, v43
	v_pk_fma_f16 v41, v21, v57, v41
	v_mul_u32_u24_e32 v58, 0x10001, v16
	v_and_b32_e32 v16, 0xffff, v19
	v_pk_fma_f16 v44, v21, v55, v44
	s_delay_alu instid0(VALU_DEP_3) | instskip(NEXT) | instid1(VALU_DEP_3)
	v_pk_fma_f16 v22, v21, v58, v22
	v_mul_u32_u24_e32 v59, 0x10001, v16
	ds_load_b128 v[16:19], v135 offset:1520
	v_pk_fma_f16 v23, v21, v59, v23
	s_wait_dscnt 0x0
	v_lshrrev_b32_e32 v60, 16, v16
	v_lshrrev_b32_e32 v61, 16, v17
	;; [unrolled: 1-line block ×4, first 2 shown]
	v_and_b32_e32 v16, 0xffff, v16
	v_and_b32_e32 v17, 0xffff, v17
	;; [unrolled: 1-line block ×4, first 2 shown]
	v_mul_u32_u24_e32 v60, 0x10001, v60
	v_mul_u32_u24_e32 v16, 0x10001, v16
	;; [unrolled: 1-line block ×8, first 2 shown]
	v_pk_fma_f16 v45, v21, v16, v45
	v_pk_fma_f16 v46, v21, v60, v46
	;; [unrolled: 1-line block ×8, first 2 shown]
	ds_load_2addr_b32 v[20:21], v144 offset1:32
	ds_load_b128 v[16:19], v135 offset:512
	s_wait_dscnt 0x0
	v_lshrrev_b32_e32 v53, 16, v16
	v_and_b32_e32 v16, 0xffff, v16
	v_lshrrev_b32_e32 v54, 16, v17
	v_lshrrev_b32_e32 v55, 16, v18
	;; [unrolled: 1-line block ×3, first 2 shown]
	v_mul_u32_u24_e32 v53, 0x10001, v53
	v_mul_u32_u24_e32 v57, 0x10001, v16
	v_and_b32_e32 v16, 0xffff, v17
	v_mul_u32_u24_e32 v54, 0x10001, v54
	v_mul_u32_u24_e32 v55, 0x10001, v55
	;; [unrolled: 1-line block ×3, first 2 shown]
	v_pk_fma_f16 v39, v20, v57, v39
	v_mul_u32_u24_e32 v58, 0x10001, v16
	v_and_b32_e32 v16, 0xffff, v18
	v_pk_fma_f16 v40, v20, v53, v40
	v_pk_fma_f16 v42, v20, v54, v42
	;; [unrolled: 1-line block ×4, first 2 shown]
	v_mul_u32_u24_e32 v59, 0x10001, v16
	v_and_b32_e32 v16, 0xffff, v19
	v_pk_fma_f16 v44, v20, v56, v44
	s_delay_alu instid0(VALU_DEP_3) | instskip(NEXT) | instid1(VALU_DEP_3)
	v_pk_fma_f16 v22, v20, v59, v22
	v_mul_u32_u24_e32 v60, 0x10001, v16
	ds_load_b128 v[16:19], v135 offset:1536
	v_pk_fma_f16 v23, v20, v60, v23
	s_wait_dscnt 0x0
	v_lshrrev_b32_e32 v61, 16, v16
	v_lshrrev_b32_e32 v62, 16, v17
	;; [unrolled: 1-line block ×4, first 2 shown]
	v_and_b32_e32 v16, 0xffff, v16
	v_and_b32_e32 v17, 0xffff, v17
	v_and_b32_e32 v18, 0xffff, v18
	v_and_b32_e32 v19, 0xffff, v19
	v_mul_u32_u24_e32 v61, 0x10001, v61
	v_mul_u32_u24_e32 v16, 0x10001, v16
	;; [unrolled: 1-line block ×6, first 2 shown]
	v_pk_fma_f16 v45, v20, v16, v45
	v_pk_fma_f16 v47, v20, v17, v47
	v_pk_fma_f16 v49, v20, v18, v49
	v_pk_fma_f16 v51, v20, v19, v51
	ds_load_b128 v[16:19], v135 offset:528
	v_mul_u32_u24_e32 v63, 0x10001, v63
	v_mul_u32_u24_e32 v80, 0x10001, v80
	v_pk_fma_f16 v46, v20, v61, v46
	v_pk_fma_f16 v48, v20, v62, v48
	s_delay_alu instid0(VALU_DEP_4) | instskip(NEXT) | instid1(VALU_DEP_4)
	v_pk_fma_f16 v50, v20, v63, v50
	v_pk_fma_f16 v20, v20, v80, v52
	s_wait_dscnt 0x0
	v_lshrrev_b32_e32 v52, 16, v16
	v_and_b32_e32 v16, 0xffff, v16
	v_lshrrev_b32_e32 v53, 16, v17
	v_lshrrev_b32_e32 v54, 16, v18
	;; [unrolled: 1-line block ×3, first 2 shown]
	v_mul_u32_u24_e32 v52, 0x10001, v52
	v_mul_u32_u24_e32 v56, 0x10001, v16
	v_and_b32_e32 v16, 0xffff, v17
	v_mul_u32_u24_e32 v53, 0x10001, v53
	v_mul_u32_u24_e32 v54, 0x10001, v54
	;; [unrolled: 1-line block ×3, first 2 shown]
	v_pk_fma_f16 v39, v21, v56, v39
	v_mul_u32_u24_e32 v57, 0x10001, v16
	v_and_b32_e32 v16, 0xffff, v18
	v_pk_fma_f16 v40, v21, v52, v40
	v_pk_fma_f16 v42, v21, v53, v42
	;; [unrolled: 1-line block ×4, first 2 shown]
	v_mul_u32_u24_e32 v58, 0x10001, v16
	v_and_b32_e32 v16, 0xffff, v19
	v_pk_fma_f16 v44, v21, v55, v44
	s_delay_alu instid0(VALU_DEP_3) | instskip(NEXT) | instid1(VALU_DEP_3)
	v_pk_fma_f16 v22, v21, v58, v22
	v_mul_u32_u24_e32 v59, 0x10001, v16
	ds_load_b128 v[16:19], v135 offset:1552
	v_pk_fma_f16 v23, v21, v59, v23
	s_wait_dscnt 0x0
	v_lshrrev_b32_e32 v60, 16, v16
	v_lshrrev_b32_e32 v61, 16, v17
	v_lshrrev_b32_e32 v62, 16, v18
	v_lshrrev_b32_e32 v63, 16, v19
	v_and_b32_e32 v16, 0xffff, v16
	v_and_b32_e32 v17, 0xffff, v17
	;; [unrolled: 1-line block ×4, first 2 shown]
	v_mul_u32_u24_e32 v60, 0x10001, v60
	v_mul_u32_u24_e32 v16, 0x10001, v16
	;; [unrolled: 1-line block ×8, first 2 shown]
	v_pk_fma_f16 v45, v21, v16, v45
	v_pk_fma_f16 v46, v21, v60, v46
	;; [unrolled: 1-line block ×8, first 2 shown]
	ds_load_2addr_b32 v[20:21], v144 offset0:64 offset1:96
	ds_load_b128 v[16:19], v135 offset:544
	s_wait_dscnt 0x0
	v_lshrrev_b32_e32 v53, 16, v16
	v_and_b32_e32 v16, 0xffff, v16
	v_lshrrev_b32_e32 v54, 16, v17
	v_lshrrev_b32_e32 v55, 16, v18
	;; [unrolled: 1-line block ×3, first 2 shown]
	v_mul_u32_u24_e32 v53, 0x10001, v53
	v_mul_u32_u24_e32 v57, 0x10001, v16
	v_and_b32_e32 v16, 0xffff, v17
	v_mul_u32_u24_e32 v54, 0x10001, v54
	v_mul_u32_u24_e32 v55, 0x10001, v55
	;; [unrolled: 1-line block ×3, first 2 shown]
	v_pk_fma_f16 v39, v20, v57, v39
	v_mul_u32_u24_e32 v58, 0x10001, v16
	v_and_b32_e32 v16, 0xffff, v18
	v_pk_fma_f16 v40, v20, v53, v40
	v_pk_fma_f16 v42, v20, v54, v42
	;; [unrolled: 1-line block ×4, first 2 shown]
	v_mul_u32_u24_e32 v59, 0x10001, v16
	v_and_b32_e32 v16, 0xffff, v19
	v_pk_fma_f16 v44, v20, v56, v44
	s_delay_alu instid0(VALU_DEP_3) | instskip(NEXT) | instid1(VALU_DEP_3)
	v_pk_fma_f16 v22, v20, v59, v22
	v_mul_u32_u24_e32 v60, 0x10001, v16
	ds_load_b128 v[16:19], v135 offset:1568
	v_pk_fma_f16 v23, v20, v60, v23
	s_wait_dscnt 0x0
	v_lshrrev_b32_e32 v61, 16, v16
	v_lshrrev_b32_e32 v62, 16, v17
	;; [unrolled: 1-line block ×4, first 2 shown]
	v_and_b32_e32 v16, 0xffff, v16
	v_and_b32_e32 v17, 0xffff, v17
	v_and_b32_e32 v18, 0xffff, v18
	v_and_b32_e32 v19, 0xffff, v19
	v_mul_u32_u24_e32 v61, 0x10001, v61
	v_mul_u32_u24_e32 v16, 0x10001, v16
	;; [unrolled: 1-line block ×6, first 2 shown]
	v_pk_fma_f16 v45, v20, v16, v45
	v_pk_fma_f16 v47, v20, v17, v47
	;; [unrolled: 1-line block ×4, first 2 shown]
	ds_load_b128 v[16:19], v135 offset:560
	v_mul_u32_u24_e32 v63, 0x10001, v63
	v_mul_u32_u24_e32 v80, 0x10001, v80
	v_pk_fma_f16 v46, v20, v61, v46
	v_pk_fma_f16 v48, v20, v62, v48
	s_delay_alu instid0(VALU_DEP_4) | instskip(NEXT) | instid1(VALU_DEP_4)
	v_pk_fma_f16 v50, v20, v63, v50
	v_pk_fma_f16 v20, v20, v80, v52
	s_wait_dscnt 0x0
	v_lshrrev_b32_e32 v52, 16, v16
	v_and_b32_e32 v16, 0xffff, v16
	v_lshrrev_b32_e32 v53, 16, v17
	v_lshrrev_b32_e32 v54, 16, v18
	;; [unrolled: 1-line block ×3, first 2 shown]
	v_mul_u32_u24_e32 v52, 0x10001, v52
	v_mul_u32_u24_e32 v56, 0x10001, v16
	v_and_b32_e32 v16, 0xffff, v17
	v_mul_u32_u24_e32 v53, 0x10001, v53
	v_mul_u32_u24_e32 v54, 0x10001, v54
	;; [unrolled: 1-line block ×3, first 2 shown]
	v_pk_fma_f16 v39, v21, v56, v39
	v_mul_u32_u24_e32 v57, 0x10001, v16
	v_and_b32_e32 v16, 0xffff, v18
	v_pk_fma_f16 v40, v21, v52, v40
	v_pk_fma_f16 v42, v21, v53, v42
	;; [unrolled: 1-line block ×4, first 2 shown]
	v_mul_u32_u24_e32 v58, 0x10001, v16
	v_and_b32_e32 v16, 0xffff, v19
	v_pk_fma_f16 v44, v21, v55, v44
	s_delay_alu instid0(VALU_DEP_3) | instskip(NEXT) | instid1(VALU_DEP_3)
	v_pk_fma_f16 v22, v21, v58, v22
	v_mul_u32_u24_e32 v59, 0x10001, v16
	ds_load_b128 v[16:19], v135 offset:1584
	v_pk_fma_f16 v23, v21, v59, v23
	s_wait_dscnt 0x0
	v_lshrrev_b32_e32 v60, 16, v16
	v_lshrrev_b32_e32 v61, 16, v17
	;; [unrolled: 1-line block ×4, first 2 shown]
	v_and_b32_e32 v16, 0xffff, v16
	v_and_b32_e32 v17, 0xffff, v17
	;; [unrolled: 1-line block ×4, first 2 shown]
	v_mul_u32_u24_e32 v60, 0x10001, v60
	v_mul_u32_u24_e32 v16, 0x10001, v16
	;; [unrolled: 1-line block ×8, first 2 shown]
	v_pk_fma_f16 v45, v21, v16, v45
	v_pk_fma_f16 v46, v21, v60, v46
	;; [unrolled: 1-line block ×8, first 2 shown]
	ds_load_2addr_b32 v[20:21], v144 offset0:128 offset1:160
	ds_load_b128 v[16:19], v135 offset:576
	s_wait_dscnt 0x0
	v_lshrrev_b32_e32 v53, 16, v16
	v_and_b32_e32 v16, 0xffff, v16
	v_lshrrev_b32_e32 v54, 16, v17
	v_lshrrev_b32_e32 v55, 16, v18
	;; [unrolled: 1-line block ×3, first 2 shown]
	v_mul_u32_u24_e32 v53, 0x10001, v53
	v_mul_u32_u24_e32 v57, 0x10001, v16
	v_and_b32_e32 v16, 0xffff, v17
	v_mul_u32_u24_e32 v54, 0x10001, v54
	v_mul_u32_u24_e32 v55, 0x10001, v55
	;; [unrolled: 1-line block ×3, first 2 shown]
	v_pk_fma_f16 v39, v20, v57, v39
	v_mul_u32_u24_e32 v58, 0x10001, v16
	v_and_b32_e32 v16, 0xffff, v18
	v_pk_fma_f16 v40, v20, v53, v40
	v_pk_fma_f16 v42, v20, v54, v42
	;; [unrolled: 1-line block ×4, first 2 shown]
	v_mul_u32_u24_e32 v59, 0x10001, v16
	v_and_b32_e32 v16, 0xffff, v19
	v_pk_fma_f16 v44, v20, v56, v44
	s_delay_alu instid0(VALU_DEP_3) | instskip(NEXT) | instid1(VALU_DEP_3)
	v_pk_fma_f16 v22, v20, v59, v22
	v_mul_u32_u24_e32 v60, 0x10001, v16
	ds_load_b128 v[16:19], v135 offset:1600
	v_pk_fma_f16 v23, v20, v60, v23
	s_wait_dscnt 0x0
	v_lshrrev_b32_e32 v61, 16, v16
	v_lshrrev_b32_e32 v62, 16, v17
	;; [unrolled: 1-line block ×4, first 2 shown]
	v_and_b32_e32 v16, 0xffff, v16
	v_and_b32_e32 v17, 0xffff, v17
	;; [unrolled: 1-line block ×4, first 2 shown]
	v_mul_u32_u24_e32 v61, 0x10001, v61
	v_mul_u32_u24_e32 v16, 0x10001, v16
	;; [unrolled: 1-line block ×6, first 2 shown]
	v_pk_fma_f16 v45, v20, v16, v45
	v_pk_fma_f16 v47, v20, v17, v47
	;; [unrolled: 1-line block ×4, first 2 shown]
	ds_load_b128 v[16:19], v135 offset:592
	v_mul_u32_u24_e32 v63, 0x10001, v63
	v_mul_u32_u24_e32 v80, 0x10001, v80
	v_pk_fma_f16 v46, v20, v61, v46
	v_pk_fma_f16 v48, v20, v62, v48
	s_delay_alu instid0(VALU_DEP_4) | instskip(NEXT) | instid1(VALU_DEP_4)
	v_pk_fma_f16 v50, v20, v63, v50
	v_pk_fma_f16 v20, v20, v80, v52
	s_wait_dscnt 0x0
	v_lshrrev_b32_e32 v52, 16, v16
	v_and_b32_e32 v16, 0xffff, v16
	v_lshrrev_b32_e32 v53, 16, v17
	v_lshrrev_b32_e32 v54, 16, v18
	;; [unrolled: 1-line block ×3, first 2 shown]
	v_mul_u32_u24_e32 v52, 0x10001, v52
	v_mul_u32_u24_e32 v56, 0x10001, v16
	v_and_b32_e32 v16, 0xffff, v17
	v_mul_u32_u24_e32 v53, 0x10001, v53
	v_mul_u32_u24_e32 v54, 0x10001, v54
	;; [unrolled: 1-line block ×3, first 2 shown]
	v_pk_fma_f16 v39, v21, v56, v39
	v_mul_u32_u24_e32 v57, 0x10001, v16
	v_and_b32_e32 v16, 0xffff, v18
	v_pk_fma_f16 v40, v21, v52, v40
	v_pk_fma_f16 v42, v21, v53, v42
	;; [unrolled: 1-line block ×4, first 2 shown]
	v_mul_u32_u24_e32 v58, 0x10001, v16
	v_and_b32_e32 v16, 0xffff, v19
	v_pk_fma_f16 v44, v21, v55, v44
	s_delay_alu instid0(VALU_DEP_3) | instskip(NEXT) | instid1(VALU_DEP_3)
	v_pk_fma_f16 v22, v21, v58, v22
	v_mul_u32_u24_e32 v59, 0x10001, v16
	ds_load_b128 v[16:19], v135 offset:1616
	v_pk_fma_f16 v23, v21, v59, v23
	s_wait_dscnt 0x0
	v_lshrrev_b32_e32 v60, 16, v16
	v_lshrrev_b32_e32 v61, 16, v17
	;; [unrolled: 1-line block ×4, first 2 shown]
	v_and_b32_e32 v16, 0xffff, v16
	v_and_b32_e32 v17, 0xffff, v17
	;; [unrolled: 1-line block ×4, first 2 shown]
	v_mul_u32_u24_e32 v60, 0x10001, v60
	v_mul_u32_u24_e32 v16, 0x10001, v16
	;; [unrolled: 1-line block ×8, first 2 shown]
	v_pk_fma_f16 v45, v21, v16, v45
	v_pk_fma_f16 v46, v21, v60, v46
	v_pk_fma_f16 v47, v21, v17, v47
	v_pk_fma_f16 v48, v21, v61, v48
	v_pk_fma_f16 v49, v21, v18, v49
	v_pk_fma_f16 v50, v21, v62, v50
	v_pk_fma_f16 v51, v21, v19, v51
	v_pk_fma_f16 v52, v21, v63, v20
	ds_load_2addr_b32 v[20:21], v144 offset0:192 offset1:224
	ds_load_b128 v[16:19], v135 offset:608
	s_wait_dscnt 0x0
	v_lshrrev_b32_e32 v53, 16, v16
	v_and_b32_e32 v16, 0xffff, v16
	v_lshrrev_b32_e32 v54, 16, v17
	v_lshrrev_b32_e32 v55, 16, v18
	v_lshrrev_b32_e32 v56, 16, v19
	v_mul_u32_u24_e32 v53, 0x10001, v53
	v_mul_u32_u24_e32 v57, 0x10001, v16
	v_and_b32_e32 v16, 0xffff, v17
	v_mul_u32_u24_e32 v54, 0x10001, v54
	v_mul_u32_u24_e32 v55, 0x10001, v55
	;; [unrolled: 1-line block ×3, first 2 shown]
	v_pk_fma_f16 v39, v20, v57, v39
	v_mul_u32_u24_e32 v58, 0x10001, v16
	v_and_b32_e32 v16, 0xffff, v18
	v_pk_fma_f16 v40, v20, v53, v40
	v_pk_fma_f16 v42, v20, v54, v42
	;; [unrolled: 1-line block ×4, first 2 shown]
	v_mul_u32_u24_e32 v59, 0x10001, v16
	v_and_b32_e32 v16, 0xffff, v19
	v_pk_fma_f16 v44, v20, v56, v44
	s_delay_alu instid0(VALU_DEP_3) | instskip(NEXT) | instid1(VALU_DEP_3)
	v_pk_fma_f16 v22, v20, v59, v22
	v_mul_u32_u24_e32 v60, 0x10001, v16
	ds_load_b128 v[16:19], v135 offset:1632
	v_pk_fma_f16 v23, v20, v60, v23
	s_wait_dscnt 0x0
	v_lshrrev_b32_e32 v61, 16, v16
	v_lshrrev_b32_e32 v62, 16, v17
	;; [unrolled: 1-line block ×4, first 2 shown]
	v_and_b32_e32 v16, 0xffff, v16
	v_and_b32_e32 v17, 0xffff, v17
	;; [unrolled: 1-line block ×4, first 2 shown]
	v_mul_u32_u24_e32 v61, 0x10001, v61
	v_mul_u32_u24_e32 v16, 0x10001, v16
	;; [unrolled: 1-line block ×6, first 2 shown]
	v_pk_fma_f16 v45, v20, v16, v45
	v_pk_fma_f16 v47, v20, v17, v47
	;; [unrolled: 1-line block ×4, first 2 shown]
	ds_load_b128 v[16:19], v135 offset:624
	v_mul_u32_u24_e32 v63, 0x10001, v63
	v_mul_u32_u24_e32 v80, 0x10001, v80
	v_pk_fma_f16 v46, v20, v61, v46
	v_pk_fma_f16 v48, v20, v62, v48
	s_delay_alu instid0(VALU_DEP_4) | instskip(NEXT) | instid1(VALU_DEP_4)
	v_pk_fma_f16 v50, v20, v63, v50
	v_pk_fma_f16 v20, v20, v80, v52
	s_wait_dscnt 0x0
	v_lshrrev_b32_e32 v52, 16, v16
	v_and_b32_e32 v16, 0xffff, v16
	v_lshrrev_b32_e32 v53, 16, v17
	v_lshrrev_b32_e32 v54, 16, v18
	v_lshrrev_b32_e32 v55, 16, v19
	v_mul_u32_u24_e32 v52, 0x10001, v52
	v_mul_u32_u24_e32 v56, 0x10001, v16
	v_and_b32_e32 v16, 0xffff, v17
	v_mul_u32_u24_e32 v53, 0x10001, v53
	v_mul_u32_u24_e32 v54, 0x10001, v54
	;; [unrolled: 1-line block ×3, first 2 shown]
	v_pk_fma_f16 v39, v21, v56, v39
	v_mul_u32_u24_e32 v57, 0x10001, v16
	v_and_b32_e32 v16, 0xffff, v18
	v_pk_fma_f16 v40, v21, v52, v40
	v_pk_fma_f16 v42, v21, v53, v42
	;; [unrolled: 1-line block ×4, first 2 shown]
	v_mul_u32_u24_e32 v58, 0x10001, v16
	v_and_b32_e32 v16, 0xffff, v19
	v_pk_fma_f16 v44, v21, v55, v44
	s_delay_alu instid0(VALU_DEP_3) | instskip(NEXT) | instid1(VALU_DEP_3)
	v_pk_fma_f16 v22, v21, v58, v22
	v_mul_u32_u24_e32 v59, 0x10001, v16
	ds_load_b128 v[16:19], v135 offset:1648
	v_pk_fma_f16 v23, v21, v59, v23
	s_wait_dscnt 0x0
	v_lshrrev_b32_e32 v60, 16, v16
	v_lshrrev_b32_e32 v61, 16, v17
	;; [unrolled: 1-line block ×4, first 2 shown]
	v_and_b32_e32 v16, 0xffff, v16
	v_and_b32_e32 v17, 0xffff, v17
	v_and_b32_e32 v18, 0xffff, v18
	v_and_b32_e32 v19, 0xffff, v19
	v_mul_u32_u24_e32 v60, 0x10001, v60
	v_mul_u32_u24_e32 v16, 0x10001, v16
	;; [unrolled: 1-line block ×8, first 2 shown]
	v_pk_fma_f16 v45, v21, v16, v45
	v_pk_fma_f16 v46, v21, v60, v46
	;; [unrolled: 1-line block ×8, first 2 shown]
	ds_load_2addr_b32 v[20:21], v145 offset1:32
	ds_load_b128 v[16:19], v135 offset:640
	s_wait_dscnt 0x0
	v_lshrrev_b32_e32 v53, 16, v16
	v_and_b32_e32 v16, 0xffff, v16
	v_lshrrev_b32_e32 v54, 16, v17
	v_lshrrev_b32_e32 v55, 16, v18
	;; [unrolled: 1-line block ×3, first 2 shown]
	v_mul_u32_u24_e32 v53, 0x10001, v53
	v_mul_u32_u24_e32 v57, 0x10001, v16
	v_and_b32_e32 v16, 0xffff, v17
	v_mul_u32_u24_e32 v54, 0x10001, v54
	v_mul_u32_u24_e32 v55, 0x10001, v55
	;; [unrolled: 1-line block ×3, first 2 shown]
	v_pk_fma_f16 v39, v20, v57, v39
	v_mul_u32_u24_e32 v58, 0x10001, v16
	v_and_b32_e32 v16, 0xffff, v18
	v_pk_fma_f16 v40, v20, v53, v40
	v_pk_fma_f16 v42, v20, v54, v42
	;; [unrolled: 1-line block ×4, first 2 shown]
	v_mul_u32_u24_e32 v59, 0x10001, v16
	v_and_b32_e32 v16, 0xffff, v19
	v_pk_fma_f16 v44, v20, v56, v44
	s_delay_alu instid0(VALU_DEP_3) | instskip(NEXT) | instid1(VALU_DEP_3)
	v_pk_fma_f16 v22, v20, v59, v22
	v_mul_u32_u24_e32 v60, 0x10001, v16
	ds_load_b128 v[16:19], v135 offset:1664
	v_pk_fma_f16 v23, v20, v60, v23
	s_wait_dscnt 0x0
	v_lshrrev_b32_e32 v61, 16, v16
	v_lshrrev_b32_e32 v62, 16, v17
	;; [unrolled: 1-line block ×4, first 2 shown]
	v_and_b32_e32 v16, 0xffff, v16
	v_and_b32_e32 v17, 0xffff, v17
	;; [unrolled: 1-line block ×4, first 2 shown]
	v_mul_u32_u24_e32 v61, 0x10001, v61
	v_mul_u32_u24_e32 v16, 0x10001, v16
	;; [unrolled: 1-line block ×6, first 2 shown]
	v_pk_fma_f16 v45, v20, v16, v45
	v_pk_fma_f16 v47, v20, v17, v47
	;; [unrolled: 1-line block ×4, first 2 shown]
	ds_load_b128 v[16:19], v135 offset:656
	v_mul_u32_u24_e32 v63, 0x10001, v63
	v_mul_u32_u24_e32 v80, 0x10001, v80
	v_pk_fma_f16 v46, v20, v61, v46
	v_pk_fma_f16 v48, v20, v62, v48
	s_delay_alu instid0(VALU_DEP_4) | instskip(NEXT) | instid1(VALU_DEP_4)
	v_pk_fma_f16 v50, v20, v63, v50
	v_pk_fma_f16 v20, v20, v80, v52
	s_wait_dscnt 0x0
	v_lshrrev_b32_e32 v52, 16, v16
	v_and_b32_e32 v16, 0xffff, v16
	v_lshrrev_b32_e32 v53, 16, v17
	v_lshrrev_b32_e32 v54, 16, v18
	;; [unrolled: 1-line block ×3, first 2 shown]
	v_mul_u32_u24_e32 v52, 0x10001, v52
	v_mul_u32_u24_e32 v56, 0x10001, v16
	v_and_b32_e32 v16, 0xffff, v17
	v_mul_u32_u24_e32 v53, 0x10001, v53
	v_mul_u32_u24_e32 v54, 0x10001, v54
	;; [unrolled: 1-line block ×3, first 2 shown]
	v_pk_fma_f16 v39, v21, v56, v39
	v_mul_u32_u24_e32 v57, 0x10001, v16
	v_and_b32_e32 v16, 0xffff, v18
	v_pk_fma_f16 v40, v21, v52, v40
	v_pk_fma_f16 v42, v21, v53, v42
	;; [unrolled: 1-line block ×4, first 2 shown]
	v_mul_u32_u24_e32 v58, 0x10001, v16
	v_and_b32_e32 v16, 0xffff, v19
	v_pk_fma_f16 v44, v21, v55, v44
	s_delay_alu instid0(VALU_DEP_3) | instskip(NEXT) | instid1(VALU_DEP_3)
	v_pk_fma_f16 v22, v21, v58, v22
	v_mul_u32_u24_e32 v59, 0x10001, v16
	ds_load_b128 v[16:19], v135 offset:1680
	v_pk_fma_f16 v23, v21, v59, v23
	s_wait_dscnt 0x0
	v_lshrrev_b32_e32 v60, 16, v16
	v_lshrrev_b32_e32 v61, 16, v17
	;; [unrolled: 1-line block ×4, first 2 shown]
	v_and_b32_e32 v16, 0xffff, v16
	v_and_b32_e32 v17, 0xffff, v17
	;; [unrolled: 1-line block ×4, first 2 shown]
	v_mul_u32_u24_e32 v60, 0x10001, v60
	v_mul_u32_u24_e32 v16, 0x10001, v16
	;; [unrolled: 1-line block ×8, first 2 shown]
	v_pk_fma_f16 v45, v21, v16, v45
	v_pk_fma_f16 v46, v21, v60, v46
	;; [unrolled: 1-line block ×8, first 2 shown]
	ds_load_2addr_b32 v[20:21], v145 offset0:64 offset1:96
	ds_load_b128 v[16:19], v135 offset:672
	s_wait_dscnt 0x0
	v_lshrrev_b32_e32 v53, 16, v16
	v_and_b32_e32 v16, 0xffff, v16
	v_lshrrev_b32_e32 v54, 16, v17
	v_lshrrev_b32_e32 v55, 16, v18
	;; [unrolled: 1-line block ×3, first 2 shown]
	v_mul_u32_u24_e32 v53, 0x10001, v53
	v_mul_u32_u24_e32 v57, 0x10001, v16
	v_and_b32_e32 v16, 0xffff, v17
	v_mul_u32_u24_e32 v54, 0x10001, v54
	v_mul_u32_u24_e32 v55, 0x10001, v55
	v_mul_u32_u24_e32 v56, 0x10001, v56
	v_pk_fma_f16 v39, v20, v57, v39
	v_mul_u32_u24_e32 v58, 0x10001, v16
	v_and_b32_e32 v16, 0xffff, v18
	v_pk_fma_f16 v40, v20, v53, v40
	v_pk_fma_f16 v42, v20, v54, v42
	;; [unrolled: 1-line block ×4, first 2 shown]
	v_mul_u32_u24_e32 v59, 0x10001, v16
	v_and_b32_e32 v16, 0xffff, v19
	v_pk_fma_f16 v44, v20, v56, v44
	s_delay_alu instid0(VALU_DEP_3) | instskip(NEXT) | instid1(VALU_DEP_3)
	v_pk_fma_f16 v22, v20, v59, v22
	v_mul_u32_u24_e32 v60, 0x10001, v16
	ds_load_b128 v[16:19], v135 offset:1696
	v_pk_fma_f16 v23, v20, v60, v23
	s_wait_dscnt 0x0
	v_lshrrev_b32_e32 v61, 16, v16
	v_lshrrev_b32_e32 v62, 16, v17
	;; [unrolled: 1-line block ×4, first 2 shown]
	v_and_b32_e32 v16, 0xffff, v16
	v_and_b32_e32 v17, 0xffff, v17
	;; [unrolled: 1-line block ×4, first 2 shown]
	v_mul_u32_u24_e32 v61, 0x10001, v61
	v_mul_u32_u24_e32 v16, 0x10001, v16
	;; [unrolled: 1-line block ×6, first 2 shown]
	v_pk_fma_f16 v45, v20, v16, v45
	v_pk_fma_f16 v47, v20, v17, v47
	;; [unrolled: 1-line block ×4, first 2 shown]
	ds_load_b128 v[16:19], v135 offset:688
	v_mul_u32_u24_e32 v63, 0x10001, v63
	v_mul_u32_u24_e32 v80, 0x10001, v80
	v_pk_fma_f16 v46, v20, v61, v46
	v_pk_fma_f16 v48, v20, v62, v48
	s_delay_alu instid0(VALU_DEP_4) | instskip(NEXT) | instid1(VALU_DEP_4)
	v_pk_fma_f16 v50, v20, v63, v50
	v_pk_fma_f16 v20, v20, v80, v52
	s_wait_dscnt 0x0
	v_lshrrev_b32_e32 v52, 16, v16
	v_and_b32_e32 v16, 0xffff, v16
	v_lshrrev_b32_e32 v53, 16, v17
	v_lshrrev_b32_e32 v54, 16, v18
	;; [unrolled: 1-line block ×3, first 2 shown]
	v_mul_u32_u24_e32 v52, 0x10001, v52
	v_mul_u32_u24_e32 v56, 0x10001, v16
	v_and_b32_e32 v16, 0xffff, v17
	v_mul_u32_u24_e32 v53, 0x10001, v53
	v_mul_u32_u24_e32 v54, 0x10001, v54
	;; [unrolled: 1-line block ×3, first 2 shown]
	v_pk_fma_f16 v39, v21, v56, v39
	v_mul_u32_u24_e32 v57, 0x10001, v16
	v_and_b32_e32 v16, 0xffff, v18
	v_pk_fma_f16 v40, v21, v52, v40
	v_pk_fma_f16 v42, v21, v53, v42
	;; [unrolled: 1-line block ×4, first 2 shown]
	v_mul_u32_u24_e32 v58, 0x10001, v16
	v_and_b32_e32 v16, 0xffff, v19
	v_pk_fma_f16 v44, v21, v55, v44
	s_delay_alu instid0(VALU_DEP_3) | instskip(NEXT) | instid1(VALU_DEP_3)
	v_pk_fma_f16 v22, v21, v58, v22
	v_mul_u32_u24_e32 v59, 0x10001, v16
	ds_load_b128 v[16:19], v135 offset:1712
	v_pk_fma_f16 v23, v21, v59, v23
	s_wait_dscnt 0x0
	v_lshrrev_b32_e32 v60, 16, v16
	v_lshrrev_b32_e32 v61, 16, v17
	;; [unrolled: 1-line block ×4, first 2 shown]
	v_and_b32_e32 v16, 0xffff, v16
	v_and_b32_e32 v17, 0xffff, v17
	;; [unrolled: 1-line block ×4, first 2 shown]
	v_mul_u32_u24_e32 v60, 0x10001, v60
	v_mul_u32_u24_e32 v16, 0x10001, v16
	;; [unrolled: 1-line block ×8, first 2 shown]
	v_pk_fma_f16 v45, v21, v16, v45
	v_pk_fma_f16 v46, v21, v60, v46
	;; [unrolled: 1-line block ×8, first 2 shown]
	ds_load_2addr_b32 v[20:21], v145 offset0:128 offset1:160
	ds_load_b128 v[16:19], v135 offset:704
	s_wait_dscnt 0x0
	v_lshrrev_b32_e32 v53, 16, v16
	v_and_b32_e32 v16, 0xffff, v16
	v_lshrrev_b32_e32 v54, 16, v17
	v_lshrrev_b32_e32 v55, 16, v18
	;; [unrolled: 1-line block ×3, first 2 shown]
	v_mul_u32_u24_e32 v53, 0x10001, v53
	v_mul_u32_u24_e32 v57, 0x10001, v16
	v_and_b32_e32 v16, 0xffff, v17
	v_mul_u32_u24_e32 v54, 0x10001, v54
	v_mul_u32_u24_e32 v55, 0x10001, v55
	;; [unrolled: 1-line block ×3, first 2 shown]
	v_pk_fma_f16 v39, v20, v57, v39
	v_mul_u32_u24_e32 v58, 0x10001, v16
	v_and_b32_e32 v16, 0xffff, v18
	v_pk_fma_f16 v40, v20, v53, v40
	v_pk_fma_f16 v42, v20, v54, v42
	;; [unrolled: 1-line block ×4, first 2 shown]
	v_mul_u32_u24_e32 v59, 0x10001, v16
	v_and_b32_e32 v16, 0xffff, v19
	v_pk_fma_f16 v44, v20, v56, v44
	s_delay_alu instid0(VALU_DEP_3) | instskip(NEXT) | instid1(VALU_DEP_3)
	v_pk_fma_f16 v22, v20, v59, v22
	v_mul_u32_u24_e32 v60, 0x10001, v16
	ds_load_b128 v[16:19], v135 offset:1728
	v_pk_fma_f16 v23, v20, v60, v23
	s_wait_dscnt 0x0
	v_lshrrev_b32_e32 v61, 16, v16
	v_lshrrev_b32_e32 v62, 16, v17
	;; [unrolled: 1-line block ×4, first 2 shown]
	v_and_b32_e32 v16, 0xffff, v16
	v_and_b32_e32 v17, 0xffff, v17
	;; [unrolled: 1-line block ×4, first 2 shown]
	v_mul_u32_u24_e32 v61, 0x10001, v61
	v_mul_u32_u24_e32 v16, 0x10001, v16
	v_mul_u32_u24_e32 v17, 0x10001, v17
	v_mul_u32_u24_e32 v18, 0x10001, v18
	v_mul_u32_u24_e32 v19, 0x10001, v19
	v_mul_u32_u24_e32 v62, 0x10001, v62
	v_pk_fma_f16 v45, v20, v16, v45
	v_pk_fma_f16 v47, v20, v17, v47
	;; [unrolled: 1-line block ×4, first 2 shown]
	ds_load_b128 v[16:19], v135 offset:720
	v_mul_u32_u24_e32 v63, 0x10001, v63
	v_mul_u32_u24_e32 v80, 0x10001, v80
	v_pk_fma_f16 v46, v20, v61, v46
	v_pk_fma_f16 v48, v20, v62, v48
	s_delay_alu instid0(VALU_DEP_4) | instskip(NEXT) | instid1(VALU_DEP_4)
	v_pk_fma_f16 v50, v20, v63, v50
	v_pk_fma_f16 v20, v20, v80, v52
	s_wait_dscnt 0x0
	v_lshrrev_b32_e32 v52, 16, v16
	v_and_b32_e32 v16, 0xffff, v16
	v_lshrrev_b32_e32 v53, 16, v17
	v_lshrrev_b32_e32 v54, 16, v18
	;; [unrolled: 1-line block ×3, first 2 shown]
	v_mul_u32_u24_e32 v52, 0x10001, v52
	v_mul_u32_u24_e32 v56, 0x10001, v16
	v_and_b32_e32 v16, 0xffff, v17
	v_mul_u32_u24_e32 v53, 0x10001, v53
	v_mul_u32_u24_e32 v54, 0x10001, v54
	v_pk_fma_f16 v40, v21, v52, v40
	v_mul_u32_u24_e32 v55, 0x10001, v55
	v_mul_u32_u24_e32 v57, 0x10001, v16
	v_and_b32_e32 v16, 0xffff, v18
	v_pk_fma_f16 v42, v21, v53, v42
	v_pk_fma_f16 v39, v21, v56, v39
	;; [unrolled: 1-line block ×4, first 2 shown]
	v_mul_u32_u24_e32 v58, 0x10001, v16
	v_and_b32_e32 v16, 0xffff, v19
	v_pk_fma_f16 v44, v21, v55, v44
	s_delay_alu instid0(VALU_DEP_3) | instskip(NEXT) | instid1(VALU_DEP_3)
	v_pk_fma_f16 v22, v21, v58, v22
	v_mul_u32_u24_e32 v59, 0x10001, v16
	ds_load_b128 v[16:19], v135 offset:1744
	v_pk_fma_f16 v23, v21, v59, v23
	s_wait_dscnt 0x0
	v_lshrrev_b32_e32 v60, 16, v16
	v_lshrrev_b32_e32 v61, 16, v17
	;; [unrolled: 1-line block ×4, first 2 shown]
	v_and_b32_e32 v16, 0xffff, v16
	v_and_b32_e32 v17, 0xffff, v17
	;; [unrolled: 1-line block ×4, first 2 shown]
	v_mul_u32_u24_e32 v61, 0x10001, v61
	v_mul_u32_u24_e32 v16, 0x10001, v16
	;; [unrolled: 1-line block ×5, first 2 shown]
	v_pk_fma_f16 v53, v21, v61, v48
	v_pk_fma_f16 v45, v21, v16, v45
	;; [unrolled: 1-line block ×5, first 2 shown]
	ds_load_2addr_b32 v[47:48], v145 offset0:192 offset1:224
	ds_load_b128 v[16:19], v135 offset:736
	v_mul_u32_u24_e32 v60, 0x10001, v60
	v_mul_u32_u24_e32 v62, 0x10001, v62
	;; [unrolled: 1-line block ×3, first 2 shown]
	s_delay_alu instid0(VALU_DEP_3) | instskip(NEXT) | instid1(VALU_DEP_3)
	v_pk_fma_f16 v46, v21, v60, v46
	v_pk_fma_f16 v50, v21, v62, v50
	s_delay_alu instid0(VALU_DEP_3)
	v_pk_fma_f16 v20, v21, v63, v20
	s_wait_dscnt 0x0
	v_lshrrev_b32_e32 v21, 16, v16
	v_and_b32_e32 v16, 0xffff, v16
	v_lshrrev_b32_e32 v54, 16, v17
	v_lshrrev_b32_e32 v55, 16, v18
	;; [unrolled: 1-line block ×3, first 2 shown]
	v_mul_u32_u24_e32 v21, 0x10001, v21
	v_mul_u32_u24_e32 v57, 0x10001, v16
	v_and_b32_e32 v16, 0xffff, v17
	v_mul_u32_u24_e32 v54, 0x10001, v54
	v_mul_u32_u24_e32 v55, 0x10001, v55
	;; [unrolled: 1-line block ×3, first 2 shown]
	v_pk_fma_f16 v21, v47, v21, v40
	v_mul_u32_u24_e32 v58, 0x10001, v16
	v_and_b32_e32 v16, 0xffff, v18
	v_pk_fma_f16 v39, v47, v57, v39
	v_pk_fma_f16 v44, v47, v56, v44
	s_delay_alu instid0(VALU_DEP_4) | instskip(NEXT) | instid1(VALU_DEP_4)
	v_pk_fma_f16 v40, v47, v58, v41
	v_mul_u32_u24_e32 v59, 0x10001, v16
	v_and_b32_e32 v16, 0xffff, v19
	v_pk_fma_f16 v41, v47, v54, v42
	v_pk_fma_f16 v42, v47, v55, v43
	s_delay_alu instid0(VALU_DEP_4) | instskip(NEXT) | instid1(VALU_DEP_4)
	v_pk_fma_f16 v22, v47, v59, v22
	v_mul_u32_u24_e32 v60, 0x10001, v16
	ds_load_b128 v[16:19], v135 offset:1760
	v_pk_fma_f16 v43, v47, v60, v23
	s_wait_dscnt 0x0
	v_lshrrev_b32_e32 v61, 16, v16
	v_lshrrev_b32_e32 v62, 16, v17
	v_lshrrev_b32_e32 v63, 16, v18
	v_lshrrev_b32_e32 v80, 16, v19
	v_and_b32_e32 v16, 0xffff, v16
	v_and_b32_e32 v17, 0xffff, v17
	;; [unrolled: 1-line block ×4, first 2 shown]
	v_mul_u32_u24_e32 v61, 0x10001, v61
	v_mul_u32_u24_e32 v16, 0x10001, v16
	;; [unrolled: 1-line block ×6, first 2 shown]
	v_pk_fma_f16 v45, v47, v16, v45
	v_pk_fma_f16 v52, v47, v17, v52
	;; [unrolled: 1-line block ×4, first 2 shown]
	ds_load_b128 v[16:19], v135 offset:752
	v_mul_u32_u24_e32 v63, 0x10001, v63
	v_mul_u32_u24_e32 v80, 0x10001, v80
	v_pk_fma_f16 v46, v47, v61, v46
	v_pk_fma_f16 v53, v47, v62, v53
	s_delay_alu instid0(VALU_DEP_4) | instskip(NEXT) | instid1(VALU_DEP_4)
	v_pk_fma_f16 v50, v47, v63, v50
	v_pk_fma_f16 v20, v47, v80, v20
	s_wait_dscnt 0x0
	v_lshrrev_b32_e32 v23, 16, v16
	v_and_b32_e32 v16, 0xffff, v16
	v_lshrrev_b32_e32 v47, 16, v17
	v_lshrrev_b32_e32 v54, 16, v18
	;; [unrolled: 1-line block ×3, first 2 shown]
	v_mul_u32_u24_e32 v23, 0x10001, v23
	v_mul_u32_u24_e32 v56, 0x10001, v16
	v_and_b32_e32 v16, 0xffff, v17
	v_mul_u32_u24_e32 v47, 0x10001, v47
	v_mul_u32_u24_e32 v54, 0x10001, v54
	;; [unrolled: 1-line block ×3, first 2 shown]
	s_delay_alu instid0(VALU_DEP_4) | instskip(SKIP_1) | instid1(VALU_DEP_1)
	v_mul_u32_u24_e32 v57, 0x10001, v16
	v_and_b32_e32 v16, 0xffff, v18
	v_mul_u32_u24_e32 v58, 0x10001, v16
	v_and_b32_e32 v16, 0xffff, v19
	s_delay_alu instid0(VALU_DEP_2) | instskip(NEXT) | instid1(VALU_DEP_2)
	v_pk_fma_f16 v22, v48, v58, v22
	v_mul_u32_u24_e32 v59, 0x10001, v16
	ds_load_b128 v[16:19], v135 offset:1776
	s_wait_dscnt 0x0
	v_lshrrev_b32_e32 v60, 16, v16
	v_and_b32_e32 v16, 0xffff, v16
	v_lshrrev_b32_e32 v61, 16, v17
	v_lshrrev_b32_e32 v62, 16, v18
	;; [unrolled: 1-line block ×3, first 2 shown]
	v_mul_u32_u24_e32 v60, 0x10001, v60
	v_mul_u32_u24_e32 v80, 0x10001, v16
	v_and_b32_e32 v16, 0xffff, v17
	v_mul_u32_u24_e32 v61, 0x10001, v61
	v_mul_u32_u24_e32 v62, 0x10001, v62
	v_mul_u32_u24_e32 v63, 0x10001, v63
	v_pk_fma_f16 v17, v48, v23, v21
	v_mul_u32_u24_e32 v81, 0x10001, v16
	v_and_b32_e32 v16, 0xffff, v18
	v_pk_fma_f16 v18, v48, v57, v40
	v_pk_fma_f16 v21, v48, v47, v41
	;; [unrolled: 1-line block ×4, first 2 shown]
	v_mul_u32_u24_e32 v82, 0x10001, v16
	v_and_b32_e32 v16, 0xffff, v19
	v_pk_fma_f16 v41, v48, v80, v45
	v_pk_fma_f16 v42, v48, v60, v46
	;; [unrolled: 1-line block ×4, first 2 shown]
	v_mul_u32_u24_e32 v19, 0x10001, v16
	v_pk_fma_f16 v16, v48, v56, v39
	v_pk_fma_f16 v39, v48, v59, v43
	;; [unrolled: 1-line block ×6, first 2 shown]
	ds_load_2addr_b32 v[19:20], v146 offset1:32
	ds_load_b128 v[52:55], v135 offset:768
	s_wait_dscnt 0x0
	v_lshrrev_b32_e32 v56, 16, v53
	v_lshrrev_b32_e32 v57, 16, v54
	;; [unrolled: 1-line block ×4, first 2 shown]
	v_and_b32_e32 v49, 0xffff, v52
	v_and_b32_e32 v51, 0xffff, v53
	v_mul_u32_u24_e32 v52, 0x10001, v56
	v_and_b32_e32 v53, 0xffff, v54
	v_mul_u32_u24_e32 v54, 0x10001, v57
	v_mul_u32_u24_e32 v56, 0x10001, v58
	ds_load_b128 v[57:60], v135 offset:1792
	v_and_b32_e32 v55, 0xffff, v55
	v_mul_u32_u24_e32 v49, 0x10001, v49
	v_mul_u32_u24_e32 v50, 0x10001, v50
	;; [unrolled: 1-line block ×5, first 2 shown]
	v_pk_fma_f16 v49, v19, v49, v16
	v_pk_fma_f16 v50, v19, v50, v17
	;; [unrolled: 1-line block ×8, first 2 shown]
	s_wait_dscnt 0x0
	v_lshrrev_b32_e32 v61, 16, v57
	v_lshrrev_b32_e32 v62, 16, v58
	;; [unrolled: 1-line block ×4, first 2 shown]
	v_and_b32_e32 v57, 0xffff, v57
	v_and_b32_e32 v58, 0xffff, v58
	;; [unrolled: 1-line block ×4, first 2 shown]
	v_mul_u32_u24_e32 v61, 0x10001, v61
	v_mul_u32_u24_e32 v57, 0x10001, v57
	;; [unrolled: 1-line block ×8, first 2 shown]
	v_pk_fma_f16 v41, v19, v57, v41
	v_pk_fma_f16 v42, v19, v61, v42
	v_pk_fma_f16 v43, v19, v58, v43
	v_pk_fma_f16 v44, v19, v62, v44
	v_pk_fma_f16 v45, v19, v59, v45
	v_pk_fma_f16 v46, v19, v63, v46
	v_pk_fma_f16 v47, v19, v60, v47
	v_pk_fma_f16 v48, v19, v80, v48
	ds_load_b128 v[16:19], v135 offset:784
	s_wait_dscnt 0x0
	v_lshrrev_b32_e32 v53, 16, v16
	v_and_b32_e32 v16, 0xffff, v16
	v_lshrrev_b32_e32 v55, 16, v17
	v_lshrrev_b32_e32 v57, 16, v18
	;; [unrolled: 1-line block ×3, first 2 shown]
	v_mul_u32_u24_e32 v53, 0x10001, v53
	v_mul_u32_u24_e32 v52, 0x10001, v16
	v_and_b32_e32 v16, 0xffff, v17
	v_mul_u32_u24_e32 v55, 0x10001, v55
	v_mul_u32_u24_e32 v57, 0x10001, v57
	;; [unrolled: 1-line block ×3, first 2 shown]
	v_pk_fma_f16 v49, v20, v52, v49
	v_mul_u32_u24_e32 v54, 0x10001, v16
	v_and_b32_e32 v16, 0xffff, v18
	v_pk_fma_f16 v50, v20, v53, v50
	v_pk_fma_f16 v52, v20, v55, v21
	;; [unrolled: 1-line block ×4, first 2 shown]
	v_mul_u32_u24_e32 v56, 0x10001, v16
	v_and_b32_e32 v16, 0xffff, v19
	v_pk_fma_f16 v40, v20, v59, v40
	s_delay_alu instid0(VALU_DEP_3) | instskip(NEXT) | instid1(VALU_DEP_3)
	v_pk_fma_f16 v22, v20, v56, v22
	v_mul_u32_u24_e32 v58, 0x10001, v16
	ds_load_b128 v[16:19], v135 offset:1808
	v_pk_fma_f16 v39, v20, v58, v39
	s_wait_dscnt 0x0
	v_lshrrev_b32_e32 v60, 16, v16
	v_lshrrev_b32_e32 v61, 16, v17
	;; [unrolled: 1-line block ×4, first 2 shown]
	v_and_b32_e32 v16, 0xffff, v16
	v_and_b32_e32 v17, 0xffff, v17
	;; [unrolled: 1-line block ×4, first 2 shown]
	v_mul_u32_u24_e32 v60, 0x10001, v60
	v_mul_u32_u24_e32 v16, 0x10001, v16
	v_mul_u32_u24_e32 v17, 0x10001, v17
	v_mul_u32_u24_e32 v61, 0x10001, v61
	v_mul_u32_u24_e32 v18, 0x10001, v18
	v_mul_u32_u24_e32 v62, 0x10001, v62
	v_mul_u32_u24_e32 v19, 0x10001, v19
	v_mul_u32_u24_e32 v63, 0x10001, v63
	v_pk_fma_f16 v41, v20, v16, v41
	v_pk_fma_f16 v42, v20, v60, v42
	v_pk_fma_f16 v43, v20, v17, v43
	v_pk_fma_f16 v44, v20, v61, v44
	v_pk_fma_f16 v45, v20, v18, v45
	v_pk_fma_f16 v46, v20, v62, v46
	v_pk_fma_f16 v47, v20, v19, v47
	v_pk_fma_f16 v48, v20, v63, v48
	ds_load_2addr_b32 v[20:21], v146 offset0:64 offset1:96
	ds_load_b128 v[16:19], v135 offset:800
	s_wait_dscnt 0x0
	v_lshrrev_b32_e32 v53, 16, v16
	v_and_b32_e32 v16, 0xffff, v16
	v_lshrrev_b32_e32 v54, 16, v17
	v_lshrrev_b32_e32 v55, 16, v18
	;; [unrolled: 1-line block ×3, first 2 shown]
	v_mul_u32_u24_e32 v53, 0x10001, v53
	v_mul_u32_u24_e32 v57, 0x10001, v16
	v_and_b32_e32 v16, 0xffff, v17
	v_mul_u32_u24_e32 v54, 0x10001, v54
	v_mul_u32_u24_e32 v55, 0x10001, v55
	;; [unrolled: 1-line block ×3, first 2 shown]
	v_pk_fma_f16 v49, v20, v57, v49
	v_mul_u32_u24_e32 v58, 0x10001, v16
	v_and_b32_e32 v16, 0xffff, v18
	v_pk_fma_f16 v50, v20, v53, v50
	v_pk_fma_f16 v52, v20, v54, v52
	;; [unrolled: 1-line block ×4, first 2 shown]
	v_mul_u32_u24_e32 v59, 0x10001, v16
	v_and_b32_e32 v16, 0xffff, v19
	v_pk_fma_f16 v40, v20, v56, v40
	s_delay_alu instid0(VALU_DEP_3) | instskip(NEXT) | instid1(VALU_DEP_3)
	v_pk_fma_f16 v22, v20, v59, v22
	v_mul_u32_u24_e32 v60, 0x10001, v16
	ds_load_b128 v[16:19], v135 offset:1824
	v_pk_fma_f16 v39, v20, v60, v39
	s_wait_dscnt 0x0
	v_lshrrev_b32_e32 v61, 16, v16
	v_lshrrev_b32_e32 v62, 16, v17
	;; [unrolled: 1-line block ×4, first 2 shown]
	v_and_b32_e32 v16, 0xffff, v16
	v_and_b32_e32 v17, 0xffff, v17
	;; [unrolled: 1-line block ×4, first 2 shown]
	v_mul_u32_u24_e32 v61, 0x10001, v61
	v_mul_u32_u24_e32 v16, 0x10001, v16
	;; [unrolled: 1-line block ×6, first 2 shown]
	v_pk_fma_f16 v41, v20, v16, v41
	v_pk_fma_f16 v43, v20, v17, v43
	;; [unrolled: 1-line block ×4, first 2 shown]
	ds_load_b128 v[16:19], v135 offset:816
	v_mul_u32_u24_e32 v63, 0x10001, v63
	v_mul_u32_u24_e32 v80, 0x10001, v80
	v_pk_fma_f16 v42, v20, v61, v42
	v_pk_fma_f16 v44, v20, v62, v44
	s_delay_alu instid0(VALU_DEP_4) | instskip(NEXT) | instid1(VALU_DEP_4)
	v_pk_fma_f16 v46, v20, v63, v46
	v_pk_fma_f16 v20, v20, v80, v48
	s_wait_dscnt 0x0
	v_lshrrev_b32_e32 v48, 16, v16
	v_and_b32_e32 v16, 0xffff, v16
	v_lshrrev_b32_e32 v53, 16, v17
	v_lshrrev_b32_e32 v54, 16, v18
	;; [unrolled: 1-line block ×3, first 2 shown]
	v_mul_u32_u24_e32 v48, 0x10001, v48
	v_mul_u32_u24_e32 v56, 0x10001, v16
	v_and_b32_e32 v16, 0xffff, v17
	v_mul_u32_u24_e32 v53, 0x10001, v53
	v_mul_u32_u24_e32 v54, 0x10001, v54
	;; [unrolled: 1-line block ×3, first 2 shown]
	v_pk_fma_f16 v49, v21, v56, v49
	v_mul_u32_u24_e32 v57, 0x10001, v16
	v_and_b32_e32 v16, 0xffff, v18
	v_pk_fma_f16 v48, v21, v48, v50
	v_pk_fma_f16 v23, v21, v54, v23
	;; [unrolled: 1-line block ×4, first 2 shown]
	v_mul_u32_u24_e32 v58, 0x10001, v16
	v_and_b32_e32 v16, 0xffff, v19
	v_pk_fma_f16 v51, v21, v53, v52
	s_delay_alu instid0(VALU_DEP_3) | instskip(NEXT) | instid1(VALU_DEP_3)
	v_pk_fma_f16 v22, v21, v58, v22
	v_mul_u32_u24_e32 v59, 0x10001, v16
	ds_load_b128 v[16:19], v135 offset:1840
	v_pk_fma_f16 v39, v21, v59, v39
	s_wait_dscnt 0x0
	v_lshrrev_b32_e32 v60, 16, v16
	v_lshrrev_b32_e32 v61, 16, v17
	;; [unrolled: 1-line block ×4, first 2 shown]
	v_and_b32_e32 v16, 0xffff, v16
	v_and_b32_e32 v17, 0xffff, v17
	;; [unrolled: 1-line block ×4, first 2 shown]
	v_mul_u32_u24_e32 v60, 0x10001, v60
	v_mul_u32_u24_e32 v16, 0x10001, v16
	v_mul_u32_u24_e32 v17, 0x10001, v17
	v_mul_u32_u24_e32 v61, 0x10001, v61
	v_mul_u32_u24_e32 v18, 0x10001, v18
	v_mul_u32_u24_e32 v62, 0x10001, v62
	v_mul_u32_u24_e32 v19, 0x10001, v19
	v_mul_u32_u24_e32 v63, 0x10001, v63
	v_pk_fma_f16 v41, v21, v16, v41
	v_pk_fma_f16 v42, v21, v60, v42
	;; [unrolled: 1-line block ×8, first 2 shown]
	ds_load_2addr_b32 v[20:21], v146 offset0:128 offset1:160
	ds_load_b128 v[16:19], v135 offset:832
	s_wait_dscnt 0x0
	v_lshrrev_b32_e32 v53, 16, v16
	v_and_b32_e32 v16, 0xffff, v16
	v_lshrrev_b32_e32 v54, 16, v17
	v_lshrrev_b32_e32 v55, 16, v18
	;; [unrolled: 1-line block ×3, first 2 shown]
	v_mul_u32_u24_e32 v53, 0x10001, v53
	v_mul_u32_u24_e32 v57, 0x10001, v16
	v_and_b32_e32 v16, 0xffff, v17
	v_mul_u32_u24_e32 v54, 0x10001, v54
	v_mul_u32_u24_e32 v55, 0x10001, v55
	;; [unrolled: 1-line block ×3, first 2 shown]
	v_pk_fma_f16 v49, v20, v57, v49
	v_mul_u32_u24_e32 v58, 0x10001, v16
	v_and_b32_e32 v16, 0xffff, v18
	v_pk_fma_f16 v48, v20, v53, v48
	v_pk_fma_f16 v51, v20, v54, v51
	;; [unrolled: 1-line block ×4, first 2 shown]
	v_mul_u32_u24_e32 v59, 0x10001, v16
	v_and_b32_e32 v16, 0xffff, v19
	v_pk_fma_f16 v40, v20, v56, v40
	s_delay_alu instid0(VALU_DEP_3) | instskip(NEXT) | instid1(VALU_DEP_3)
	v_pk_fma_f16 v22, v20, v59, v22
	v_mul_u32_u24_e32 v60, 0x10001, v16
	ds_load_b128 v[16:19], v135 offset:1856
	v_pk_fma_f16 v39, v20, v60, v39
	s_wait_dscnt 0x0
	v_lshrrev_b32_e32 v61, 16, v16
	v_lshrrev_b32_e32 v62, 16, v17
	v_lshrrev_b32_e32 v63, 16, v18
	v_lshrrev_b32_e32 v80, 16, v19
	v_and_b32_e32 v16, 0xffff, v16
	v_and_b32_e32 v17, 0xffff, v17
	;; [unrolled: 1-line block ×4, first 2 shown]
	v_mul_u32_u24_e32 v61, 0x10001, v61
	v_mul_u32_u24_e32 v16, 0x10001, v16
	;; [unrolled: 1-line block ×6, first 2 shown]
	v_pk_fma_f16 v41, v20, v16, v41
	v_pk_fma_f16 v43, v20, v17, v43
	;; [unrolled: 1-line block ×4, first 2 shown]
	ds_load_b128 v[16:19], v135 offset:848
	v_mul_u32_u24_e32 v63, 0x10001, v63
	v_mul_u32_u24_e32 v80, 0x10001, v80
	v_pk_fma_f16 v42, v20, v61, v42
	v_pk_fma_f16 v44, v20, v62, v44
	s_delay_alu instid0(VALU_DEP_4) | instskip(NEXT) | instid1(VALU_DEP_4)
	v_pk_fma_f16 v46, v20, v63, v46
	v_pk_fma_f16 v20, v20, v80, v52
	s_wait_dscnt 0x0
	v_lshrrev_b32_e32 v52, 16, v16
	v_and_b32_e32 v16, 0xffff, v16
	v_lshrrev_b32_e32 v53, 16, v17
	v_lshrrev_b32_e32 v54, 16, v18
	;; [unrolled: 1-line block ×3, first 2 shown]
	v_mul_u32_u24_e32 v52, 0x10001, v52
	v_mul_u32_u24_e32 v56, 0x10001, v16
	v_and_b32_e32 v16, 0xffff, v17
	v_mul_u32_u24_e32 v53, 0x10001, v53
	v_mul_u32_u24_e32 v54, 0x10001, v54
	;; [unrolled: 1-line block ×3, first 2 shown]
	v_pk_fma_f16 v49, v21, v56, v49
	v_mul_u32_u24_e32 v57, 0x10001, v16
	v_and_b32_e32 v16, 0xffff, v18
	v_pk_fma_f16 v48, v21, v52, v48
	v_pk_fma_f16 v51, v21, v53, v51
	;; [unrolled: 1-line block ×4, first 2 shown]
	v_mul_u32_u24_e32 v58, 0x10001, v16
	v_and_b32_e32 v16, 0xffff, v19
	v_pk_fma_f16 v40, v21, v55, v40
	s_delay_alu instid0(VALU_DEP_3) | instskip(NEXT) | instid1(VALU_DEP_3)
	v_pk_fma_f16 v22, v21, v58, v22
	v_mul_u32_u24_e32 v59, 0x10001, v16
	ds_load_b128 v[16:19], v135 offset:1872
	v_pk_fma_f16 v39, v21, v59, v39
	s_wait_dscnt 0x0
	v_lshrrev_b32_e32 v60, 16, v16
	v_lshrrev_b32_e32 v61, 16, v17
	;; [unrolled: 1-line block ×4, first 2 shown]
	v_and_b32_e32 v16, 0xffff, v16
	v_and_b32_e32 v17, 0xffff, v17
	;; [unrolled: 1-line block ×4, first 2 shown]
	v_mul_u32_u24_e32 v60, 0x10001, v60
	v_mul_u32_u24_e32 v16, 0x10001, v16
	;; [unrolled: 1-line block ×8, first 2 shown]
	v_pk_fma_f16 v41, v21, v16, v41
	v_pk_fma_f16 v42, v21, v60, v42
	v_pk_fma_f16 v43, v21, v17, v43
	v_pk_fma_f16 v44, v21, v61, v44
	v_pk_fma_f16 v45, v21, v18, v45
	v_pk_fma_f16 v46, v21, v62, v46
	v_pk_fma_f16 v47, v21, v19, v47
	v_pk_fma_f16 v52, v21, v63, v20
	ds_load_2addr_b32 v[20:21], v146 offset0:192 offset1:224
	ds_load_b128 v[16:19], v135 offset:864
	s_wait_dscnt 0x0
	v_lshrrev_b32_e32 v53, 16, v16
	v_and_b32_e32 v16, 0xffff, v16
	v_lshrrev_b32_e32 v54, 16, v17
	v_lshrrev_b32_e32 v55, 16, v18
	;; [unrolled: 1-line block ×3, first 2 shown]
	v_mul_u32_u24_e32 v53, 0x10001, v53
	v_mul_u32_u24_e32 v57, 0x10001, v16
	v_and_b32_e32 v16, 0xffff, v17
	v_mul_u32_u24_e32 v54, 0x10001, v54
	v_mul_u32_u24_e32 v55, 0x10001, v55
	;; [unrolled: 1-line block ×3, first 2 shown]
	v_pk_fma_f16 v49, v20, v57, v49
	v_mul_u32_u24_e32 v58, 0x10001, v16
	v_and_b32_e32 v16, 0xffff, v18
	v_pk_fma_f16 v48, v20, v53, v48
	v_pk_fma_f16 v51, v20, v54, v51
	;; [unrolled: 1-line block ×4, first 2 shown]
	v_mul_u32_u24_e32 v59, 0x10001, v16
	v_and_b32_e32 v16, 0xffff, v19
	v_pk_fma_f16 v40, v20, v56, v40
	s_delay_alu instid0(VALU_DEP_3) | instskip(NEXT) | instid1(VALU_DEP_3)
	v_pk_fma_f16 v22, v20, v59, v22
	v_mul_u32_u24_e32 v60, 0x10001, v16
	ds_load_b128 v[16:19], v135 offset:1888
	v_pk_fma_f16 v39, v20, v60, v39
	s_wait_dscnt 0x0
	v_lshrrev_b32_e32 v61, 16, v16
	v_lshrrev_b32_e32 v62, 16, v17
	;; [unrolled: 1-line block ×4, first 2 shown]
	v_and_b32_e32 v16, 0xffff, v16
	v_and_b32_e32 v17, 0xffff, v17
	;; [unrolled: 1-line block ×4, first 2 shown]
	v_mul_u32_u24_e32 v61, 0x10001, v61
	v_mul_u32_u24_e32 v16, 0x10001, v16
	;; [unrolled: 1-line block ×6, first 2 shown]
	v_pk_fma_f16 v41, v20, v16, v41
	v_pk_fma_f16 v43, v20, v17, v43
	;; [unrolled: 1-line block ×4, first 2 shown]
	ds_load_b128 v[16:19], v135 offset:880
	v_mul_u32_u24_e32 v63, 0x10001, v63
	v_mul_u32_u24_e32 v80, 0x10001, v80
	v_pk_fma_f16 v42, v20, v61, v42
	v_pk_fma_f16 v44, v20, v62, v44
	s_delay_alu instid0(VALU_DEP_4) | instskip(NEXT) | instid1(VALU_DEP_4)
	v_pk_fma_f16 v46, v20, v63, v46
	v_pk_fma_f16 v20, v20, v80, v52
	s_wait_dscnt 0x0
	v_lshrrev_b32_e32 v52, 16, v16
	v_and_b32_e32 v16, 0xffff, v16
	v_lshrrev_b32_e32 v53, 16, v17
	v_lshrrev_b32_e32 v54, 16, v18
	;; [unrolled: 1-line block ×3, first 2 shown]
	v_mul_u32_u24_e32 v52, 0x10001, v52
	v_mul_u32_u24_e32 v56, 0x10001, v16
	v_and_b32_e32 v16, 0xffff, v17
	v_mul_u32_u24_e32 v53, 0x10001, v53
	v_mul_u32_u24_e32 v54, 0x10001, v54
	;; [unrolled: 1-line block ×3, first 2 shown]
	v_pk_fma_f16 v49, v21, v56, v49
	v_mul_u32_u24_e32 v57, 0x10001, v16
	v_and_b32_e32 v16, 0xffff, v18
	v_pk_fma_f16 v48, v21, v52, v48
	v_pk_fma_f16 v51, v21, v53, v51
	;; [unrolled: 1-line block ×4, first 2 shown]
	v_mul_u32_u24_e32 v58, 0x10001, v16
	v_and_b32_e32 v16, 0xffff, v19
	v_pk_fma_f16 v40, v21, v55, v40
	s_delay_alu instid0(VALU_DEP_3) | instskip(NEXT) | instid1(VALU_DEP_3)
	v_pk_fma_f16 v22, v21, v58, v22
	v_mul_u32_u24_e32 v59, 0x10001, v16
	ds_load_b128 v[16:19], v135 offset:1904
	v_pk_fma_f16 v39, v21, v59, v39
	s_wait_dscnt 0x0
	v_lshrrev_b32_e32 v60, 16, v16
	v_lshrrev_b32_e32 v61, 16, v17
	;; [unrolled: 1-line block ×4, first 2 shown]
	v_and_b32_e32 v16, 0xffff, v16
	v_and_b32_e32 v17, 0xffff, v17
	;; [unrolled: 1-line block ×4, first 2 shown]
	v_mul_u32_u24_e32 v60, 0x10001, v60
	v_mul_u32_u24_e32 v16, 0x10001, v16
	;; [unrolled: 1-line block ×8, first 2 shown]
	v_pk_fma_f16 v41, v21, v16, v41
	v_pk_fma_f16 v42, v21, v60, v42
	;; [unrolled: 1-line block ×8, first 2 shown]
	ds_load_2addr_b32 v[20:21], v147 offset1:32
	ds_load_b128 v[16:19], v135 offset:896
	s_wait_dscnt 0x0
	v_lshrrev_b32_e32 v53, 16, v16
	v_and_b32_e32 v16, 0xffff, v16
	v_lshrrev_b32_e32 v54, 16, v17
	v_lshrrev_b32_e32 v55, 16, v18
	;; [unrolled: 1-line block ×3, first 2 shown]
	v_mul_u32_u24_e32 v53, 0x10001, v53
	v_mul_u32_u24_e32 v57, 0x10001, v16
	v_and_b32_e32 v16, 0xffff, v17
	v_mul_u32_u24_e32 v54, 0x10001, v54
	v_mul_u32_u24_e32 v55, 0x10001, v55
	;; [unrolled: 1-line block ×3, first 2 shown]
	v_pk_fma_f16 v49, v20, v57, v49
	v_mul_u32_u24_e32 v58, 0x10001, v16
	v_and_b32_e32 v16, 0xffff, v18
	v_pk_fma_f16 v48, v20, v53, v48
	v_pk_fma_f16 v51, v20, v54, v51
	;; [unrolled: 1-line block ×4, first 2 shown]
	v_mul_u32_u24_e32 v59, 0x10001, v16
	v_and_b32_e32 v16, 0xffff, v19
	v_pk_fma_f16 v40, v20, v56, v40
	s_delay_alu instid0(VALU_DEP_3) | instskip(NEXT) | instid1(VALU_DEP_3)
	v_pk_fma_f16 v22, v20, v59, v22
	v_mul_u32_u24_e32 v60, 0x10001, v16
	ds_load_b128 v[16:19], v135 offset:1920
	v_pk_fma_f16 v39, v20, v60, v39
	s_wait_dscnt 0x0
	v_lshrrev_b32_e32 v61, 16, v16
	v_lshrrev_b32_e32 v62, 16, v17
	;; [unrolled: 1-line block ×4, first 2 shown]
	v_and_b32_e32 v16, 0xffff, v16
	v_and_b32_e32 v17, 0xffff, v17
	;; [unrolled: 1-line block ×4, first 2 shown]
	v_mul_u32_u24_e32 v61, 0x10001, v61
	v_mul_u32_u24_e32 v16, 0x10001, v16
	;; [unrolled: 1-line block ×6, first 2 shown]
	v_pk_fma_f16 v41, v20, v16, v41
	v_pk_fma_f16 v43, v20, v17, v43
	v_pk_fma_f16 v45, v20, v18, v45
	v_pk_fma_f16 v47, v20, v19, v47
	ds_load_b128 v[16:19], v135 offset:912
	v_mul_u32_u24_e32 v63, 0x10001, v63
	v_mul_u32_u24_e32 v80, 0x10001, v80
	v_pk_fma_f16 v42, v20, v61, v42
	v_pk_fma_f16 v44, v20, v62, v44
	s_delay_alu instid0(VALU_DEP_4) | instskip(NEXT) | instid1(VALU_DEP_4)
	v_pk_fma_f16 v46, v20, v63, v46
	v_pk_fma_f16 v20, v20, v80, v52
	s_wait_dscnt 0x0
	v_lshrrev_b32_e32 v52, 16, v16
	v_and_b32_e32 v16, 0xffff, v16
	v_lshrrev_b32_e32 v53, 16, v17
	v_lshrrev_b32_e32 v54, 16, v18
	;; [unrolled: 1-line block ×3, first 2 shown]
	v_mul_u32_u24_e32 v52, 0x10001, v52
	v_mul_u32_u24_e32 v56, 0x10001, v16
	v_and_b32_e32 v16, 0xffff, v17
	v_mul_u32_u24_e32 v53, 0x10001, v53
	v_mul_u32_u24_e32 v54, 0x10001, v54
	;; [unrolled: 1-line block ×3, first 2 shown]
	v_pk_fma_f16 v49, v21, v56, v49
	v_mul_u32_u24_e32 v57, 0x10001, v16
	v_and_b32_e32 v16, 0xffff, v18
	v_pk_fma_f16 v48, v21, v52, v48
	v_pk_fma_f16 v51, v21, v53, v51
	;; [unrolled: 1-line block ×4, first 2 shown]
	v_mul_u32_u24_e32 v58, 0x10001, v16
	v_and_b32_e32 v16, 0xffff, v19
	v_pk_fma_f16 v40, v21, v55, v40
	s_delay_alu instid0(VALU_DEP_3) | instskip(NEXT) | instid1(VALU_DEP_3)
	v_pk_fma_f16 v22, v21, v58, v22
	v_mul_u32_u24_e32 v59, 0x10001, v16
	ds_load_b128 v[16:19], v135 offset:1936
	v_pk_fma_f16 v39, v21, v59, v39
	s_wait_dscnt 0x0
	v_lshrrev_b32_e32 v60, 16, v16
	v_lshrrev_b32_e32 v61, 16, v17
	;; [unrolled: 1-line block ×4, first 2 shown]
	v_and_b32_e32 v16, 0xffff, v16
	v_and_b32_e32 v17, 0xffff, v17
	;; [unrolled: 1-line block ×4, first 2 shown]
	v_mul_u32_u24_e32 v60, 0x10001, v60
	v_mul_u32_u24_e32 v16, 0x10001, v16
	;; [unrolled: 1-line block ×8, first 2 shown]
	v_pk_fma_f16 v41, v21, v16, v41
	v_pk_fma_f16 v42, v21, v60, v42
	;; [unrolled: 1-line block ×8, first 2 shown]
	ds_load_2addr_b32 v[20:21], v147 offset0:64 offset1:96
	ds_load_b128 v[16:19], v135 offset:928
	s_wait_dscnt 0x0
	v_lshrrev_b32_e32 v53, 16, v16
	v_and_b32_e32 v16, 0xffff, v16
	v_lshrrev_b32_e32 v54, 16, v17
	v_lshrrev_b32_e32 v55, 16, v18
	;; [unrolled: 1-line block ×3, first 2 shown]
	v_mul_u32_u24_e32 v53, 0x10001, v53
	v_mul_u32_u24_e32 v57, 0x10001, v16
	v_and_b32_e32 v16, 0xffff, v17
	v_mul_u32_u24_e32 v54, 0x10001, v54
	v_mul_u32_u24_e32 v55, 0x10001, v55
	;; [unrolled: 1-line block ×3, first 2 shown]
	v_pk_fma_f16 v49, v20, v57, v49
	v_mul_u32_u24_e32 v58, 0x10001, v16
	v_and_b32_e32 v16, 0xffff, v18
	v_pk_fma_f16 v48, v20, v53, v48
	v_pk_fma_f16 v51, v20, v54, v51
	;; [unrolled: 1-line block ×4, first 2 shown]
	v_mul_u32_u24_e32 v59, 0x10001, v16
	v_and_b32_e32 v16, 0xffff, v19
	v_pk_fma_f16 v40, v20, v56, v40
	s_delay_alu instid0(VALU_DEP_3) | instskip(NEXT) | instid1(VALU_DEP_3)
	v_pk_fma_f16 v22, v20, v59, v22
	v_mul_u32_u24_e32 v60, 0x10001, v16
	ds_load_b128 v[16:19], v135 offset:1952
	v_pk_fma_f16 v39, v20, v60, v39
	s_wait_dscnt 0x0
	v_lshrrev_b32_e32 v61, 16, v16
	v_lshrrev_b32_e32 v62, 16, v17
	;; [unrolled: 1-line block ×4, first 2 shown]
	v_and_b32_e32 v16, 0xffff, v16
	v_and_b32_e32 v17, 0xffff, v17
	;; [unrolled: 1-line block ×4, first 2 shown]
	v_mul_u32_u24_e32 v61, 0x10001, v61
	v_mul_u32_u24_e32 v16, 0x10001, v16
	;; [unrolled: 1-line block ×6, first 2 shown]
	v_pk_fma_f16 v41, v20, v16, v41
	v_pk_fma_f16 v43, v20, v17, v43
	;; [unrolled: 1-line block ×4, first 2 shown]
	ds_load_b128 v[16:19], v135 offset:944
	v_mul_u32_u24_e32 v63, 0x10001, v63
	v_mul_u32_u24_e32 v80, 0x10001, v80
	v_pk_fma_f16 v42, v20, v61, v42
	v_pk_fma_f16 v44, v20, v62, v44
	s_delay_alu instid0(VALU_DEP_4) | instskip(NEXT) | instid1(VALU_DEP_4)
	v_pk_fma_f16 v46, v20, v63, v46
	v_pk_fma_f16 v20, v20, v80, v52
	s_wait_dscnt 0x0
	v_lshrrev_b32_e32 v52, 16, v16
	v_and_b32_e32 v16, 0xffff, v16
	v_lshrrev_b32_e32 v53, 16, v17
	v_lshrrev_b32_e32 v54, 16, v18
	;; [unrolled: 1-line block ×3, first 2 shown]
	v_mul_u32_u24_e32 v52, 0x10001, v52
	v_mul_u32_u24_e32 v56, 0x10001, v16
	v_and_b32_e32 v16, 0xffff, v17
	v_mul_u32_u24_e32 v53, 0x10001, v53
	v_mul_u32_u24_e32 v54, 0x10001, v54
	;; [unrolled: 1-line block ×3, first 2 shown]
	v_pk_fma_f16 v49, v21, v56, v49
	v_mul_u32_u24_e32 v57, 0x10001, v16
	v_and_b32_e32 v16, 0xffff, v18
	v_pk_fma_f16 v48, v21, v52, v48
	v_pk_fma_f16 v51, v21, v53, v51
	;; [unrolled: 1-line block ×4, first 2 shown]
	v_mul_u32_u24_e32 v58, 0x10001, v16
	v_and_b32_e32 v16, 0xffff, v19
	v_pk_fma_f16 v40, v21, v55, v40
	s_delay_alu instid0(VALU_DEP_3) | instskip(NEXT) | instid1(VALU_DEP_3)
	v_pk_fma_f16 v22, v21, v58, v22
	v_mul_u32_u24_e32 v59, 0x10001, v16
	ds_load_b128 v[16:19], v135 offset:1968
	v_pk_fma_f16 v39, v21, v59, v39
	s_wait_dscnt 0x0
	v_lshrrev_b32_e32 v60, 16, v16
	v_lshrrev_b32_e32 v61, 16, v17
	;; [unrolled: 1-line block ×4, first 2 shown]
	v_and_b32_e32 v16, 0xffff, v16
	v_and_b32_e32 v17, 0xffff, v17
	;; [unrolled: 1-line block ×4, first 2 shown]
	v_mul_u32_u24_e32 v60, 0x10001, v60
	v_mul_u32_u24_e32 v16, 0x10001, v16
	;; [unrolled: 1-line block ×8, first 2 shown]
	v_pk_fma_f16 v41, v21, v16, v41
	v_pk_fma_f16 v42, v21, v60, v42
	;; [unrolled: 1-line block ×8, first 2 shown]
	ds_load_2addr_b32 v[20:21], v147 offset0:128 offset1:160
	ds_load_b128 v[16:19], v135 offset:960
	s_wait_dscnt 0x0
	v_lshrrev_b32_e32 v53, 16, v16
	v_and_b32_e32 v16, 0xffff, v16
	v_lshrrev_b32_e32 v54, 16, v17
	v_lshrrev_b32_e32 v55, 16, v18
	;; [unrolled: 1-line block ×3, first 2 shown]
	v_mul_u32_u24_e32 v53, 0x10001, v53
	v_mul_u32_u24_e32 v57, 0x10001, v16
	v_and_b32_e32 v16, 0xffff, v17
	v_mul_u32_u24_e32 v54, 0x10001, v54
	v_mul_u32_u24_e32 v55, 0x10001, v55
	;; [unrolled: 1-line block ×3, first 2 shown]
	v_pk_fma_f16 v49, v20, v57, v49
	v_mul_u32_u24_e32 v58, 0x10001, v16
	v_and_b32_e32 v16, 0xffff, v18
	v_pk_fma_f16 v48, v20, v53, v48
	v_pk_fma_f16 v51, v20, v54, v51
	;; [unrolled: 1-line block ×4, first 2 shown]
	v_mul_u32_u24_e32 v59, 0x10001, v16
	v_and_b32_e32 v16, 0xffff, v19
	v_pk_fma_f16 v40, v20, v56, v40
	s_delay_alu instid0(VALU_DEP_3) | instskip(NEXT) | instid1(VALU_DEP_3)
	v_pk_fma_f16 v22, v20, v59, v22
	v_mul_u32_u24_e32 v60, 0x10001, v16
	ds_load_b128 v[16:19], v135 offset:1984
	v_pk_fma_f16 v39, v20, v60, v39
	s_wait_dscnt 0x0
	v_lshrrev_b32_e32 v61, 16, v16
	v_lshrrev_b32_e32 v62, 16, v17
	;; [unrolled: 1-line block ×4, first 2 shown]
	v_and_b32_e32 v16, 0xffff, v16
	v_and_b32_e32 v17, 0xffff, v17
	;; [unrolled: 1-line block ×4, first 2 shown]
	v_mul_u32_u24_e32 v61, 0x10001, v61
	v_mul_u32_u24_e32 v16, 0x10001, v16
	v_mul_u32_u24_e32 v17, 0x10001, v17
	v_mul_u32_u24_e32 v18, 0x10001, v18
	v_mul_u32_u24_e32 v19, 0x10001, v19
	v_mul_u32_u24_e32 v62, 0x10001, v62
	v_pk_fma_f16 v41, v20, v16, v41
	v_pk_fma_f16 v43, v20, v17, v43
	;; [unrolled: 1-line block ×4, first 2 shown]
	ds_load_b128 v[16:19], v135 offset:976
	v_mul_u32_u24_e32 v63, 0x10001, v63
	v_mul_u32_u24_e32 v80, 0x10001, v80
	v_pk_fma_f16 v42, v20, v61, v42
	v_pk_fma_f16 v44, v20, v62, v44
	s_delay_alu instid0(VALU_DEP_4) | instskip(NEXT) | instid1(VALU_DEP_4)
	v_pk_fma_f16 v46, v20, v63, v46
	v_pk_fma_f16 v20, v20, v80, v52
	s_wait_dscnt 0x0
	v_lshrrev_b32_e32 v52, 16, v16
	v_and_b32_e32 v16, 0xffff, v16
	v_lshrrev_b32_e32 v53, 16, v17
	v_lshrrev_b32_e32 v54, 16, v18
	;; [unrolled: 1-line block ×3, first 2 shown]
	v_mul_u32_u24_e32 v52, 0x10001, v52
	v_mul_u32_u24_e32 v56, 0x10001, v16
	v_and_b32_e32 v16, 0xffff, v17
	v_mul_u32_u24_e32 v53, 0x10001, v53
	v_mul_u32_u24_e32 v54, 0x10001, v54
	;; [unrolled: 1-line block ×3, first 2 shown]
	v_pk_fma_f16 v49, v21, v56, v49
	v_mul_u32_u24_e32 v57, 0x10001, v16
	v_and_b32_e32 v16, 0xffff, v18
	v_pk_fma_f16 v48, v21, v52, v48
	v_pk_fma_f16 v51, v21, v53, v51
	;; [unrolled: 1-line block ×4, first 2 shown]
	v_mul_u32_u24_e32 v58, 0x10001, v16
	v_and_b32_e32 v16, 0xffff, v19
	v_pk_fma_f16 v40, v21, v55, v40
	s_delay_alu instid0(VALU_DEP_3) | instskip(NEXT) | instid1(VALU_DEP_3)
	v_pk_fma_f16 v22, v21, v58, v22
	v_mul_u32_u24_e32 v59, 0x10001, v16
	ds_load_b128 v[16:19], v135 offset:2000
	v_pk_fma_f16 v39, v21, v59, v39
	s_wait_dscnt 0x0
	v_lshrrev_b32_e32 v60, 16, v16
	v_lshrrev_b32_e32 v61, 16, v17
	v_lshrrev_b32_e32 v62, 16, v18
	v_lshrrev_b32_e32 v63, 16, v19
	v_and_b32_e32 v16, 0xffff, v16
	v_and_b32_e32 v17, 0xffff, v17
	;; [unrolled: 1-line block ×4, first 2 shown]
	v_mul_u32_u24_e32 v60, 0x10001, v60
	v_mul_u32_u24_e32 v16, 0x10001, v16
	v_mul_u32_u24_e32 v17, 0x10001, v17
	v_mul_u32_u24_e32 v61, 0x10001, v61
	v_mul_u32_u24_e32 v18, 0x10001, v18
	v_mul_u32_u24_e32 v62, 0x10001, v62
	v_mul_u32_u24_e32 v19, 0x10001, v19
	v_mul_u32_u24_e32 v63, 0x10001, v63
	v_pk_fma_f16 v52, v21, v16, v41
	v_pk_fma_f16 v53, v21, v60, v42
	;; [unrolled: 1-line block ×8, first 2 shown]
	ds_load_2addr_b32 v[16:17], v147 offset0:192 offset1:224
	ds_load_b128 v[18:21], v135 offset:992
	s_wait_dscnt 0x0
	v_lshrrev_b32_e32 v41, 16, v18
	v_and_b32_e32 v18, 0xffff, v18
	v_lshrrev_b32_e32 v42, 16, v19
	v_lshrrev_b32_e32 v43, 16, v20
	;; [unrolled: 1-line block ×3, first 2 shown]
	v_mul_u32_u24_e32 v41, 0x10001, v41
	v_mul_u32_u24_e32 v45, 0x10001, v18
	v_and_b32_e32 v18, 0xffff, v19
	v_mul_u32_u24_e32 v62, 0x10001, v43
	v_mul_u32_u24_e32 v80, 0x10001, v44
	;; [unrolled: 1-line block ×3, first 2 shown]
	s_delay_alu instid0(VALU_DEP_4) | instskip(SKIP_1) | instid1(VALU_DEP_4)
	v_mul_u32_u24_e32 v60, 0x10001, v18
	v_and_b32_e32 v18, 0xffff, v20
	v_pk_fma_f16 v40, v16, v80, v40
	s_delay_alu instid0(VALU_DEP_2) | instskip(SKIP_1) | instid1(VALU_DEP_1)
	v_mul_u32_u24_e32 v61, 0x10001, v18
	v_and_b32_e32 v18, 0xffff, v21
	v_mul_u32_u24_e32 v63, 0x10001, v18
	ds_load_b128 v[18:21], v135 offset:2016
	s_wait_dscnt 0x0
	v_lshrrev_b32_e32 v43, 16, v18
	v_lshrrev_b32_e32 v44, 16, v19
	v_and_b32_e32 v18, 0xffff, v18
	v_and_b32_e32 v19, 0xffff, v19
	v_lshrrev_b32_e32 v46, 16, v20
	v_lshrrev_b32_e32 v47, 16, v21
	v_mul_u32_u24_e32 v81, 0x10001, v43
	v_mul_u32_u24_e32 v18, 0x10001, v18
	;; [unrolled: 1-line block ×3, first 2 shown]
	v_and_b32_e32 v20, 0xffff, v20
	v_and_b32_e32 v21, 0xffff, v21
	v_mul_u32_u24_e32 v82, 0x10001, v44
	v_mul_u32_u24_e32 v83, 0x10001, v46
	;; [unrolled: 1-line block ×5, first 2 shown]
	v_pk_fma_f16 v46, v16, v41, v48
	v_pk_fma_f16 v44, v16, v42, v51
	;; [unrolled: 1-line block ×8, first 2 shown]
	ds_load_b128 v[51:54], v135 offset:1008
	v_pk_fma_f16 v47, v16, v45, v49
	v_pk_fma_f16 v45, v16, v60, v50
	;; [unrolled: 1-line block ×7, first 2 shown]
	ds_load_b128 v[59:62], v135 offset:2032
	s_wait_loadcnt_dscnt 0x0
	s_barrier_signal -1
	s_barrier_wait -1
	global_inv scope:SCOPE_SE
	s_load_b32 s3, s[20:21], 0x4
	v_lshrrev_b32_e32 v48, 16, v51
	v_lshrrev_b32_e32 v50, 16, v52
	;; [unrolled: 1-line block ×4, first 2 shown]
	v_and_b32_e32 v49, 0xffff, v51
	v_and_b32_e32 v51, 0xffff, v52
	;; [unrolled: 1-line block ×4, first 2 shown]
	v_lshrrev_b32_e32 v58, 16, v60
	v_lshrrev_b32_e32 v63, 16, v61
	;; [unrolled: 1-line block ×3, first 2 shown]
	v_mul_u32_u24_e32 v53, 0x10001, v52
	v_mul_u32_u24_e32 v52, 0x10001, v55
	;; [unrolled: 1-line block ×4, first 2 shown]
	v_lshrrev_b32_e32 v56, 16, v59
	v_and_b32_e32 v57, 0xffff, v59
	v_and_b32_e32 v59, 0xffff, v60
	;; [unrolled: 1-line block ×4, first 2 shown]
	v_mul_u32_u24_e32 v49, 0x10001, v49
	v_mul_u32_u24_e32 v48, 0x10001, v48
	;; [unrolled: 1-line block ×12, first 2 shown]
	s_wait_kmcnt 0x0
	s_lshl_b32 s3, s3, 6
	v_pk_fma_f16 v163, v17, v49, v47
	v_pk_fma_f16 v162, v17, v48, v46
	;; [unrolled: 1-line block ×16, first 2 shown]
	s_wait_alu 0xfffe
	s_add_co_i32 s10, s3, s10
	s_wait_alu 0xfffe
	s_cmp_ge_i32 s10, s30
	s_cbranch_scc0 .LBB33_9
; %bb.10:
	s_clause 0xe
	scratch_load_b32 v145, off, off offset:8
	scratch_load_b32 v146, off, off offset:12
	;; [unrolled: 1-line block ×15, first 2 shown]
	v_mov_b32_e32 v16, v111
.LBB33_11:
	v_lshlrev_b32_e32 v58, 1, v110
	v_cmp_lt_i32_e32 vcc_lo, v117, v113
	s_cmp_lg_u64 s[12:13], 0
	s_cselect_b32 s3, -1, 0
	s_cmp_eq_u32 s4, 0
	s_wait_alu 0xfffd
	v_cndmask_b32_e32 v17, v16, v117, vcc_lo
	v_cmp_lt_i32_e32 vcc_lo, v118, v113
	s_cselect_b32 s5, -1, 0
	s_wait_alu 0xfffe
	s_and_b32 s3, s5, s3
	s_wait_alu 0xfffd
	v_cndmask_b32_e32 v18, v16, v118, vcc_lo
	v_cmp_lt_i32_e32 vcc_lo, v115, v113
	s_delay_alu instid0(VALU_DEP_2)
	v_lshlrev_b32_e32 v18, 2, v18
	v_lshlrev_b32_e32 v17, 2, v17
	s_wait_alu 0xfffd
	v_cndmask_b32_e32 v19, v16, v115, vcc_lo
	v_cmp_lt_i32_e32 vcc_lo, v116, v113
	ds_bpermute_b32 v22, v17, v25
	ds_bpermute_b32 v21, v17, v24
	;; [unrolled: 1-line block ×5, first 2 shown]
	s_wait_alu 0xfffd
	v_cndmask_b32_e32 v20, v16, v116, vcc_lo
	v_cmp_lt_i32_e32 vcc_lo, v114, v113
	ds_bpermute_b32 v40, v17, v28
	ds_bpermute_b32 v43, v17, v31
	;; [unrolled: 1-line block ×4, first 2 shown]
	s_wait_alu 0xfffd
	v_cndmask_b32_e32 v16, v16, v114, vcc_lo
	ds_bpermute_b32 v45, v17, v33
	ds_bpermute_b32 v46, v17, v34
	;; [unrolled: 1-line block ×5, first 2 shown]
	v_lshlrev_b32_e32 v20, 2, v20
	v_lshlrev_b32_e32 v19, 2, v19
	s_wait_alu 0xfffe
	s_and_b32 vcc_lo, exec_lo, s3
	s_wait_dscnt 0xc
	v_dual_add_f32 v22, v25, v22 :: v_dual_add_f32 v21, v24, v21
	s_wait_dscnt 0xb
	v_dual_add_f32 v23, v26, v23 :: v_dual_lshlrev_b32 v16, 2, v16
	s_wait_dscnt 0xa
	v_add_f32_e32 v27, v27, v39
	ds_bpermute_b32 v26, v18, v22
	ds_bpermute_b32 v24, v17, v38
	;; [unrolled: 1-line block ×5, first 2 shown]
	s_wait_dscnt 0xc
	v_dual_add_f32 v30, v30, v42 :: v_dual_add_f32 v31, v31, v43
	s_wait_dscnt 0xb
	v_dual_add_f32 v28, v28, v40 :: v_dual_add_f32 v29, v29, v41
	ds_bpermute_b32 v40, v18, v27
	ds_bpermute_b32 v43, v18, v30
	s_wait_dscnt 0xb
	v_dual_add_f32 v32, v32, v44 :: v_dual_add_f32 v33, v33, v45
	ds_bpermute_b32 v41, v18, v28
	s_wait_dscnt 0xa
	v_dual_add_f32 v34, v34, v46 :: v_dual_add_f32 v35, v35, v47
	s_wait_dscnt 0x9
	v_add_f32_e32 v36, v36, v48
	ds_bpermute_b32 v42, v18, v29
	ds_bpermute_b32 v44, v18, v31
	;; [unrolled: 1-line block ×3, first 2 shown]
	s_wait_dscnt 0xa
	v_dual_add_f32 v22, v22, v26 :: v_dual_add_f32 v37, v37, v49
	s_wait_dscnt 0x7
	v_dual_add_f32 v24, v38, v24 :: v_dual_add_f32 v21, v21, v25
	s_wait_dscnt 0x6
	v_add_f32_e32 v23, v23, v39
	ds_bpermute_b32 v47, v19, v22
	v_add_f32_e32 v17, v112, v17
	ds_bpermute_b32 v46, v18, v33
	ds_bpermute_b32 v25, v18, v34
	;; [unrolled: 1-line block ×5, first 2 shown]
	s_wait_dscnt 0x9
	v_dual_add_f32 v27, v27, v40 :: v_dual_add_f32 v28, v28, v41
	ds_bpermute_b32 v40, v18, v37
	ds_bpermute_b32 v49, v18, v24
	v_add_f32_e32 v30, v30, v43
	ds_bpermute_b32 v18, v18, v17
	ds_bpermute_b32 v41, v19, v27
	;; [unrolled: 1-line block ×3, first 2 shown]
	s_wait_dscnt 0xb
	v_dual_add_f32 v29, v29, v42 :: v_dual_add_f32 v32, v32, v45
	v_add_f32_e32 v31, v31, v44
	ds_bpermute_b32 v42, v19, v30
	s_wait_dscnt 0xa
	v_dual_add_f32 v22, v22, v47 :: v_dual_add_f32 v33, v33, v46
	s_wait_dscnt 0x8
	v_dual_add_f32 v25, v34, v25 :: v_dual_add_f32 v26, v35, v26
	s_wait_dscnt 0x7
	v_add_f32_e32 v21, v21, v39
	ds_bpermute_b32 v34, v19, v28
	ds_bpermute_b32 v35, v19, v29
	;; [unrolled: 1-line block ×3, first 2 shown]
	s_wait_dscnt 0x8
	v_add_f32_e32 v37, v37, v40
	ds_bpermute_b32 v40, v19, v32
	s_wait_dscnt 0x7
	v_dual_add_f32 v36, v36, v48 :: v_dual_add_f32 v17, v17, v18
	ds_bpermute_b32 v18, v19, v31
	s_wait_dscnt 0x7
	v_add_f32_e32 v27, v27, v41
	ds_bpermute_b32 v41, v19, v33
	s_wait_dscnt 0x7
	v_dual_add_f32 v23, v23, v38 :: v_dual_add_f32 v24, v24, v49
	ds_bpermute_b32 v38, v20, v21
	ds_bpermute_b32 v45, v19, v25
	;; [unrolled: 1-line block ×5, first 2 shown]
	s_wait_dscnt 0xb
	v_add_f32_e32 v30, v30, v42
	ds_bpermute_b32 v44, v20, v27
	s_wait_dscnt 0xb
	v_add_f32_e32 v28, v28, v34
	ds_bpermute_b32 v48, v19, v37
	s_wait_dscnt 0xb
	v_add_f32_e32 v29, v29, v35
	s_wait_dscnt 0xa
	v_add_f32_e32 v22, v22, v39
	ds_bpermute_b32 v43, v20, v23
	s_wait_dscnt 0xa
	v_add_f32_e32 v32, v32, v40
	ds_bpermute_b32 v19, v19, v17
	s_wait_dscnt 0xa
	v_add_f32_e32 v18, v31, v18
	ds_bpermute_b32 v34, v20, v28
	ds_bpermute_b32 v42, v20, v30
	s_wait_dscnt 0xb
	v_add_f32_e32 v33, v33, v41
	ds_bpermute_b32 v41, v20, v32
	ds_bpermute_b32 v40, v20, v18
	s_wait_dscnt 0xc
	v_add_f32_e32 v21, v21, v38
	s_wait_dscnt 0x9
	v_dual_add_f32 v25, v25, v45 :: v_dual_add_f32 v36, v36, v47
	s_wait_dscnt 0x8
	v_add_f32_e32 v24, v24, v49
	s_wait_dscnt 0x7
	v_dual_add_f32 v26, v26, v46 :: v_dual_add_f32 v27, v27, v44
	ds_bpermute_b32 v39, v20, v29
	ds_bpermute_b32 v46, v20, v36
	s_wait_dscnt 0x8
	v_add_f32_e32 v37, v37, v48
	ds_bpermute_b32 v45, v20, v26
	ds_bpermute_b32 v35, v16, v21
	s_wait_dscnt 0x9
	v_add_f32_e32 v23, v23, v43
	ds_bpermute_b32 v38, v16, v22
	s_wait_dscnt 0x8
	v_dual_add_f32 v17, v17, v19 :: v_dual_add_f32 v28, v28, v34
	ds_bpermute_b32 v43, v20, v33
	ds_bpermute_b32 v34, v20, v24
	s_wait_dscnt 0x9
	v_add_f32_e32 v30, v30, v42
	ds_bpermute_b32 v44, v20, v25
	s_wait_dscnt 0x8
	v_add_f32_e32 v18, v18, v40
	v_add_f32_e32 v32, v32, v41
	ds_bpermute_b32 v19, v20, v37
	ds_bpermute_b32 v20, v20, v17
	;; [unrolled: 1-line block ×4, first 2 shown]
	s_wait_dscnt 0xa
	v_dual_add_f32 v29, v29, v39 :: v_dual_add_f32 v36, v36, v46
	ds_bpermute_b32 v39, v16, v27
	s_wait_dscnt 0xa
	v_add_f32_e32 v26, v26, v45
	ds_bpermute_b32 v47, v16, v30
	ds_bpermute_b32 v42, v16, v29
	;; [unrolled: 1-line block ×3, first 2 shown]
	s_wait_dscnt 0xc
	v_add_f32_e32 v57, v21, v35
	ds_bpermute_b32 v51, v16, v26
	s_wait_dscnt 0xc
	v_add_f32_e32 v55, v22, v38
	s_wait_dscnt 0xa
	v_dual_add_f32 v33, v33, v43 :: v_dual_add_f32 v24, v24, v34
	ds_bpermute_b32 v43, v16, v32
	s_wait_dscnt 0xa
	v_add_f32_e32 v25, v25, v44
	ds_bpermute_b32 v45, v16, v33
	s_wait_dscnt 0xa
	v_add_f32_e32 v19, v37, v19
	s_wait_dscnt 0x8
	v_dual_add_f32 v17, v17, v20 :: v_dual_add_f32 v52, v23, v31
	ds_bpermute_b32 v49, v16, v25
	ds_bpermute_b32 v37, v16, v36
	;; [unrolled: 1-line block ×3, first 2 shown]
	s_wait_dscnt 0xa
	v_add_f32_e32 v48, v28, v40
	ds_bpermute_b32 v20, v16, v19
	ds_bpermute_b32 v16, v16, v17
	s_wait_dscnt 0xb
	v_add_f32_e32 v50, v27, v39
	s_wait_dscnt 0x9
	v_add_f32_e32 v46, v29, v42
	v_add_f32_e32 v44, v30, v47
	s_wait_dscnt 0x8
	v_add_f32_e32 v42, v18, v41
	s_wait_dscnt 0x7
	;; [unrolled: 2-line block ×9, first 2 shown]
	v_add_f32_e32 v32, v17, v16
	s_wait_alu 0xfffe
	s_cbranch_vccz .LBB33_13
; %bb.12:
	s_ashr_i32 s3, s2, 31
	v_dual_mov_b32 v16, 0 :: v_dual_max_num_f32 v17, v1, v1
	s_wait_alu 0xfffe
	s_lshl_b64 s[6:7], s[2:3], 2
	v_dual_max_num_f32 v22, v6, v6 :: v_dual_max_num_f32 v25, v9, v9
	s_add_nc_u64 s[6:7], s[12:13], s[6:7]
	v_max_num_f32_e32 v19, v3, v3
	global_load_b64 v[53:54], v16, s[6:7]
	v_max_num_f32_e32 v16, v0, v0
	v_max_num_f32_e32 v24, v8, v8
	v_dual_max_num_f32 v18, v2, v2 :: v_dual_max_num_f32 v21, v5, v5
	v_dual_max_num_f32 v20, v4, v4 :: v_dual_max_num_f32 v23, v7, v7
	;; [unrolled: 1-line block ×3, first 2 shown]
	s_wait_loadcnt 0x0
	v_max_num_f32_e32 v33, v53, v53
	v_max_num_f32_e32 v31, v54, v54
	s_delay_alu instid0(VALU_DEP_2) | instskip(NEXT) | instid1(VALU_DEP_2)
	v_dual_max_num_f32 v35, v12, v12 :: v_dual_max_num_f32 v18, v18, v33
	v_dual_max_num_f32 v16, v16, v33 :: v_dual_max_num_f32 v19, v19, v31
	;; [unrolled: 1-line block ×4, first 2 shown]
	s_delay_alu instid0(VALU_DEP_3) | instskip(NEXT) | instid1(VALU_DEP_3)
	v_sub_f32_e32 v0, v0, v16
	v_dual_sub_f32 v37, v53, v16 :: v_dual_sub_f32 v6, v6, v22
	v_dual_max_num_f32 v17, v17, v31 :: v_dual_max_num_f32 v20, v20, v33
	v_dual_max_num_f32 v23, v23, v31 :: v_dual_max_num_f32 v26, v26, v33
	s_delay_alu instid0(VALU_DEP_4) | instskip(SKIP_4) | instid1(VALU_DEP_4)
	v_dual_sub_f32 v41, v53, v18 :: v_dual_mul_f32 v62, 0x3fb8aa3b, v0
	v_dual_sub_f32 v3, v3, v19 :: v_dual_sub_f32 v56, v53, v24
	v_sub_f32_e32 v47, v54, v21
	v_dual_sub_f32 v9, v9, v25 :: v_dual_mul_f32 v74, 0x3fb8aa3b, v6
	v_dual_sub_f32 v45, v53, v20 :: v_dual_sub_f32 v10, v10, v26
	v_dual_mul_f32 v63, 0x3fb8aa3b, v37 :: v_dual_mul_f32 v68, 0x3fb8aa3b, v3
	v_fma_f32 v86, 0x3fb8aa3b, v0, -v62
	v_rndne_f32_e32 v87, v62
	v_rndne_f32_e32 v122, v74
	v_mul_f32_e32 v73, 0x3fb8aa3b, v47
	v_dual_mul_f32 v71, 0x3fb8aa3b, v45 :: v_dual_mul_f32 v82, 0x3fb8aa3b, v10
	v_rndne_f32_e32 v89, v63
	v_fma_f32 v121, 0x3fb8aa3b, v6, -v74
	v_fmac_f32_e32 v86, 0x32a5705f, v0
	v_sub_f32_e32 v62, v62, v87
	v_sub_f32_e32 v74, v74, v122
	v_fma_f32 v119, 0x3fb8aa3b, v47, -v73
	v_fma_f32 v88, 0x3fb8aa3b, v37, -v63
	s_delay_alu instid0(VALU_DEP_4) | instskip(SKIP_1) | instid1(VALU_DEP_4)
	v_dual_sub_f32 v63, v63, v89 :: v_dual_add_f32 v62, v62, v86
	v_dual_max_num_f32 v27, v27, v31 :: v_dual_sub_f32 v2, v2, v18
	v_fmac_f32_e32 v119, 0x32a5705f, v47
	v_dual_sub_f32 v39, v54, v17 :: v_dual_sub_f32 v8, v8, v24
	s_delay_alu instid0(VALU_DEP_4) | instskip(SKIP_2) | instid1(VALU_DEP_3)
	v_exp_f32_e32 v62, v62
	v_dual_sub_f32 v1, v1, v17 :: v_dual_sub_f32 v4, v4, v20
	v_dual_sub_f32 v5, v5, v21 :: v_dual_mul_f32 v66, 0x3fb8aa3b, v2
	v_dual_sub_f32 v11, v11, v27 :: v_dual_mul_f32 v78, 0x3fb8aa3b, v8
	;; [unrolled: 1-line block ×3, first 2 shown]
	v_cvt_i32_f32_e32 v87, v87
	v_dual_sub_f32 v7, v7, v23 :: v_dual_mul_f32 v70, 0x3fb8aa3b, v4
	v_sub_f32_e32 v59, v54, v25
	v_rndne_f32_e32 v95, v66
	v_mul_f32_e32 v79, 0x3fb8aa3b, v56
	v_fma_f32 v129, 0x3fb8aa3b, v8, -v78
	v_rndne_f32_e32 v130, v78
	v_fma_f32 v133, 0x3fb8aa3b, v9, -v80
	v_rndne_f32_e32 v134, v80
	v_ldexp_f32 v62, v62, v87
	v_cmp_ngt_f32_e32 vcc_lo, 0xc2ce8ed0, v0
	v_mul_f32_e32 v76, 0x3fb8aa3b, v7
	v_dual_mul_f32 v81, 0x3fb8aa3b, v59 :: v_dual_sub_f32 v78, v78, v130
	v_dual_mul_f32 v85, 0x3fb8aa3b, v61 :: v_dual_sub_f32 v80, v80, v134
	v_fma_f32 v94, 0x3fb8aa3b, v2, -v66
	v_sub_f32_e32 v66, v66, v95
	v_fma_f32 v131, 0x3fb8aa3b, v56, -v79
	s_wait_alu 0xfffd
	v_dual_fmac_f32 v133, 0x32a5705f, v9 :: v_dual_cndmask_b32 v62, 0, v62
	v_fmac_f32_e32 v129, 0x32a5705f, v8
	v_dual_sub_f32 v43, v54, v19 :: v_dual_sub_f32 v60, v53, v26
	v_dual_sub_f32 v51, v54, v23 :: v_dual_mul_f32 v72, 0x3fb8aa3b, v5
	s_delay_alu instid0(VALU_DEP_4) | instskip(NEXT) | instid1(VALU_DEP_4)
	v_dual_add_f32 v80, v80, v133 :: v_dual_fmac_f32 v131, 0x32a5705f, v56
	v_dual_add_f32 v78, v78, v129 :: v_dual_sub_f32 v49, v53, v22
	v_mul_f32_e32 v64, 0x3fb8aa3b, v1
	s_delay_alu instid0(VALU_DEP_4) | instskip(SKIP_1) | instid1(VALU_DEP_4)
	v_rndne_f32_e32 v118, v72
	v_mul_f32_e32 v69, 0x3fb8aa3b, v43
	v_exp_f32_e32 v78, v78
	v_fma_f32 v117, 0x3fb8aa3b, v5, -v72
	v_fma_f32 v90, 0x3fb8aa3b, v1, -v64
	v_rndne_f32_e32 v91, v64
	v_sub_f32_e32 v72, v72, v118
	v_fma_f32 v111, 0x3fb8aa3b, v43, -v69
	v_fmac_f32_e32 v88, 0x32a5705f, v37
	v_cvt_i32_f32_e32 v130, v130
	v_dual_mul_f32 v75, 0x3fb8aa3b, v49 :: v_dual_sub_f32 v64, v64, v91
	v_rndne_f32_e32 v112, v69
	v_rndne_f32_e32 v120, v73
	v_dual_fmac_f32 v90, 0x32a5705f, v1 :: v_dual_fmac_f32 v111, 0x32a5705f, v43
	v_ldexp_f32 v78, v78, v130
	v_add_f32_e32 v63, v63, v88
	v_sub_f32_e32 v69, v69, v112
	s_delay_alu instid0(VALU_DEP_4) | instskip(SKIP_1) | instid1(VALU_DEP_4)
	v_dual_sub_f32 v73, v73, v120 :: v_dual_add_f32 v64, v64, v90
	v_cvt_i32_f32_e32 v89, v89
	v_exp_f32_e32 v63, v63
	v_rndne_f32_e32 v116, v71
	v_fma_f32 v137, 0x3fb8aa3b, v10, -v82
	v_exp_f32_e32 v64, v64
	v_rndne_f32_e32 v138, v82
	v_cvt_i32_f32_e32 v91, v91
	v_cmp_ngt_f32_e32 vcc_lo, 0xc2ce8ed0, v37
	v_fma_f32 v115, 0x3fb8aa3b, v45, -v71
	v_rndne_f32_e32 v132, v79
	v_dual_sub_f32 v71, v71, v116 :: v_dual_sub_f32 v82, v82, v138
	v_ldexp_f32 v63, v63, v89
	v_rndne_f32_e32 v114, v70
	s_delay_alu instid0(TRANS32_DEP_1)
	v_ldexp_f32 v64, v64, v91
	v_mul_f32_e32 v65, 0x3fb8aa3b, v39
	v_fma_f32 v113, 0x3fb8aa3b, v4, -v70
	s_wait_alu 0xfffd
	v_cndmask_b32_e32 v63, 0, v63, vcc_lo
	v_cmp_ngt_f32_e32 vcc_lo, 0xc2ce8ed0, v1
	v_fmac_f32_e32 v137, 0x32a5705f, v10
	v_sub_f32_e32 v70, v70, v114
	v_fma_f32 v92, 0x3fb8aa3b, v39, -v65
	v_rndne_f32_e32 v93, v65
	s_wait_alu 0xfffd
	v_cndmask_b32_e32 v64, 0, v64, vcc_lo
	v_dual_sub_f32 v79, v79, v132 :: v_dual_add_f32 v82, v82, v137
	v_dual_mul_f32 v67, 0x3fb8aa3b, v41 :: v_dual_mul_f32 v84, 0x3fb8aa3b, v11
	v_dual_fmac_f32 v92, 0x32a5705f, v39 :: v_dual_sub_f32 v65, v65, v93
	s_delay_alu instid0(VALU_DEP_3) | instskip(SKIP_1) | instid1(VALU_DEP_3)
	v_exp_f32_e32 v82, v82
	v_cvt_i32_f32_e32 v138, v138
	v_fma_f32 v96, 0x3fb8aa3b, v41, -v67
	v_rndne_f32_e32 v97, v67
	v_fma_f32 v123, 0x3fb8aa3b, v49, -v75
	v_fma_f32 v125, 0x3fb8aa3b, v7, -v76
	v_rndne_f32_e32 v142, v84
	s_delay_alu instid0(VALU_DEP_4) | instskip(SKIP_1) | instid1(TRANS32_DEP_1)
	v_dual_fmac_f32 v94, 0x32a5705f, v2 :: v_dual_sub_f32 v67, v67, v97
	v_fmac_f32_e32 v117, 0x32a5705f, v5
	v_ldexp_f32 v82, v82, v138
	v_add_f32_e32 v65, v65, v92
	v_fma_f32 v98, 0x3fb8aa3b, v3, -v68
	v_rndne_f32_e32 v99, v68
	v_rndne_f32_e32 v126, v76
	v_mul_f32_e32 v77, 0x3fb8aa3b, v51
	v_fma_f32 v141, 0x3fb8aa3b, v11, -v84
	v_dual_fmac_f32 v96, 0x32a5705f, v41 :: v_dual_fmac_f32 v113, 0x32a5705f, v4
	v_dual_fmac_f32 v123, 0x32a5705f, v49 :: v_dual_add_f32 v66, v66, v94
	v_dual_sub_f32 v84, v84, v142 :: v_dual_fmac_f32 v125, 0x32a5705f, v7
	v_add_f32_e32 v72, v72, v117
	v_exp_f32_e32 v65, v65
	v_dual_mul_f32 v83, 0x3fb8aa3b, v60 :: v_dual_sub_f32 v68, v68, v99
	v_rndne_f32_e32 v124, v75
	v_cvt_i32_f32_e32 v93, v93
	v_dual_fmac_f32 v98, 0x32a5705f, v3 :: v_dual_fmac_f32 v115, 0x32a5705f, v45
	v_sub_f32_e32 v76, v76, v126
	v_rndne_f32_e32 v128, v77
	v_add_f32_e32 v67, v67, v96
	v_exp_f32_e32 v66, v66
	v_exp_f32_e32 v72, v72
	v_fma_f32 v127, 0x3fb8aa3b, v51, -v77
	v_cvt_i32_f32_e32 v95, v95
	v_cvt_i32_f32_e32 v118, v118
	v_dual_sub_f32 v75, v75, v124 :: v_dual_add_f32 v68, v68, v98
	v_dual_sub_f32 v77, v77, v128 :: v_dual_add_f32 v76, v76, v125
	v_exp_f32_e32 v67, v67
	v_ldexp_f32 v65, v65, v93
	v_cmp_ngt_f32_e32 vcc_lo, 0xc2ce8ed0, v39
	v_rndne_f32_e32 v136, v81
	v_cvt_i32_f32_e32 v97, v97
	v_exp_f32_e32 v68, v68
	v_exp_f32_e32 v76, v76
	v_ldexp_f32 v66, v66, v95
	v_ldexp_f32 v72, v72, v118
	v_add_f32_e32 v69, v69, v111
	s_wait_alu 0xfffd
	v_cndmask_b32_e32 v65, 0, v65, vcc_lo
	v_cmp_ngt_f32_e32 vcc_lo, 0xc2ce8ed0, v2
	v_fma_f32 v135, 0x3fb8aa3b, v59, -v81
	v_cvt_i32_f32_e32 v99, v99
	v_dual_fmac_f32 v121, 0x32a5705f, v6 :: v_dual_add_f32 v70, v70, v113
	v_cvt_i32_f32_e32 v126, v126
	s_wait_alu 0xfffd
	v_dual_sub_f32 v81, v81, v136 :: v_dual_cndmask_b32 v66, 0, v66
	v_exp_f32_e32 v69, v69
	v_ldexp_f32 v67, v67, v97
	v_cmp_ngt_f32_e32 vcc_lo, 0xc2ce8ed0, v41
	v_cvt_i32_f32_e32 v112, v112
	v_exp_f32_e32 v70, v70
	v_exp_f32_e32 v80, v80
	v_ldexp_f32 v68, v68, v99
	v_ldexp_f32 v76, v76, v126
	v_add_f32_e32 v71, v71, v115
	s_wait_alu 0xfffd
	v_cndmask_b32_e32 v67, 0, v67, vcc_lo
	v_cmp_ngt_f32_e32 vcc_lo, 0xc2ce8ed0, v3
	v_cvt_i32_f32_e32 v114, v114
	v_cvt_i32_f32_e32 v134, v134
	v_fmac_f32_e32 v141, 0x32a5705f, v11
	v_exp_f32_e32 v71, v71
	v_ldexp_f32 v69, v69, v112
	s_wait_alu 0xfffd
	v_cndmask_b32_e32 v68, 0, v68, vcc_lo
	v_cmp_ngt_f32_e32 vcc_lo, 0xc2ce8ed0, v43
	v_fma_f32 v139, 0x3fb8aa3b, v60, -v83
	v_cvt_i32_f32_e32 v116, v116
	v_ldexp_f32 v70, v70, v114
	v_ldexp_f32 v80, v80, v134
	v_add_f32_e32 v73, v73, v119
	s_wait_alu 0xfffd
	v_cndmask_b32_e32 v69, 0, v69, vcc_lo
	v_cmp_ngt_f32_e32 vcc_lo, 0xc2ce8ed0, v4
	v_dual_fmac_f32 v127, 0x32a5705f, v51 :: v_dual_add_f32 v74, v74, v121
	v_fmac_f32_e32 v139, 0x32a5705f, v60
	v_exp_f32_e32 v73, v73
	v_ldexp_f32 v71, v71, v116
	s_wait_alu 0xfffd
	v_cndmask_b32_e32 v70, 0, v70, vcc_lo
	v_cmp_ngt_f32_e32 vcc_lo, 0xc2ce8ed0, v45
	v_cvt_i32_f32_e32 v120, v120
	v_add_f32_e32 v75, v75, v123
	v_exp_f32_e32 v74, v74
	v_cvt_i32_f32_e32 v122, v122
	s_wait_alu 0xfffd
	v_cndmask_b32_e32 v71, 0, v71, vcc_lo
	v_cmp_ngt_f32_e32 vcc_lo, 0xc2ce8ed0, v5
	v_exp_f32_e32 v75, v75
	v_ldexp_f32 v73, v73, v120
	v_rndne_f32_e32 v140, v83
	v_cvt_i32_f32_e32 v124, v124
	s_wait_alu 0xfffd
	v_cndmask_b32_e32 v72, 0, v72, vcc_lo
	v_cmp_ngt_f32_e32 vcc_lo, 0xc2ce8ed0, v47
	v_add_f32_e32 v77, v77, v127
	v_ldexp_f32 v74, v74, v122
	v_cvt_i32_f32_e32 v128, v128
	v_rndne_f32_e32 v144, v85
	s_wait_alu 0xfffd
	v_cndmask_b32_e32 v73, 0, v73, vcc_lo
	v_cmp_ngt_f32_e32 vcc_lo, 0xc2ce8ed0, v6
	v_sub_f32_e32 v83, v83, v140
	v_exp_f32_e32 v77, v77
	v_ldexp_f32 v75, v75, v124
	v_dual_fmac_f32 v135, 0x32a5705f, v59 :: v_dual_add_f32 v84, v84, v141
	s_wait_alu 0xfffd
	v_cndmask_b32_e32 v74, 0, v74, vcc_lo
	v_cmp_ngt_f32_e32 vcc_lo, 0xc2ce8ed0, v49
	v_add_f32_e32 v79, v79, v131
	v_cvt_i32_f32_e32 v132, v132
	v_cvt_i32_f32_e32 v136, v136
	v_fma_f32 v143, 0x3fb8aa3b, v61, -v85
	s_wait_alu 0xfffd
	v_cndmask_b32_e32 v75, 0, v75, vcc_lo
	v_cmp_ngt_f32_e32 vcc_lo, 0xc2ce8ed0, v7
	v_ldexp_f32 v77, v77, v128
	v_exp_f32_e32 v79, v79
	v_fmac_f32_e32 v143, 0x32a5705f, v61
	v_cvt_i32_f32_e32 v140, v140
	s_wait_alu 0xfffd
	v_cndmask_b32_e32 v76, 0, v76, vcc_lo
	v_cmp_ngt_f32_e32 vcc_lo, 0xc2ce8ed0, v51
	v_exp_f32_e32 v84, v84
	s_wait_alu 0xfffd
	v_cndmask_b32_e32 v77, 0, v77, vcc_lo
	v_cmp_ngt_f32_e32 vcc_lo, 0xc2ce8ed0, v8
	v_ldexp_f32 v79, v79, v132
	s_wait_alu 0xfffd
	v_dual_cndmask_b32 v78, 0, v78 :: v_dual_add_f32 v81, v81, v135
	v_cmp_ngt_f32_e32 vcc_lo, 0xc2ce8ed0, v56
	s_delay_alu instid0(VALU_DEP_2)
	v_exp_f32_e32 v81, v81
	s_wait_alu 0xfffd
	v_cndmask_b32_e32 v79, 0, v79, vcc_lo
	v_cmp_ngt_f32_e32 vcc_lo, 0xc2ce8ed0, v9
	s_wait_alu 0xfffd
	v_cndmask_b32_e32 v80, 0, v80, vcc_lo
	v_cmp_ngt_f32_e32 vcc_lo, 0xc2ce8ed0, v59
	s_delay_alu instid0(TRANS32_DEP_1) | instskip(SKIP_1) | instid1(VALU_DEP_1)
	v_ldexp_f32 v81, v81, v136
	s_wait_alu 0xfffd
	v_cndmask_b32_e32 v81, 0, v81, vcc_lo
	v_cmp_ngt_f32_e32 vcc_lo, 0xc2ce8ed0, v10
	s_wait_alu 0xfffd
	v_dual_cndmask_b32 v82, 0, v82 :: v_dual_add_f32 v83, v83, v139
	v_cmp_ngt_f32_e32 vcc_lo, 0xc2ce8ed0, v60
	s_delay_alu instid0(VALU_DEP_2) | instskip(NEXT) | instid1(TRANS32_DEP_1)
	v_exp_f32_e32 v83, v83
	v_ldexp_f32 v83, v83, v140
	s_wait_alu 0xfffd
	s_delay_alu instid0(VALU_DEP_1)
	v_cndmask_b32_e32 v83, 0, v83, vcc_lo
	v_cmp_nlt_f32_e32 vcc_lo, 0x42b17218, v0
	s_wait_alu 0xfffd
	v_cndmask_b32_e32 v0, 0x7f800000, v62, vcc_lo
	v_cmp_nlt_f32_e32 vcc_lo, 0x42b17218, v37
	s_wait_alu 0xfffd
	v_cndmask_b32_e32 v37, 0x7f800000, v63, vcc_lo
	v_cmp_nlt_f32_e32 vcc_lo, 0x42b17218, v1
	s_delay_alu instid0(VALU_DEP_2) | instskip(SKIP_4) | instid1(VALU_DEP_1)
	v_fmac_f32_e32 v37, v57, v0
	s_wait_alu 0xfffd
	v_cndmask_b32_e32 v1, 0x7f800000, v64, vcc_lo
	v_cmp_nlt_f32_e32 vcc_lo, 0x42b17218, v39
	v_cvt_f16_f32_e32 v0, v0
	v_and_b32_e32 v0, 0xffff, v0
	s_wait_alu 0xfffd
	v_cndmask_b32_e32 v39, 0x7f800000, v65, vcc_lo
	v_cmp_nlt_f32_e32 vcc_lo, 0x42b17218, v2
	s_delay_alu instid0(VALU_DEP_3) | instskip(SKIP_3) | instid1(VALU_DEP_3)
	v_mul_u32_u24_e32 v0, 0x10001, v0
	s_wait_alu 0xfffd
	v_cndmask_b32_e32 v2, 0x7f800000, v66, vcc_lo
	v_cmp_nlt_f32_e32 vcc_lo, 0x42b17218, v41
	v_pk_mul_f16 v163, v163, v0
	s_wait_alu 0xfffd
	v_dual_sub_f32 v0, v85, v144 :: v_dual_cndmask_b32 v41, 0x7f800000, v67
	v_cmp_nlt_f32_e32 vcc_lo, 0x42b17218, v3
	s_wait_alu 0xfffd
	s_delay_alu instid0(VALU_DEP_2) | instskip(SKIP_1) | instid1(VALU_DEP_2)
	v_dual_add_f32 v0, v0, v143 :: v_dual_cndmask_b32 v3, 0x7f800000, v68
	v_cmp_nlt_f32_e32 vcc_lo, 0x42b17218, v43
	v_exp_f32_e32 v0, v0
	s_wait_alu 0xfffd
	v_cndmask_b32_e32 v43, 0x7f800000, v69, vcc_lo
	v_cmp_nlt_f32_e32 vcc_lo, 0x42b17218, v4
	s_wait_alu 0xfffd
	s_delay_alu instid0(VALU_DEP_2)
	v_dual_fmac_f32 v43, v50, v3 :: v_dual_cndmask_b32 v4, 0x7f800000, v70
	v_cmp_nlt_f32_e32 vcc_lo, 0x42b17218, v45
	v_cvt_f16_f32_e32 v3, v3
	s_wait_alu 0xfffd
	v_cndmask_b32_e32 v45, 0x7f800000, v71, vcc_lo
	v_cmp_nlt_f32_e32 vcc_lo, 0x42b17218, v5
	s_delay_alu instid0(VALU_DEP_3) | instskip(NEXT) | instid1(VALU_DEP_3)
	v_and_b32_e32 v3, 0xffff, v3
	v_fmac_f32_e32 v45, v48, v4
	s_wait_alu 0xfffd
	v_cndmask_b32_e32 v5, 0x7f800000, v72, vcc_lo
	v_cmp_nlt_f32_e32 vcc_lo, 0x42b17218, v47
	v_cvt_f16_f32_e32 v4, v4
	v_mul_u32_u24_e32 v3, 0x10001, v3
	s_wait_alu 0xfffd
	v_cndmask_b32_e32 v47, 0x7f800000, v73, vcc_lo
	v_cmp_nlt_f32_e32 vcc_lo, 0x42b17218, v6
	v_and_b32_e32 v4, 0xffff, v4
	v_pk_mul_f16 v160, v160, v3
	s_wait_alu 0xfffd
	v_dual_fmac_f32 v47, v46, v5 :: v_dual_cndmask_b32 v6, 0x7f800000, v74
	v_cmp_nlt_f32_e32 vcc_lo, 0x42b17218, v49
	v_cvt_f16_f32_e32 v5, v5
	v_mul_u32_u24_e32 v4, 0x10001, v4
	s_wait_alu 0xfffd
	v_cndmask_b32_e32 v49, 0x7f800000, v75, vcc_lo
	v_cmp_nlt_f32_e32 vcc_lo, 0x42b17218, v7
	v_and_b32_e32 v5, 0xffff, v5
	v_pk_mul_f16 v159, v159, v4
	s_delay_alu instid0(VALU_DEP_4)
	v_fmac_f32_e32 v49, v44, v6
	s_wait_alu 0xfffd
	v_cndmask_b32_e32 v7, 0x7f800000, v76, vcc_lo
	v_cmp_nlt_f32_e32 vcc_lo, 0x42b17218, v51
	v_cvt_f16_f32_e32 v6, v6
	v_mul_u32_u24_e32 v5, 0x10001, v5
	s_wait_alu 0xfffd
	v_cndmask_b32_e32 v51, 0x7f800000, v77, vcc_lo
	v_cmp_nlt_f32_e32 vcc_lo, 0x42b17218, v8
	v_and_b32_e32 v6, 0xffff, v6
	v_pk_mul_f16 v158, v158, v5
	s_wait_alu 0xfffd
	v_dual_fmac_f32 v51, v42, v7 :: v_dual_cndmask_b32 v8, 0x7f800000, v78
	v_cmp_nlt_f32_e32 vcc_lo, 0x42b17218, v56
	v_cvt_f16_f32_e32 v7, v7
	v_mul_u32_u24_e32 v6, 0x10001, v6
	s_wait_alu 0xfffd
	v_cndmask_b32_e32 v56, 0x7f800000, v79, vcc_lo
	v_cmp_nlt_f32_e32 vcc_lo, 0x42b17218, v9
	v_and_b32_e32 v7, 0xffff, v7
	v_pk_mul_f16 v157, v157, v6
	s_delay_alu instid0(VALU_DEP_4)
	v_fmac_f32_e32 v56, v40, v8
	s_wait_alu 0xfffd
	v_cndmask_b32_e32 v9, 0x7f800000, v80, vcc_lo
	v_cmp_nlt_f32_e32 vcc_lo, 0x42b17218, v59
	v_mul_u32_u24_e32 v7, 0x10001, v7
	v_cvt_f16_f32_e32 v8, v8
	s_wait_alu 0xfffd
	v_cndmask_b32_e32 v59, 0x7f800000, v81, vcc_lo
	v_cmp_nlt_f32_e32 vcc_lo, 0x42b17218, v10
	v_pk_mul_f16 v156, v156, v7
	s_delay_alu instid0(VALU_DEP_3) | instskip(SKIP_3) | instid1(VALU_DEP_3)
	v_dual_fmac_f32 v59, v28, v9 :: v_dual_and_b32 v8, 0xffff, v8
	s_wait_alu 0xfffd
	v_cndmask_b32_e32 v10, 0x7f800000, v82, vcc_lo
	v_cmp_nlt_f32_e32 vcc_lo, 0x42b17218, v60
	v_mul_u32_u24_e32 v8, 0x10001, v8
	v_cvt_f16_f32_e32 v9, v9
	s_delay_alu instid0(VALU_DEP_4) | instskip(NEXT) | instid1(VALU_DEP_3)
	v_cvt_f16_f32_e32 v28, v10
	v_pk_mul_f16 v155, v155, v8
	v_max_num_f32_e32 v8, v13, v13
	s_delay_alu instid0(VALU_DEP_3) | instskip(SKIP_1) | instid1(VALU_DEP_2)
	v_and_b32_e32 v40, 0xffff, v28
	v_max_num_f32_e32 v28, v35, v33
	v_mul_u32_u24_e32 v3, 0x10001, v40
	s_delay_alu instid0(VALU_DEP_2)
	v_sub_f32_e32 v7, v53, v28
	v_fmac_f32_e32 v41, v52, v2
	v_cvt_f16_f32_e32 v2, v2
	v_mov_b32_e32 v40, v56
	v_pk_mul_f16 v153, v153, v3
	v_cvt_i32_f32_e32 v3, v144
	s_delay_alu instid0(VALU_DEP_4) | instskip(NEXT) | instid1(VALU_DEP_2)
	v_and_b32_e32 v2, 0xffff, v2
	v_ldexp_f32 v0, v0, v3
	s_delay_alu instid0(VALU_DEP_2) | instskip(NEXT) | instid1(VALU_DEP_1)
	v_mul_u32_u24_e32 v2, 0x10001, v2
	v_pk_mul_f16 v161, v161, v2
	s_wait_alu 0xfffd
	v_dual_sub_f32 v2, v12, v28 :: v_dual_cndmask_b32 v35, 0x7f800000, v83
	v_cmp_ngt_f32_e32 vcc_lo, 0xc2ce8ed0, v11
	s_delay_alu instid0(VALU_DEP_2) | instskip(NEXT) | instid1(VALU_DEP_3)
	v_mul_f32_e32 v4, 0x3fb8aa3b, v2
	v_fmac_f32_e32 v35, v29, v10
	v_max_num_f32_e32 v29, v8, v31
	v_mov_b32_e32 v57, v37
	s_delay_alu instid0(VALU_DEP_4) | instskip(SKIP_1) | instid1(VALU_DEP_2)
	v_rndne_f32_e32 v6, v4
	v_fma_f32 v5, 0x3fb8aa3b, v2, -v4
	v_dual_sub_f32 v3, v4, v6 :: v_dual_mul_f32 v4, 0x3fb8aa3b, v7
	s_delay_alu instid0(VALU_DEP_2) | instskip(SKIP_2) | instid1(VALU_DEP_4)
	v_dual_mov_b32 v52, v41 :: v_dual_fmac_f32 v5, 0x32a5705f, v2
	v_and_b32_e32 v9, 0xffff, v9
	v_cvt_i32_f32_e32 v6, v6
	v_rndne_f32_e32 v10, v4
	s_delay_alu instid0(VALU_DEP_4) | instskip(SKIP_2) | instid1(VALU_DEP_4)
	v_add_f32_e32 v3, v3, v5
	v_fma_f32 v5, 0x3fb8aa3b, v7, -v4
	v_mul_u32_u24_e32 v9, 0x10001, v9
	v_dual_sub_f32 v4, v4, v10 :: v_dual_fmac_f32 v39, v55, v1
	v_cvt_f16_f32_e32 v1, v1
	v_exp_f32_e32 v3, v3
	s_delay_alu instid0(VALU_DEP_3) | instskip(SKIP_3) | instid1(VALU_DEP_3)
	v_pk_mul_f16 v154, v154, v9
	v_fmac_f32_e32 v5, 0x32a5705f, v7
	v_mov_b32_e32 v55, v39
	v_and_b32_e32 v1, 0xffff, v1
	v_add_f32_e32 v4, v4, v5
	s_delay_alu instid0(VALU_DEP_2) | instskip(NEXT) | instid1(VALU_DEP_1)
	v_mul_u32_u24_e32 v1, 0x10001, v1
	v_pk_mul_f16 v162, v162, v1
	v_cvt_i32_f32_e32 v1, v142
	s_delay_alu instid0(VALU_DEP_1) | instskip(SKIP_1) | instid1(VALU_DEP_1)
	v_ldexp_f32 v1, v84, v1
	s_wait_alu 0xfffd
	v_cndmask_b32_e32 v1, 0, v1, vcc_lo
	v_cmp_nlt_f32_e32 vcc_lo, 0x42b17218, v11
	s_wait_alu 0xfffd
	s_delay_alu instid0(VALU_DEP_2) | instskip(SKIP_1) | instid1(VALU_DEP_2)
	v_cndmask_b32_e32 v1, 0x7f800000, v1, vcc_lo
	v_cmp_ngt_f32_e32 vcc_lo, 0xc2ce8ed0, v61
	v_cvt_f16_f32_e32 v9, v1
	s_wait_alu 0xfffd
	v_cndmask_b32_e32 v0, 0, v0, vcc_lo
	v_cmp_nlt_f32_e32 vcc_lo, 0x42b17218, v61
	v_mov_b32_e32 v50, v43
	v_and_b32_e32 v8, 0xffff, v9
	s_wait_alu 0xfffd
	v_dual_sub_f32 v9, v13, v29 :: v_dual_cndmask_b32 v60, 0x7f800000, v0
	v_cmp_ngt_f32_e32 vcc_lo, 0xc2ce8ed0, v2
	v_mov_b32_e32 v46, v47
	v_mul_u32_u24_e32 v0, 0x10001, v8
	s_delay_alu instid0(VALU_DEP_4)
	v_mul_f32_e32 v5, 0x3fb8aa3b, v9
	v_fmac_f32_e32 v60, v38, v1
	v_exp_f32_e32 v1, v4
	v_cvt_i32_f32_e32 v8, v10
	v_pk_mul_f16 v152, v152, v0
	v_ldexp_f32 v0, v3, v6
	v_fma_f32 v3, 0x3fb8aa3b, v9, -v5
	v_rndne_f32_e32 v4, v5
	v_sub_f32_e32 v6, v54, v29
	v_mov_b32_e32 v48, v45
	s_wait_alu 0xfffd
	v_dual_cndmask_b32 v0, 0, v0 :: v_dual_fmac_f32 v3, 0x32a5705f, v9
	s_delay_alu instid0(VALU_DEP_3) | instskip(SKIP_3) | instid1(VALU_DEP_4)
	v_dual_sub_f32 v5, v5, v4 :: v_dual_mul_f32 v10, 0x3fb8aa3b, v6
	v_cmp_nlt_f32_e32 vcc_lo, 0x42b17218, v2
	v_ldexp_f32 v1, v1, v8
	v_cvt_i32_f32_e32 v4, v4
	v_add_f32_e32 v3, v5, v3
	v_fma_f32 v2, 0x3fb8aa3b, v6, -v10
	s_wait_alu 0xfffd
	v_cndmask_b32_e32 v0, 0x7f800000, v0, vcc_lo
	v_rndne_f32_e32 v8, v10
	v_cmp_ngt_f32_e32 vcc_lo, 0xc2ce8ed0, v7
	v_exp_f32_e32 v3, v3
	v_fmac_f32_e32 v2, 0x32a5705f, v6
	s_delay_alu instid0(VALU_DEP_3)
	v_dual_mov_b32 v44, v49 :: v_dual_sub_f32 v5, v10, v8
	s_wait_alu 0xfffd
	v_cndmask_b32_e32 v1, 0, v1, vcc_lo
	v_cmp_nlt_f32_e32 vcc_lo, 0x42b17218, v7
	v_cvt_f16_f32_e32 v10, v0
	v_mov_b32_e32 v42, v51
	s_wait_alu 0xfffd
	v_dual_mov_b32 v38, v60 :: v_dual_cndmask_b32 v61, 0x7f800000, v1
	v_add_f32_e32 v1, v5, v2
	v_max_num_f32_e32 v2, v14, v14
	v_cmp_ngt_f32_e32 vcc_lo, 0xc2ce8ed0, v9
	v_and_b32_e32 v5, 0xffff, v10
	v_fmac_f32_e32 v61, v30, v0
	v_exp_f32_e32 v0, v1
	v_max_num_f32_e32 v30, v2, v33
	v_ldexp_f32 v2, v3, v4
	v_cvt_i32_f32_e32 v4, v8
	v_max_num_f32_e32 v3, v15, v15
	v_mul_u32_u24_e32 v1, 0x10001, v5
	s_wait_alu 0xfffd
	v_cndmask_b32_e32 v2, 0, v2, vcc_lo
	v_cmp_nlt_f32_e32 vcc_lo, 0x42b17218, v9
	v_max_num_f32_e32 v31, v3, v31
	v_ldexp_f32 v0, v0, v4
	v_pk_mul_f16 v151, v151, v1
	s_wait_alu 0xfffd
	v_cndmask_b32_e32 v2, 0x7f800000, v2, vcc_lo
	v_cmp_ngt_f32_e32 vcc_lo, 0xc2ce8ed0, v6
	v_sub_f32_e32 v4, v15, v31
	s_wait_alu 0xfffd
	v_cndmask_b32_e32 v0, 0, v0, vcc_lo
	v_cmp_nlt_f32_e32 vcc_lo, 0x42b17218, v6
	s_delay_alu instid0(VALU_DEP_3) | instskip(SKIP_1) | instid1(VALU_DEP_3)
	v_dual_mul_f32 v9, 0x3fb8aa3b, v4 :: v_dual_sub_f32 v6, v53, v30
	s_wait_alu 0xfffd
	v_cndmask_b32_e32 v33, 0x7f800000, v0, vcc_lo
	s_delay_alu instid0(VALU_DEP_2) | instskip(NEXT) | instid1(VALU_DEP_3)
	v_fma_f32 v1, 0x3fb8aa3b, v4, -v9
	v_mul_f32_e32 v10, 0x3fb8aa3b, v6
	s_delay_alu instid0(VALU_DEP_3) | instskip(SKIP_1) | instid1(VALU_DEP_4)
	v_fmac_f32_e32 v33, v36, v2
	v_sub_f32_e32 v5, v14, v30
	v_fmac_f32_e32 v1, 0x32a5705f, v4
	s_delay_alu instid0(VALU_DEP_4) | instskip(SKIP_1) | instid1(VALU_DEP_4)
	v_fma_f32 v11, 0x3fb8aa3b, v6, -v10
	v_rndne_f32_e32 v12, v10
	v_dual_mov_b32 v36, v33 :: v_dual_mul_f32 v3, 0x3fb8aa3b, v5
	v_cmp_ngt_f32_e32 vcc_lo, 0xc2ce8ed0, v5
	s_delay_alu instid0(VALU_DEP_3) | instskip(SKIP_1) | instid1(VALU_DEP_4)
	v_dual_fmac_f32 v11, 0x32a5705f, v6 :: v_dual_sub_f32 v10, v10, v12
	v_cvt_f16_f32_e32 v2, v2
	v_fma_f32 v7, 0x3fb8aa3b, v5, -v3
	v_rndne_f32_e32 v8, v3
	s_delay_alu instid0(VALU_DEP_3) | instskip(NEXT) | instid1(VALU_DEP_2)
	v_and_b32_e32 v2, 0xffff, v2
	v_dual_fmac_f32 v7, 0x32a5705f, v5 :: v_dual_sub_f32 v0, v3, v8
	v_rndne_f32_e32 v3, v9
	v_cvt_i32_f32_e32 v8, v8
	s_delay_alu instid0(VALU_DEP_4) | instskip(NEXT) | instid1(VALU_DEP_4)
	v_mul_u32_u24_e32 v2, 0x10001, v2
	v_add_f32_e32 v0, v0, v7
	s_delay_alu instid0(VALU_DEP_4)
	v_sub_f32_e32 v7, v9, v3
	v_sub_f32_e32 v9, v54, v31
	v_cvt_i32_f32_e32 v3, v3
	v_pk_mul_f16 v150, v150, v2
	v_exp_f32_e32 v0, v0
	v_add_f32_e32 v1, v7, v1
	v_mul_f32_e32 v7, 0x3fb8aa3b, v9
	s_delay_alu instid0(VALU_DEP_2) | instskip(NEXT) | instid1(VALU_DEP_1)
	v_exp_f32_e32 v1, v1
	v_fma_f32 v13, 0x3fb8aa3b, v9, -v7
	v_rndne_f32_e32 v14, v7
	s_delay_alu instid0(TRANS32_DEP_2) | instskip(NEXT) | instid1(VALU_DEP_3)
	v_ldexp_f32 v0, v0, v8
	v_dual_add_f32 v8, v10, v11 :: v_dual_fmac_f32 v13, 0x32a5705f, v9
	s_wait_alu 0xfffd
	s_delay_alu instid0(VALU_DEP_2) | instskip(NEXT) | instid1(TRANS32_DEP_1)
	v_dual_sub_f32 v7, v7, v14 :: v_dual_cndmask_b32 v0, 0, v0
	v_ldexp_f32 v1, v1, v3
	v_cmp_ngt_f32_e32 vcc_lo, 0xc2ce8ed0, v4
	s_delay_alu instid0(VALU_DEP_3)
	v_add_f32_e32 v3, v7, v13
	v_exp_f32_e32 v7, v8
	v_cvt_i32_f32_e32 v8, v14
	s_wait_alu 0xfffd
	v_cndmask_b32_e32 v1, 0, v1, vcc_lo
	v_cmp_nlt_f32_e32 vcc_lo, 0x42b17218, v5
	v_exp_f32_e32 v3, v3
	v_cvt_i32_f32_e32 v5, v12
	s_wait_alu 0xfffd
	v_cndmask_b32_e32 v0, 0x7f800000, v0, vcc_lo
	v_cmp_nlt_f32_e32 vcc_lo, 0x42b17218, v4
	s_delay_alu instid0(VALU_DEP_3) | instskip(NEXT) | instid1(VALU_DEP_3)
	v_ldexp_f32 v4, v7, v5
	v_cvt_f16_f32_e32 v5, v0
	s_wait_alu 0xfffd
	v_cndmask_b32_e32 v1, 0x7f800000, v1, vcc_lo
	v_cmp_ngt_f32_e32 vcc_lo, 0xc2ce8ed0, v6
	v_ldexp_f32 v3, v3, v8
	v_and_b32_e32 v5, 0xffff, v5
	s_delay_alu instid0(VALU_DEP_4) | instskip(SKIP_3) | instid1(VALU_DEP_3)
	v_cvt_f16_f32_e32 v7, v1
	s_wait_alu 0xfffd
	v_cndmask_b32_e32 v4, 0, v4, vcc_lo
	v_cmp_ngt_f32_e32 vcc_lo, 0xc2ce8ed0, v9
	v_and_b32_e32 v7, 0xffff, v7
	s_wait_alu 0xfffd
	v_cndmask_b32_e32 v3, 0, v3, vcc_lo
	v_cmp_nlt_f32_e32 vcc_lo, 0x42b17218, v6
	s_wait_alu 0xfffd
	v_cndmask_b32_e32 v53, 0x7f800000, v4, vcc_lo
	v_cmp_nlt_f32_e32 vcc_lo, 0x42b17218, v9
	v_mul_u32_u24_e32 v4, 0x10001, v5
	s_wait_alu 0xfffd
	s_delay_alu instid0(VALU_DEP_3) | instskip(SKIP_1) | instid1(VALU_DEP_3)
	v_dual_fmac_f32 v53, v34, v0 :: v_dual_cndmask_b32 v54, 0x7f800000, v3
	v_mul_u32_u24_e32 v3, 0x10001, v7
	v_pk_mul_f16 v149, v149, v4
	s_delay_alu instid0(VALU_DEP_3) | instskip(NEXT) | instid1(VALU_DEP_4)
	v_mov_b32_e32 v34, v53
	v_fmac_f32_e32 v54, v32, v1
	s_delay_alu instid0(VALU_DEP_4)
	v_pk_mul_f16 v148, v148, v3
	v_dual_mov_b32 v0, v16 :: v_dual_mov_b32 v1, v17
	v_dual_mov_b32 v2, v18 :: v_dual_mov_b32 v3, v19
	;; [unrolled: 1-line block ×9, first 2 shown]
	v_mov_b32_e32 v30, v61
	v_mov_b32_e32 v32, v54
.LBB33_13:
	s_mov_b32 s3, exec_lo
	v_cmpx_gt_i32_e64 s22, v109
	s_cbranch_execz .LBB33_92
; %bb.14:
	s_load_b32 s1, s[0:1], 0xd4
	v_mov_b32_e32 v18, 1.0
	s_wait_kmcnt 0x0
	s_cmp_lg_u32 s1, 1
	s_cselect_b32 s5, -1, 0
	s_cmp_eq_u32 s1, 1
	s_cselect_b32 s6, -1, 0
	s_wait_alu 0xfffe
	s_and_b32 vcc_lo, exec_lo, s5
	s_wait_alu 0xfffe
	s_cbranch_vccnz .LBB33_16
; %bb.15:
	v_div_scale_f32 v16, null, v57, v57, 1.0
	s_delay_alu instid0(VALU_DEP_1) | instskip(NEXT) | instid1(TRANS32_DEP_1)
	v_rcp_f32_e32 v17, v16
	v_fma_f32 v18, -v16, v17, 1.0
	s_delay_alu instid0(VALU_DEP_1) | instskip(SKIP_1) | instid1(VALU_DEP_1)
	v_fmac_f32_e32 v17, v18, v17
	v_div_scale_f32 v18, vcc_lo, 1.0, v57, 1.0
	v_mul_f32_e32 v19, v18, v17
	s_delay_alu instid0(VALU_DEP_1) | instskip(NEXT) | instid1(VALU_DEP_1)
	v_fma_f32 v20, -v16, v19, v18
	v_fmac_f32_e32 v19, v20, v17
	s_delay_alu instid0(VALU_DEP_1) | instskip(SKIP_1) | instid1(VALU_DEP_1)
	v_fma_f32 v16, -v16, v19, v18
	s_wait_alu 0xfffd
	v_div_fmas_f32 v16, v16, v17, v19
	s_delay_alu instid0(VALU_DEP_1)
	v_div_fixup_f32 v18, v16, v57, 1.0
.LBB33_16:
	s_mul_i32 s3, s28, s22
	v_cvt_f32_f16_e64 v22, v163
	s_wait_alu 0xfffe
	s_add_co_i32 s3, s3, s31
	v_cmp_eq_u32_e32 vcc_lo, 0, v110
	s_wait_loadcnt 0x0
	s_wait_alu 0xfffe
	v_dual_mov_b32 v21, 0 :: v_dual_add_nc_u32 v16, s3, v175
	s_delay_alu instid0(VALU_DEP_1) | instskip(NEXT) | instid1(VALU_DEP_1)
	v_mul_lo_u32 v19, v16, s23
	v_add_nc_u32_e32 v16, s2, v19
	s_delay_alu instid0(VALU_DEP_1) | instskip(SKIP_2) | instid1(VALU_DEP_1)
	v_mad_co_u64_u32 v[16:17], null, s1, v16, s[4:5]
	v_lshrrev_b32_e32 v17, 16, v163
	s_and_b32 s5, vcc_lo, s5
	v_cvt_f32_f16_e32 v23, v17
	s_delay_alu instid0(VALU_DEP_3) | instskip(SKIP_1) | instid1(VALU_DEP_3)
	v_lshl_add_u32 v20, v16, 6, v58
	v_mul_f32_e32 v17, v18, v22
	v_mul_f32_e32 v18, v18, v23
	s_delay_alu instid0(VALU_DEP_3) | instskip(NEXT) | instid1(VALU_DEP_1)
	v_lshlrev_b64_e32 v[20:21], 2, v[20:21]
	v_add_co_u32 v20, s0, s16, v20
	s_wait_alu 0xf1ff
	s_delay_alu instid0(VALU_DEP_2)
	v_add_co_ci_u32_e64 v21, null, s17, v21, s0
	global_store_b64 v[20:21], v[17:18], off
	s_wait_alu 0xfffe
	s_and_saveexec_b32 s0, s5
	s_cbranch_execz .LBB33_18
; %bb.17:
	v_ashrrev_i32_e32 v17, 31, v16
	v_mov_b32_e32 v56, v0
	s_delay_alu instid0(VALU_DEP_2) | instskip(NEXT) | instid1(VALU_DEP_1)
	v_lshlrev_b64_e32 v[16:17], 3, v[16:17]
	v_add_co_u32 v16, vcc_lo, s18, v16
	s_wait_alu 0xfffd
	s_delay_alu instid0(VALU_DEP_2)
	v_add_co_ci_u32_e64 v17, null, s19, v17, vcc_lo
	global_store_b64 v[16:17], v[56:57], off
.LBB33_18:
	s_wait_alu 0xfffe
	s_or_b32 exec_lo, exec_lo, s0
	v_cndmask_b32_e64 v18, 0, 1, s6
	v_mov_b32_e32 v0, 1.0
	s_and_not1_b32 vcc_lo, exec_lo, s6
	s_wait_alu 0xfffe
	s_cbranch_vccnz .LBB33_20
; %bb.19:
	v_div_scale_f32 v0, null, v55, v55, 1.0
	s_delay_alu instid0(VALU_DEP_1) | instskip(NEXT) | instid1(TRANS32_DEP_1)
	v_rcp_f32_e32 v16, v0
	v_fma_f32 v17, -v0, v16, 1.0
	s_delay_alu instid0(VALU_DEP_1) | instskip(SKIP_1) | instid1(VALU_DEP_1)
	v_fmac_f32_e32 v16, v17, v16
	v_div_scale_f32 v17, vcc_lo, 1.0, v55, 1.0
	v_mul_f32_e32 v20, v17, v16
	s_delay_alu instid0(VALU_DEP_1) | instskip(NEXT) | instid1(VALU_DEP_1)
	v_fma_f32 v21, -v0, v20, v17
	v_fmac_f32_e32 v20, v21, v16
	s_delay_alu instid0(VALU_DEP_1) | instskip(SKIP_1) | instid1(VALU_DEP_1)
	v_fma_f32 v0, -v0, v20, v17
	s_wait_alu 0xfffd
	v_div_fmas_f32 v0, v0, v16, v20
	s_delay_alu instid0(VALU_DEP_1)
	v_div_fixup_f32 v0, v0, v55, 1.0
.LBB33_20:
	s_add_co_i32 s0, s2, 1
	v_cvt_f32_f16_e64 v21, v162
	s_wait_alu 0xfffe
	v_add_nc_u32_e32 v16, s0, v19
	s_delay_alu instid0(VALU_DEP_2) | instskip(NEXT) | instid1(VALU_DEP_2)
	v_dual_mov_b32 v20, 0 :: v_dual_mul_f32 v21, v0, v21
	v_mad_co_u64_u32 v[16:17], null, s1, v16, s[4:5]
	v_lshrrev_b32_e32 v17, 16, v162
	s_delay_alu instid0(VALU_DEP_1) | instskip(NEXT) | instid1(VALU_DEP_3)
	v_cvt_f32_f16_e32 v17, v17
	v_lshl_add_u32 v19, v16, 6, v58
	s_delay_alu instid0(VALU_DEP_2) | instskip(NEXT) | instid1(VALU_DEP_2)
	v_mul_f32_e32 v22, v0, v17
	v_lshlrev_b64_e32 v[19:20], 2, v[19:20]
	s_delay_alu instid0(VALU_DEP_1) | instskip(SKIP_1) | instid1(VALU_DEP_2)
	v_add_co_u32 v19, vcc_lo, s16, v19
	s_wait_alu 0xfffd
	v_add_co_ci_u32_e64 v20, null, s17, v20, vcc_lo
	global_store_b64 v[19:20], v[21:22], off
	s_and_saveexec_b32 s6, s5
	s_cbranch_execz .LBB33_22
; %bb.21:
	v_ashrrev_i32_e32 v17, 31, v16
	v_mov_b32_e32 v54, v1
	s_delay_alu instid0(VALU_DEP_2) | instskip(NEXT) | instid1(VALU_DEP_1)
	v_lshlrev_b64_e32 v[16:17], 3, v[16:17]
	v_add_co_u32 v16, vcc_lo, s18, v16
	s_wait_alu 0xfffd
	s_delay_alu instid0(VALU_DEP_2)
	v_add_co_ci_u32_e64 v17, null, s19, v17, vcc_lo
	global_store_b64 v[16:17], v[54:55], off
.LBB33_22:
	s_wait_alu 0xfffe
	s_or_b32 exec_lo, exec_lo, s6
	v_cmp_gt_i32_e32 vcc_lo, s22, v107
	s_and_b32 exec_lo, exec_lo, vcc_lo
	s_cbranch_execz .LBB33_92
; %bb.23:
	v_cmp_ne_u32_e32 vcc_lo, 1, v18
	v_mov_b32_e32 v16, 1.0
	s_cbranch_vccnz .LBB33_25
; %bb.24:
	v_div_scale_f32 v0, null, v52, v52, 1.0
	s_delay_alu instid0(VALU_DEP_1) | instskip(NEXT) | instid1(TRANS32_DEP_1)
	v_rcp_f32_e32 v1, v0
	v_fma_f32 v16, -v0, v1, 1.0
	s_delay_alu instid0(VALU_DEP_1) | instskip(SKIP_1) | instid1(VALU_DEP_1)
	v_fmac_f32_e32 v1, v16, v1
	v_div_scale_f32 v16, vcc_lo, 1.0, v52, 1.0
	v_mul_f32_e32 v17, v16, v1
	s_delay_alu instid0(VALU_DEP_1) | instskip(NEXT) | instid1(VALU_DEP_1)
	v_fma_f32 v19, -v0, v17, v16
	v_fmac_f32_e32 v17, v19, v1
	s_delay_alu instid0(VALU_DEP_1) | instskip(SKIP_1) | instid1(VALU_DEP_1)
	v_fma_f32 v0, -v0, v17, v16
	s_wait_alu 0xfffd
	v_div_fmas_f32 v0, v0, v1, v17
	s_delay_alu instid0(VALU_DEP_1)
	v_div_fixup_f32 v16, v0, v52, 1.0
.LBB33_25:
	v_cvt_f32_f16_e64 v17, v161
	v_add_nc_u32_e32 v0, s3, v174
	s_delay_alu instid0(VALU_DEP_2) | instskip(NEXT) | instid1(VALU_DEP_2)
	v_dual_mov_b32 v20, 0 :: v_dual_mul_f32 v21, v16, v17
	v_mad_co_u64_u32 v[0:1], null, v0, s23, s[2:3]
	s_delay_alu instid0(VALU_DEP_1) | instskip(SKIP_1) | instid1(VALU_DEP_1)
	v_mad_co_u64_u32 v[0:1], null, s1, v0, s[4:5]
	v_lshrrev_b32_e32 v1, 16, v161
	v_cvt_f32_f16_e32 v1, v1
	s_delay_alu instid0(VALU_DEP_3) | instskip(NEXT) | instid1(VALU_DEP_2)
	v_lshl_add_u32 v19, v0, 6, v58
	v_mul_f32_e32 v22, v16, v1
	s_delay_alu instid0(VALU_DEP_2) | instskip(NEXT) | instid1(VALU_DEP_1)
	v_lshlrev_b64_e32 v[19:20], 2, v[19:20]
	v_add_co_u32 v16, vcc_lo, s16, v19
	s_wait_alu 0xfffd
	s_delay_alu instid0(VALU_DEP_2)
	v_add_co_ci_u32_e64 v17, null, s17, v20, vcc_lo
	global_store_b64 v[16:17], v[21:22], off
	s_and_saveexec_b32 s6, s5
	s_cbranch_execz .LBB33_27
; %bb.26:
	v_ashrrev_i32_e32 v1, 31, v0
	v_mov_b32_e32 v51, v2
	s_delay_alu instid0(VALU_DEP_2) | instskip(NEXT) | instid1(VALU_DEP_1)
	v_lshlrev_b64_e32 v[0:1], 3, v[0:1]
	v_add_co_u32 v0, vcc_lo, s18, v0
	s_wait_alu 0xfffd
	s_delay_alu instid0(VALU_DEP_2)
	v_add_co_ci_u32_e64 v1, null, s19, v1, vcc_lo
	global_store_b64 v[0:1], v[51:52], off
.LBB33_27:
	s_wait_alu 0xfffe
	s_or_b32 exec_lo, exec_lo, s6
	v_cmp_gt_i32_e32 vcc_lo, s22, v106
	s_and_b32 exec_lo, exec_lo, vcc_lo
	s_cbranch_execz .LBB33_92
; %bb.28:
	v_cmp_ne_u32_e32 vcc_lo, 1, v18
	v_mov_b32_e32 v2, 1.0
	s_cbranch_vccnz .LBB33_30
; %bb.29:
	v_div_scale_f32 v0, null, v50, v50, 1.0
	s_delay_alu instid0(VALU_DEP_1) | instskip(NEXT) | instid1(TRANS32_DEP_1)
	v_rcp_f32_e32 v1, v0
	v_fma_f32 v2, -v0, v1, 1.0
	s_delay_alu instid0(VALU_DEP_1) | instskip(SKIP_1) | instid1(VALU_DEP_1)
	v_fmac_f32_e32 v1, v2, v1
	v_div_scale_f32 v2, vcc_lo, 1.0, v50, 1.0
	v_mul_f32_e32 v16, v2, v1
	s_delay_alu instid0(VALU_DEP_1) | instskip(NEXT) | instid1(VALU_DEP_1)
	v_fma_f32 v17, -v0, v16, v2
	v_fmac_f32_e32 v16, v17, v1
	s_delay_alu instid0(VALU_DEP_1) | instskip(SKIP_1) | instid1(VALU_DEP_1)
	v_fma_f32 v0, -v0, v16, v2
	s_wait_alu 0xfffd
	v_div_fmas_f32 v0, v0, v1, v16
	s_delay_alu instid0(VALU_DEP_1)
	v_div_fixup_f32 v2, v0, v50, 1.0
.LBB33_30:
	v_dual_mov_b32 v17, 0 :: v_dual_add_nc_u32 v0, s3, v173
	v_cvt_f32_f16_e64 v19, v160
	s_delay_alu instid0(VALU_DEP_2) | instskip(NEXT) | instid1(VALU_DEP_1)
	v_mad_co_u64_u32 v[0:1], null, v0, s23, s[0:1]
	v_mad_co_u64_u32 v[0:1], null, s1, v0, s[4:5]
	v_lshrrev_b32_e32 v1, 16, v160
	s_delay_alu instid0(VALU_DEP_1) | instskip(NEXT) | instid1(VALU_DEP_3)
	v_cvt_f32_f16_e32 v20, v1
	v_lshl_add_u32 v16, v0, 6, v58
	v_mul_f32_e32 v1, v2, v19
	s_delay_alu instid0(VALU_DEP_3) | instskip(NEXT) | instid1(VALU_DEP_3)
	v_mul_f32_e32 v2, v2, v20
	v_lshlrev_b64_e32 v[16:17], 2, v[16:17]
	s_delay_alu instid0(VALU_DEP_1) | instskip(SKIP_1) | instid1(VALU_DEP_2)
	v_add_co_u32 v16, vcc_lo, s16, v16
	s_wait_alu 0xfffd
	v_add_co_ci_u32_e64 v17, null, s17, v17, vcc_lo
	global_store_b64 v[16:17], v[1:2], off
	s_and_saveexec_b32 s6, s5
	s_cbranch_execz .LBB33_32
; %bb.31:
	v_ashrrev_i32_e32 v1, 31, v0
	v_mov_b32_e32 v49, v3
	s_delay_alu instid0(VALU_DEP_2) | instskip(NEXT) | instid1(VALU_DEP_1)
	v_lshlrev_b64_e32 v[0:1], 3, v[0:1]
	v_add_co_u32 v0, vcc_lo, s18, v0
	s_wait_alu 0xfffd
	s_delay_alu instid0(VALU_DEP_2)
	v_add_co_ci_u32_e64 v1, null, s19, v1, vcc_lo
	global_store_b64 v[0:1], v[49:50], off
.LBB33_32:
	s_wait_alu 0xfffe
	s_or_b32 exec_lo, exec_lo, s6
	v_cmp_gt_i32_e32 vcc_lo, s22, v104
	s_and_b32 exec_lo, exec_lo, vcc_lo
	s_cbranch_execz .LBB33_92
; %bb.33:
	v_cmp_ne_u32_e32 vcc_lo, 1, v18
	v_mov_b32_e32 v2, 1.0
	s_cbranch_vccnz .LBB33_35
; %bb.34:
	v_div_scale_f32 v0, null, v48, v48, 1.0
	s_delay_alu instid0(VALU_DEP_1) | instskip(NEXT) | instid1(TRANS32_DEP_1)
	v_rcp_f32_e32 v1, v0
	v_fma_f32 v2, -v0, v1, 1.0
	s_delay_alu instid0(VALU_DEP_1) | instskip(SKIP_1) | instid1(VALU_DEP_1)
	v_fmac_f32_e32 v1, v2, v1
	v_div_scale_f32 v2, vcc_lo, 1.0, v48, 1.0
	v_mul_f32_e32 v3, v2, v1
	s_delay_alu instid0(VALU_DEP_1) | instskip(NEXT) | instid1(VALU_DEP_1)
	v_fma_f32 v16, -v0, v3, v2
	v_fmac_f32_e32 v3, v16, v1
	s_delay_alu instid0(VALU_DEP_1) | instskip(SKIP_1) | instid1(VALU_DEP_1)
	v_fma_f32 v0, -v0, v3, v2
	s_wait_alu 0xfffd
	v_div_fmas_f32 v0, v0, v1, v3
	s_delay_alu instid0(VALU_DEP_1)
	v_div_fixup_f32 v2, v0, v48, 1.0
.LBB33_35:
	v_dual_mov_b32 v17, 0 :: v_dual_add_nc_u32 v0, s3, v172
	v_cvt_f32_f16_e64 v3, v159
	s_delay_alu instid0(VALU_DEP_2) | instskip(NEXT) | instid1(VALU_DEP_1)
	v_mad_co_u64_u32 v[0:1], null, v0, s23, s[2:3]
	v_mad_co_u64_u32 v[0:1], null, s1, v0, s[4:5]
	v_lshrrev_b32_e32 v1, 16, v159
	s_delay_alu instid0(VALU_DEP_1) | instskip(NEXT) | instid1(VALU_DEP_3)
	v_cvt_f32_f16_e32 v19, v1
	v_lshl_add_u32 v16, v0, 6, v58
	v_mul_f32_e32 v1, v2, v3
	s_delay_alu instid0(VALU_DEP_3) | instskip(NEXT) | instid1(VALU_DEP_3)
	v_mul_f32_e32 v2, v2, v19
	v_lshlrev_b64_e32 v[16:17], 2, v[16:17]
	s_delay_alu instid0(VALU_DEP_1) | instskip(SKIP_1) | instid1(VALU_DEP_2)
	v_add_co_u32 v16, vcc_lo, s16, v16
	s_wait_alu 0xfffd
	v_add_co_ci_u32_e64 v17, null, s17, v17, vcc_lo
	global_store_b64 v[16:17], v[1:2], off
	s_and_saveexec_b32 s6, s5
	s_cbranch_execz .LBB33_37
; %bb.36:
	v_ashrrev_i32_e32 v1, 31, v0
	v_mov_b32_e32 v47, v4
	s_delay_alu instid0(VALU_DEP_2) | instskip(NEXT) | instid1(VALU_DEP_1)
	v_lshlrev_b64_e32 v[0:1], 3, v[0:1]
	v_add_co_u32 v0, vcc_lo, s18, v0
	s_wait_alu 0xfffd
	s_delay_alu instid0(VALU_DEP_2)
	v_add_co_ci_u32_e64 v1, null, s19, v1, vcc_lo
	global_store_b64 v[0:1], v[47:48], off
.LBB33_37:
	s_wait_alu 0xfffe
	s_or_b32 exec_lo, exec_lo, s6
	v_cmp_gt_i32_e32 vcc_lo, s22, v101
	s_and_b32 exec_lo, exec_lo, vcc_lo
	s_cbranch_execz .LBB33_92
; %bb.38:
	v_cmp_ne_u32_e32 vcc_lo, 1, v18
	v_mov_b32_e32 v2, 1.0
	s_cbranch_vccnz .LBB33_40
; %bb.39:
	v_div_scale_f32 v0, null, v46, v46, 1.0
	s_delay_alu instid0(VALU_DEP_1) | instskip(NEXT) | instid1(TRANS32_DEP_1)
	v_rcp_f32_e32 v1, v0
	v_fma_f32 v2, -v0, v1, 1.0
	s_delay_alu instid0(VALU_DEP_1) | instskip(SKIP_1) | instid1(VALU_DEP_1)
	v_fmac_f32_e32 v1, v2, v1
	v_div_scale_f32 v2, vcc_lo, 1.0, v46, 1.0
	v_mul_f32_e32 v3, v2, v1
	s_delay_alu instid0(VALU_DEP_1) | instskip(NEXT) | instid1(VALU_DEP_1)
	v_fma_f32 v4, -v0, v3, v2
	v_fmac_f32_e32 v3, v4, v1
	s_delay_alu instid0(VALU_DEP_1) | instskip(SKIP_1) | instid1(VALU_DEP_1)
	v_fma_f32 v0, -v0, v3, v2
	s_wait_alu 0xfffd
	v_div_fmas_f32 v0, v0, v1, v3
	s_delay_alu instid0(VALU_DEP_1)
	v_div_fixup_f32 v2, v0, v46, 1.0
.LBB33_40:
	v_cvt_f32_f16_e64 v16, v158
	v_add_nc_u32_e32 v0, s3, v170
	v_mov_b32_e32 v4, 0
	s_delay_alu instid0(VALU_DEP_2) | instskip(NEXT) | instid1(VALU_DEP_1)
	v_mad_co_u64_u32 v[0:1], null, v0, s23, s[0:1]
	v_mad_co_u64_u32 v[0:1], null, s1, v0, s[4:5]
	v_lshrrev_b32_e32 v1, 16, v158
	s_delay_alu instid0(VALU_DEP_1) | instskip(NEXT) | instid1(VALU_DEP_3)
	v_cvt_f32_f16_e32 v17, v1
	v_lshl_add_u32 v3, v0, 6, v58
	v_mul_f32_e32 v1, v2, v16
	s_delay_alu instid0(VALU_DEP_3) | instskip(NEXT) | instid1(VALU_DEP_3)
	v_mul_f32_e32 v2, v2, v17
	v_lshlrev_b64_e32 v[3:4], 2, v[3:4]
	s_delay_alu instid0(VALU_DEP_1) | instskip(SKIP_1) | instid1(VALU_DEP_2)
	v_add_co_u32 v3, vcc_lo, s16, v3
	s_wait_alu 0xfffd
	v_add_co_ci_u32_e64 v4, null, s17, v4, vcc_lo
	global_store_b64 v[3:4], v[1:2], off
	s_and_saveexec_b32 s6, s5
	s_cbranch_execz .LBB33_42
; %bb.41:
	v_ashrrev_i32_e32 v1, 31, v0
	v_mov_b32_e32 v45, v5
	s_delay_alu instid0(VALU_DEP_2) | instskip(NEXT) | instid1(VALU_DEP_1)
	v_lshlrev_b64_e32 v[0:1], 3, v[0:1]
	v_add_co_u32 v0, vcc_lo, s18, v0
	s_wait_alu 0xfffd
	s_delay_alu instid0(VALU_DEP_2)
	v_add_co_ci_u32_e64 v1, null, s19, v1, vcc_lo
	global_store_b64 v[0:1], v[45:46], off
.LBB33_42:
	s_wait_alu 0xfffe
	s_or_b32 exec_lo, exec_lo, s6
	v_cmp_gt_i32_e32 vcc_lo, s22, v100
	s_and_b32 exec_lo, exec_lo, vcc_lo
	s_cbranch_execz .LBB33_92
; %bb.43:
	v_cmp_ne_u32_e32 vcc_lo, 1, v18
	v_mov_b32_e32 v2, 1.0
	s_cbranch_vccnz .LBB33_45
; %bb.44:
	v_div_scale_f32 v0, null, v44, v44, 1.0
	s_delay_alu instid0(VALU_DEP_1) | instskip(NEXT) | instid1(TRANS32_DEP_1)
	v_rcp_f32_e32 v1, v0
	v_fma_f32 v2, -v0, v1, 1.0
	s_delay_alu instid0(VALU_DEP_1) | instskip(SKIP_1) | instid1(VALU_DEP_1)
	v_fmac_f32_e32 v1, v2, v1
	v_div_scale_f32 v2, vcc_lo, 1.0, v44, 1.0
	v_mul_f32_e32 v3, v2, v1
	s_delay_alu instid0(VALU_DEP_1) | instskip(NEXT) | instid1(VALU_DEP_1)
	v_fma_f32 v4, -v0, v3, v2
	v_fmac_f32_e32 v3, v4, v1
	s_delay_alu instid0(VALU_DEP_1) | instskip(SKIP_1) | instid1(VALU_DEP_1)
	v_fma_f32 v0, -v0, v3, v2
	s_wait_alu 0xfffd
	v_div_fmas_f32 v0, v0, v1, v3
	s_delay_alu instid0(VALU_DEP_1)
	v_div_fixup_f32 v2, v0, v44, 1.0
.LBB33_45:
	v_cvt_f32_f16_e64 v5, v157
	v_add_nc_u32_e32 v0, s3, v171
	v_mov_b32_e32 v4, 0
	s_delay_alu instid0(VALU_DEP_2) | instskip(NEXT) | instid1(VALU_DEP_1)
	v_mad_co_u64_u32 v[0:1], null, v0, s23, s[2:3]
	v_mad_co_u64_u32 v[0:1], null, s1, v0, s[4:5]
	v_lshrrev_b32_e32 v1, 16, v157
	s_delay_alu instid0(VALU_DEP_1) | instskip(NEXT) | instid1(VALU_DEP_3)
	v_cvt_f32_f16_e32 v16, v1
	v_lshl_add_u32 v3, v0, 6, v58
	v_mul_f32_e32 v1, v2, v5
	s_delay_alu instid0(VALU_DEP_3) | instskip(NEXT) | instid1(VALU_DEP_3)
	v_mul_f32_e32 v2, v2, v16
	v_lshlrev_b64_e32 v[3:4], 2, v[3:4]
	s_delay_alu instid0(VALU_DEP_1) | instskip(SKIP_1) | instid1(VALU_DEP_2)
	v_add_co_u32 v3, vcc_lo, s16, v3
	s_wait_alu 0xfffd
	v_add_co_ci_u32_e64 v4, null, s17, v4, vcc_lo
	global_store_b64 v[3:4], v[1:2], off
	s_and_saveexec_b32 s6, s5
	s_cbranch_execz .LBB33_47
; %bb.46:
	v_ashrrev_i32_e32 v1, 31, v0
	v_mov_b32_e32 v43, v6
	s_delay_alu instid0(VALU_DEP_2) | instskip(NEXT) | instid1(VALU_DEP_1)
	v_lshlrev_b64_e32 v[0:1], 3, v[0:1]
	v_add_co_u32 v0, vcc_lo, s18, v0
	s_wait_alu 0xfffd
	s_delay_alu instid0(VALU_DEP_2)
	v_add_co_ci_u32_e64 v1, null, s19, v1, vcc_lo
	global_store_b64 v[0:1], v[43:44], off
.LBB33_47:
	s_wait_alu 0xfffe
	s_or_b32 exec_lo, exec_lo, s6
	v_cmp_gt_i32_e32 vcc_lo, s22, v253
	s_and_b32 exec_lo, exec_lo, vcc_lo
	s_cbranch_execz .LBB33_92
; %bb.48:
	v_cmp_ne_u32_e32 vcc_lo, 1, v18
	v_mov_b32_e32 v2, 1.0
	s_cbranch_vccnz .LBB33_50
; %bb.49:
	v_div_scale_f32 v0, null, v42, v42, 1.0
	s_delay_alu instid0(VALU_DEP_1) | instskip(NEXT) | instid1(TRANS32_DEP_1)
	v_rcp_f32_e32 v1, v0
	v_fma_f32 v2, -v0, v1, 1.0
	s_delay_alu instid0(VALU_DEP_1) | instskip(SKIP_1) | instid1(VALU_DEP_1)
	v_fmac_f32_e32 v1, v2, v1
	v_div_scale_f32 v2, vcc_lo, 1.0, v42, 1.0
	v_mul_f32_e32 v3, v2, v1
	s_delay_alu instid0(VALU_DEP_1) | instskip(NEXT) | instid1(VALU_DEP_1)
	v_fma_f32 v4, -v0, v3, v2
	v_fmac_f32_e32 v3, v4, v1
	s_delay_alu instid0(VALU_DEP_1) | instskip(SKIP_1) | instid1(VALU_DEP_1)
	v_fma_f32 v0, -v0, v3, v2
	s_wait_alu 0xfffd
	v_div_fmas_f32 v0, v0, v1, v3
	s_delay_alu instid0(VALU_DEP_1)
	v_div_fixup_f32 v2, v0, v42, 1.0
.LBB33_50:
	v_add_nc_u32_e32 v0, s3, v169
	v_cvt_f32_f16_e64 v5, v156
	v_mov_b32_e32 v4, 0
	s_delay_alu instid0(VALU_DEP_3) | instskip(NEXT) | instid1(VALU_DEP_1)
	v_mad_co_u64_u32 v[0:1], null, v0, s23, s[0:1]
	v_mad_co_u64_u32 v[0:1], null, s1, v0, s[4:5]
	v_lshrrev_b32_e32 v1, 16, v156
	s_delay_alu instid0(VALU_DEP_1) | instskip(NEXT) | instid1(VALU_DEP_3)
	v_cvt_f32_f16_e32 v6, v1
	v_lshl_add_u32 v3, v0, 6, v58
	v_mul_f32_e32 v1, v2, v5
	s_delay_alu instid0(VALU_DEP_3) | instskip(NEXT) | instid1(VALU_DEP_3)
	v_mul_f32_e32 v2, v2, v6
	v_lshlrev_b64_e32 v[3:4], 2, v[3:4]
	s_delay_alu instid0(VALU_DEP_1) | instskip(SKIP_1) | instid1(VALU_DEP_2)
	v_add_co_u32 v3, vcc_lo, s16, v3
	s_wait_alu 0xfffd
	v_add_co_ci_u32_e64 v4, null, s17, v4, vcc_lo
	global_store_b64 v[3:4], v[1:2], off
	s_and_saveexec_b32 s6, s5
	s_cbranch_execz .LBB33_52
; %bb.51:
	v_ashrrev_i32_e32 v1, 31, v0
	v_mov_b32_e32 v41, v7
	s_delay_alu instid0(VALU_DEP_2) | instskip(NEXT) | instid1(VALU_DEP_1)
	v_lshlrev_b64_e32 v[0:1], 3, v[0:1]
	v_add_co_u32 v0, vcc_lo, s18, v0
	s_wait_alu 0xfffd
	s_delay_alu instid0(VALU_DEP_2)
	v_add_co_ci_u32_e64 v1, null, s19, v1, vcc_lo
	global_store_b64 v[0:1], v[41:42], off
.LBB33_52:
	s_wait_alu 0xfffe
	s_or_b32 exec_lo, exec_lo, s6
	v_cmp_gt_i32_e32 vcc_lo, s22, v103
	s_and_b32 exec_lo, exec_lo, vcc_lo
	s_cbranch_execz .LBB33_92
; %bb.53:
	v_cmp_ne_u32_e32 vcc_lo, 1, v18
	v_mov_b32_e32 v2, 1.0
	s_cbranch_vccnz .LBB33_55
; %bb.54:
	v_div_scale_f32 v0, null, v40, v40, 1.0
	s_delay_alu instid0(VALU_DEP_1) | instskip(NEXT) | instid1(TRANS32_DEP_1)
	v_rcp_f32_e32 v1, v0
	v_fma_f32 v2, -v0, v1, 1.0
	s_delay_alu instid0(VALU_DEP_1) | instskip(SKIP_1) | instid1(VALU_DEP_1)
	v_fmac_f32_e32 v1, v2, v1
	v_div_scale_f32 v2, vcc_lo, 1.0, v40, 1.0
	v_mul_f32_e32 v3, v2, v1
	s_delay_alu instid0(VALU_DEP_1) | instskip(NEXT) | instid1(VALU_DEP_1)
	v_fma_f32 v4, -v0, v3, v2
	v_fmac_f32_e32 v3, v4, v1
	s_delay_alu instid0(VALU_DEP_1) | instskip(SKIP_1) | instid1(VALU_DEP_1)
	v_fma_f32 v0, -v0, v3, v2
	s_wait_alu 0xfffd
	v_div_fmas_f32 v0, v0, v1, v3
	s_delay_alu instid0(VALU_DEP_1)
	v_div_fixup_f32 v2, v0, v40, 1.0
.LBB33_55:
	v_cvt_f32_f16_e64 v5, v155
	v_add_nc_u32_e32 v0, s3, v168
	v_mov_b32_e32 v4, 0
	s_delay_alu instid0(VALU_DEP_2) | instskip(NEXT) | instid1(VALU_DEP_1)
	v_mad_co_u64_u32 v[0:1], null, v0, s23, s[2:3]
	v_mad_co_u64_u32 v[0:1], null, s1, v0, s[4:5]
	v_lshrrev_b32_e32 v1, 16, v155
	s_delay_alu instid0(VALU_DEP_1) | instskip(NEXT) | instid1(VALU_DEP_3)
	v_cvt_f32_f16_e32 v6, v1
	v_lshl_add_u32 v3, v0, 6, v58
	v_mul_f32_e32 v1, v2, v5
	s_delay_alu instid0(VALU_DEP_3) | instskip(NEXT) | instid1(VALU_DEP_3)
	v_mul_f32_e32 v2, v2, v6
	v_lshlrev_b64_e32 v[3:4], 2, v[3:4]
	s_delay_alu instid0(VALU_DEP_1) | instskip(SKIP_1) | instid1(VALU_DEP_2)
	v_add_co_u32 v3, vcc_lo, s16, v3
	s_wait_alu 0xfffd
	v_add_co_ci_u32_e64 v4, null, s17, v4, vcc_lo
	global_store_b64 v[3:4], v[1:2], off
	s_and_saveexec_b32 s6, s5
	s_cbranch_execz .LBB33_57
; %bb.56:
	v_ashrrev_i32_e32 v1, 31, v0
	v_mov_b32_e32 v39, v8
	s_delay_alu instid0(VALU_DEP_2) | instskip(NEXT) | instid1(VALU_DEP_1)
	v_lshlrev_b64_e32 v[0:1], 3, v[0:1]
	v_add_co_u32 v0, vcc_lo, s18, v0
	s_wait_alu 0xfffd
	s_delay_alu instid0(VALU_DEP_2)
	v_add_co_ci_u32_e64 v1, null, s19, v1, vcc_lo
	global_store_b64 v[0:1], v[39:40], off
.LBB33_57:
	s_wait_alu 0xfffe
	s_or_b32 exec_lo, exec_lo, s6
	v_cmp_gt_i32_e32 vcc_lo, s22, v102
	s_and_b32 exec_lo, exec_lo, vcc_lo
	s_cbranch_execz .LBB33_92
; %bb.58:
	v_cmp_ne_u32_e32 vcc_lo, 1, v18
	v_mov_b32_e32 v2, 1.0
	s_cbranch_vccnz .LBB33_60
; %bb.59:
	v_div_scale_f32 v0, null, v28, v28, 1.0
	s_delay_alu instid0(VALU_DEP_1) | instskip(NEXT) | instid1(TRANS32_DEP_1)
	v_rcp_f32_e32 v1, v0
	v_fma_f32 v2, -v0, v1, 1.0
	s_delay_alu instid0(VALU_DEP_1) | instskip(SKIP_1) | instid1(VALU_DEP_1)
	v_fmac_f32_e32 v1, v2, v1
	v_div_scale_f32 v2, vcc_lo, 1.0, v28, 1.0
	v_mul_f32_e32 v3, v2, v1
	s_delay_alu instid0(VALU_DEP_1) | instskip(NEXT) | instid1(VALU_DEP_1)
	v_fma_f32 v4, -v0, v3, v2
	v_fmac_f32_e32 v3, v4, v1
	s_delay_alu instid0(VALU_DEP_1) | instskip(SKIP_1) | instid1(VALU_DEP_1)
	v_fma_f32 v0, -v0, v3, v2
	s_wait_alu 0xfffd
	v_div_fmas_f32 v0, v0, v1, v3
	s_delay_alu instid0(VALU_DEP_1)
	v_div_fixup_f32 v2, v0, v28, 1.0
.LBB33_60:
	v_cvt_f32_f16_e64 v5, v154
	v_add_nc_u32_e32 v0, s3, v167
	v_mov_b32_e32 v4, 0
	s_delay_alu instid0(VALU_DEP_2) | instskip(NEXT) | instid1(VALU_DEP_1)
	;; [unrolled: 60-line block ×3, first 2 shown]
	v_mad_co_u64_u32 v[0:1], null, v0, s23, s[2:3]
	v_mad_co_u64_u32 v[0:1], null, s1, v0, s[4:5]
	v_lshrrev_b32_e32 v1, 16, v153
	s_delay_alu instid0(VALU_DEP_1) | instskip(NEXT) | instid1(VALU_DEP_3)
	v_cvt_f32_f16_e32 v6, v1
	v_lshl_add_u32 v3, v0, 6, v58
	v_mul_f32_e32 v1, v2, v5
	s_delay_alu instid0(VALU_DEP_3) | instskip(NEXT) | instid1(VALU_DEP_3)
	v_mul_f32_e32 v2, v2, v6
	v_lshlrev_b64_e32 v[3:4], 2, v[3:4]
	s_delay_alu instid0(VALU_DEP_1) | instskip(SKIP_1) | instid1(VALU_DEP_2)
	v_add_co_u32 v3, vcc_lo, s16, v3
	s_wait_alu 0xfffd
	v_add_co_ci_u32_e64 v4, null, s17, v4, vcc_lo
	global_store_b64 v[3:4], v[1:2], off
	s_and_saveexec_b32 s6, s5
	s_cbranch_execz .LBB33_67
; %bb.66:
	v_ashrrev_i32_e32 v1, 31, v0
	v_mov_b32_e32 v28, v10
	s_delay_alu instid0(VALU_DEP_2) | instskip(NEXT) | instid1(VALU_DEP_1)
	v_lshlrev_b64_e32 v[0:1], 3, v[0:1]
	v_add_co_u32 v0, vcc_lo, s18, v0
	s_wait_alu 0xfffd
	s_delay_alu instid0(VALU_DEP_2)
	v_add_co_ci_u32_e64 v1, null, s19, v1, vcc_lo
	global_store_b64 v[0:1], v[28:29], off
.LBB33_67:
	s_wait_alu 0xfffe
	s_or_b32 exec_lo, exec_lo, s6
	v_cmp_gt_i32_e32 vcc_lo, s22, v108
	s_and_b32 exec_lo, exec_lo, vcc_lo
	s_cbranch_execz .LBB33_92
; %bb.68:
	v_cmp_ne_u32_e32 vcc_lo, 1, v18
	v_mov_b32_e32 v2, 1.0
	s_cbranch_vccnz .LBB33_70
; %bb.69:
	v_div_scale_f32 v0, null, v38, v38, 1.0
	s_delay_alu instid0(VALU_DEP_1) | instskip(NEXT) | instid1(TRANS32_DEP_1)
	v_rcp_f32_e32 v1, v0
	v_fma_f32 v2, -v0, v1, 1.0
	s_delay_alu instid0(VALU_DEP_1) | instskip(SKIP_1) | instid1(VALU_DEP_1)
	v_fmac_f32_e32 v1, v2, v1
	v_div_scale_f32 v2, vcc_lo, 1.0, v38, 1.0
	v_mul_f32_e32 v3, v2, v1
	s_delay_alu instid0(VALU_DEP_1) | instskip(NEXT) | instid1(VALU_DEP_1)
	v_fma_f32 v4, -v0, v3, v2
	v_fmac_f32_e32 v3, v4, v1
	s_delay_alu instid0(VALU_DEP_1) | instskip(SKIP_1) | instid1(VALU_DEP_1)
	v_fma_f32 v0, -v0, v3, v2
	s_wait_alu 0xfffd
	v_div_fmas_f32 v0, v0, v1, v3
	s_delay_alu instid0(VALU_DEP_1)
	v_div_fixup_f32 v2, v0, v38, 1.0
.LBB33_70:
	v_add_nc_u32_e32 v0, s3, v165
	v_cvt_f32_f16_e64 v5, v152
	v_mov_b32_e32 v4, 0
	s_delay_alu instid0(VALU_DEP_3) | instskip(NEXT) | instid1(VALU_DEP_1)
	v_mad_co_u64_u32 v[0:1], null, v0, s23, s[0:1]
	v_mad_co_u64_u32 v[0:1], null, s1, v0, s[4:5]
	v_lshrrev_b32_e32 v1, 16, v152
	s_delay_alu instid0(VALU_DEP_1) | instskip(NEXT) | instid1(VALU_DEP_3)
	v_cvt_f32_f16_e32 v6, v1
	v_lshl_add_u32 v3, v0, 6, v58
	v_mul_f32_e32 v1, v2, v5
	s_delay_alu instid0(VALU_DEP_3) | instskip(NEXT) | instid1(VALU_DEP_3)
	v_mul_f32_e32 v2, v2, v6
	v_lshlrev_b64_e32 v[3:4], 2, v[3:4]
	s_delay_alu instid0(VALU_DEP_1) | instskip(SKIP_1) | instid1(VALU_DEP_2)
	v_add_co_u32 v3, vcc_lo, s16, v3
	s_wait_alu 0xfffd
	v_add_co_ci_u32_e64 v4, null, s17, v4, vcc_lo
	global_store_b64 v[3:4], v[1:2], off
	s_and_saveexec_b32 s6, s5
	s_cbranch_execz .LBB33_72
; %bb.71:
	v_ashrrev_i32_e32 v1, 31, v0
	v_mov_b32_e32 v37, v11
	s_delay_alu instid0(VALU_DEP_2) | instskip(NEXT) | instid1(VALU_DEP_1)
	v_lshlrev_b64_e32 v[0:1], 3, v[0:1]
	v_add_co_u32 v0, vcc_lo, s18, v0
	s_wait_alu 0xfffd
	s_delay_alu instid0(VALU_DEP_2)
	v_add_co_ci_u32_e64 v1, null, s19, v1, vcc_lo
	global_store_b64 v[0:1], v[37:38], off
.LBB33_72:
	s_wait_alu 0xfffe
	s_or_b32 exec_lo, exec_lo, s6
	v_cmp_gt_i32_e32 vcc_lo, s22, v105
	s_and_b32 exec_lo, exec_lo, vcc_lo
	s_cbranch_execz .LBB33_92
; %bb.73:
	v_cmp_ne_u32_e32 vcc_lo, 1, v18
	v_mov_b32_e32 v2, 1.0
	s_cbranch_vccnz .LBB33_75
; %bb.74:
	v_div_scale_f32 v0, null, v30, v30, 1.0
	s_delay_alu instid0(VALU_DEP_1) | instskip(NEXT) | instid1(TRANS32_DEP_1)
	v_rcp_f32_e32 v1, v0
	v_fma_f32 v2, -v0, v1, 1.0
	s_delay_alu instid0(VALU_DEP_1) | instskip(SKIP_1) | instid1(VALU_DEP_1)
	v_fmac_f32_e32 v1, v2, v1
	v_div_scale_f32 v2, vcc_lo, 1.0, v30, 1.0
	v_mul_f32_e32 v3, v2, v1
	s_delay_alu instid0(VALU_DEP_1) | instskip(NEXT) | instid1(VALU_DEP_1)
	v_fma_f32 v4, -v0, v3, v2
	v_fmac_f32_e32 v3, v4, v1
	s_delay_alu instid0(VALU_DEP_1) | instskip(SKIP_1) | instid1(VALU_DEP_1)
	v_fma_f32 v0, -v0, v3, v2
	s_wait_alu 0xfffd
	v_div_fmas_f32 v0, v0, v1, v3
	s_delay_alu instid0(VALU_DEP_1)
	v_div_fixup_f32 v2, v0, v30, 1.0
.LBB33_75:
	v_cvt_f32_f16_e64 v5, v151
	v_add_nc_u32_e32 v0, s3, v164
	v_mov_b32_e32 v4, 0
	s_delay_alu instid0(VALU_DEP_2) | instskip(NEXT) | instid1(VALU_DEP_1)
	v_mad_co_u64_u32 v[0:1], null, v0, s23, s[2:3]
	v_mad_co_u64_u32 v[0:1], null, s1, v0, s[4:5]
	v_lshrrev_b32_e32 v1, 16, v151
	s_delay_alu instid0(VALU_DEP_1) | instskip(NEXT) | instid1(VALU_DEP_3)
	v_cvt_f32_f16_e32 v6, v1
	v_lshl_add_u32 v3, v0, 6, v58
	v_mul_f32_e32 v1, v2, v5
	s_delay_alu instid0(VALU_DEP_3) | instskip(NEXT) | instid1(VALU_DEP_3)
	v_mul_f32_e32 v2, v2, v6
	v_lshlrev_b64_e32 v[3:4], 2, v[3:4]
	s_delay_alu instid0(VALU_DEP_1) | instskip(SKIP_1) | instid1(VALU_DEP_2)
	v_add_co_u32 v3, vcc_lo, s16, v3
	s_wait_alu 0xfffd
	v_add_co_ci_u32_e64 v4, null, s17, v4, vcc_lo
	global_store_b64 v[3:4], v[1:2], off
	s_and_saveexec_b32 s6, s5
	s_cbranch_execz .LBB33_77
; %bb.76:
	v_ashrrev_i32_e32 v1, 31, v0
	v_mov_b32_e32 v29, v12
	s_delay_alu instid0(VALU_DEP_2) | instskip(NEXT) | instid1(VALU_DEP_1)
	v_lshlrev_b64_e32 v[0:1], 3, v[0:1]
	v_add_co_u32 v0, vcc_lo, s18, v0
	s_wait_alu 0xfffd
	s_delay_alu instid0(VALU_DEP_2)
	v_add_co_ci_u32_e64 v1, null, s19, v1, vcc_lo
	global_store_b64 v[0:1], v[29:30], off
.LBB33_77:
	s_wait_alu 0xfffe
	s_or_b32 exec_lo, exec_lo, s6
	v_cmp_gt_i32_e32 vcc_lo, s22, v255
	s_and_b32 exec_lo, exec_lo, vcc_lo
	s_cbranch_execz .LBB33_92
; %bb.78:
	v_cmp_ne_u32_e32 vcc_lo, 1, v18
	v_mov_b32_e32 v2, 1.0
	s_cbranch_vccnz .LBB33_80
; %bb.79:
	v_div_scale_f32 v0, null, v36, v36, 1.0
	s_delay_alu instid0(VALU_DEP_1) | instskip(NEXT) | instid1(TRANS32_DEP_1)
	v_rcp_f32_e32 v1, v0
	v_fma_f32 v2, -v0, v1, 1.0
	s_delay_alu instid0(VALU_DEP_1) | instskip(SKIP_1) | instid1(VALU_DEP_1)
	v_fmac_f32_e32 v1, v2, v1
	v_div_scale_f32 v2, vcc_lo, 1.0, v36, 1.0
	v_mul_f32_e32 v3, v2, v1
	s_delay_alu instid0(VALU_DEP_1) | instskip(NEXT) | instid1(VALU_DEP_1)
	v_fma_f32 v4, -v0, v3, v2
	v_fmac_f32_e32 v3, v4, v1
	s_delay_alu instid0(VALU_DEP_1) | instskip(SKIP_1) | instid1(VALU_DEP_1)
	v_fma_f32 v0, -v0, v3, v2
	s_wait_alu 0xfffd
	v_div_fmas_f32 v0, v0, v1, v3
	s_delay_alu instid0(VALU_DEP_1)
	v_div_fixup_f32 v2, v0, v36, 1.0
.LBB33_80:
	v_cvt_f32_f16_e64 v5, v150
	v_add_nc_u32_e32 v0, s3, v147
	v_mov_b32_e32 v4, 0
	s_delay_alu instid0(VALU_DEP_2) | instskip(NEXT) | instid1(VALU_DEP_1)
	v_mad_co_u64_u32 v[0:1], null, v0, s23, s[0:1]
	v_mad_co_u64_u32 v[0:1], null, s1, v0, s[4:5]
	v_lshrrev_b32_e32 v1, 16, v150
	s_delay_alu instid0(VALU_DEP_1) | instskip(NEXT) | instid1(VALU_DEP_3)
	v_cvt_f32_f16_e32 v6, v1
	v_lshl_add_u32 v3, v0, 6, v58
	v_mul_f32_e32 v1, v2, v5
	s_delay_alu instid0(VALU_DEP_3) | instskip(NEXT) | instid1(VALU_DEP_3)
	v_mul_f32_e32 v2, v2, v6
	v_lshlrev_b64_e32 v[3:4], 2, v[3:4]
	s_delay_alu instid0(VALU_DEP_1) | instskip(SKIP_1) | instid1(VALU_DEP_2)
	v_add_co_u32 v3, vcc_lo, s16, v3
	s_wait_alu 0xfffd
	v_add_co_ci_u32_e64 v4, null, s17, v4, vcc_lo
	global_store_b64 v[3:4], v[1:2], off
	s_and_saveexec_b32 s6, s5
	s_cbranch_execz .LBB33_82
; %bb.81:
	v_ashrrev_i32_e32 v1, 31, v0
	v_mov_b32_e32 v35, v13
	s_delay_alu instid0(VALU_DEP_2) | instskip(NEXT) | instid1(VALU_DEP_1)
	v_lshlrev_b64_e32 v[0:1], 3, v[0:1]
	v_add_co_u32 v0, vcc_lo, s18, v0
	s_wait_alu 0xfffd
	s_delay_alu instid0(VALU_DEP_2)
	v_add_co_ci_u32_e64 v1, null, s19, v1, vcc_lo
	global_store_b64 v[0:1], v[35:36], off
.LBB33_82:
	s_wait_alu 0xfffe
	s_or_b32 exec_lo, exec_lo, s6
	v_cmp_gt_i32_e32 vcc_lo, s22, v146
	s_and_b32 exec_lo, exec_lo, vcc_lo
	s_cbranch_execz .LBB33_92
; %bb.83:
	v_cmp_ne_u32_e32 vcc_lo, 1, v18
	v_mov_b32_e32 v2, 1.0
	s_cbranch_vccnz .LBB33_85
; %bb.84:
	v_div_scale_f32 v0, null, v34, v34, 1.0
	s_delay_alu instid0(VALU_DEP_1) | instskip(NEXT) | instid1(TRANS32_DEP_1)
	v_rcp_f32_e32 v1, v0
	v_fma_f32 v2, -v0, v1, 1.0
	s_delay_alu instid0(VALU_DEP_1) | instskip(SKIP_1) | instid1(VALU_DEP_1)
	v_fmac_f32_e32 v1, v2, v1
	v_div_scale_f32 v2, vcc_lo, 1.0, v34, 1.0
	v_mul_f32_e32 v3, v2, v1
	s_delay_alu instid0(VALU_DEP_1) | instskip(NEXT) | instid1(VALU_DEP_1)
	v_fma_f32 v4, -v0, v3, v2
	v_fmac_f32_e32 v3, v4, v1
	s_delay_alu instid0(VALU_DEP_1) | instskip(SKIP_1) | instid1(VALU_DEP_1)
	v_fma_f32 v0, -v0, v3, v2
	s_wait_alu 0xfffd
	v_div_fmas_f32 v0, v0, v1, v3
	s_delay_alu instid0(VALU_DEP_1)
	v_div_fixup_f32 v2, v0, v34, 1.0
.LBB33_85:
	v_add_nc_u32_e32 v0, s3, v145
	v_cvt_f32_f16_e64 v5, v149
	v_mov_b32_e32 v4, 0
	s_delay_alu instid0(VALU_DEP_3) | instskip(NEXT) | instid1(VALU_DEP_1)
	v_mad_co_u64_u32 v[0:1], null, v0, s23, s[2:3]
	v_mad_co_u64_u32 v[0:1], null, s1, v0, s[4:5]
	v_lshrrev_b32_e32 v1, 16, v149
	s_delay_alu instid0(VALU_DEP_1) | instskip(NEXT) | instid1(VALU_DEP_3)
	v_cvt_f32_f16_e32 v6, v1
	v_lshl_add_u32 v3, v0, 6, v58
	v_mul_f32_e32 v1, v2, v5
	s_delay_alu instid0(VALU_DEP_3) | instskip(NEXT) | instid1(VALU_DEP_3)
	v_mul_f32_e32 v2, v2, v6
	v_lshlrev_b64_e32 v[3:4], 2, v[3:4]
	s_delay_alu instid0(VALU_DEP_1) | instskip(SKIP_1) | instid1(VALU_DEP_2)
	v_add_co_u32 v3, vcc_lo, s16, v3
	s_wait_alu 0xfffd
	v_add_co_ci_u32_e64 v4, null, s17, v4, vcc_lo
	global_store_b64 v[3:4], v[1:2], off
	s_and_saveexec_b32 s2, s5
	s_cbranch_execz .LBB33_87
; %bb.86:
	v_ashrrev_i32_e32 v1, 31, v0
	v_mov_b32_e32 v33, v14
	s_delay_alu instid0(VALU_DEP_2) | instskip(NEXT) | instid1(VALU_DEP_1)
	v_lshlrev_b64_e32 v[0:1], 3, v[0:1]
	v_add_co_u32 v0, vcc_lo, s18, v0
	s_wait_alu 0xfffd
	s_delay_alu instid0(VALU_DEP_2)
	v_add_co_ci_u32_e64 v1, null, s19, v1, vcc_lo
	global_store_b64 v[0:1], v[33:34], off
.LBB33_87:
	s_wait_alu 0xfffe
	s_or_b32 exec_lo, exec_lo, s2
	scratch_load_b32 v0, off, off th:TH_LOAD_LU ; 4-byte Folded Reload
	s_wait_loadcnt 0x0
	v_cmp_gt_i32_e32 vcc_lo, s22, v0
	s_and_b32 exec_lo, exec_lo, vcc_lo
	s_cbranch_execz .LBB33_92
; %bb.88:
	v_cmp_ne_u32_e32 vcc_lo, 1, v18
	v_mov_b32_e32 v2, 1.0
	s_cbranch_vccnz .LBB33_90
; %bb.89:
	v_div_scale_f32 v0, null, v32, v32, 1.0
	s_delay_alu instid0(VALU_DEP_1) | instskip(NEXT) | instid1(TRANS32_DEP_1)
	v_rcp_f32_e32 v1, v0
	v_fma_f32 v2, -v0, v1, 1.0
	s_delay_alu instid0(VALU_DEP_1) | instskip(SKIP_1) | instid1(VALU_DEP_1)
	v_fmac_f32_e32 v1, v2, v1
	v_div_scale_f32 v2, vcc_lo, 1.0, v32, 1.0
	v_mul_f32_e32 v3, v2, v1
	s_delay_alu instid0(VALU_DEP_1) | instskip(NEXT) | instid1(VALU_DEP_1)
	v_fma_f32 v4, -v0, v3, v2
	v_fmac_f32_e32 v3, v4, v1
	s_delay_alu instid0(VALU_DEP_1) | instskip(SKIP_1) | instid1(VALU_DEP_1)
	v_fma_f32 v0, -v0, v3, v2
	s_wait_alu 0xfffd
	v_div_fmas_f32 v0, v0, v1, v3
	s_delay_alu instid0(VALU_DEP_1)
	v_div_fixup_f32 v2, v0, v32, 1.0
.LBB33_90:
	scratch_load_b32 v0, off, off offset:4 th:TH_LOAD_LU ; 4-byte Folded Reload
	v_cvt_f32_f16_e64 v5, v148
	v_mov_b32_e32 v4, 0
	s_wait_loadcnt 0x0
	v_add_nc_u32_e32 v0, s3, v0
	s_delay_alu instid0(VALU_DEP_1) | instskip(NEXT) | instid1(VALU_DEP_1)
	v_mad_co_u64_u32 v[0:1], null, v0, s23, s[0:1]
	v_mad_co_u64_u32 v[0:1], null, s1, v0, s[4:5]
	v_lshrrev_b32_e32 v1, 16, v148
	s_delay_alu instid0(VALU_DEP_1) | instskip(NEXT) | instid1(VALU_DEP_3)
	v_cvt_f32_f16_e32 v6, v1
	v_lshl_add_u32 v3, v0, 6, v58
	v_mul_f32_e32 v1, v2, v5
	s_delay_alu instid0(VALU_DEP_3) | instskip(NEXT) | instid1(VALU_DEP_3)
	v_mul_f32_e32 v2, v2, v6
	v_lshlrev_b64_e32 v[3:4], 2, v[3:4]
	s_delay_alu instid0(VALU_DEP_1) | instskip(SKIP_1) | instid1(VALU_DEP_2)
	v_add_co_u32 v3, vcc_lo, s16, v3
	s_wait_alu 0xfffd
	v_add_co_ci_u32_e64 v4, null, s17, v4, vcc_lo
	global_store_b64 v[3:4], v[1:2], off
	s_and_b32 exec_lo, exec_lo, s5
	s_cbranch_execz .LBB33_92
; %bb.91:
	v_ashrrev_i32_e32 v1, 31, v0
	v_mov_b32_e32 v31, v15
	s_delay_alu instid0(VALU_DEP_2) | instskip(NEXT) | instid1(VALU_DEP_1)
	v_lshlrev_b64_e32 v[0:1], 3, v[0:1]
	v_add_co_u32 v0, vcc_lo, s18, v0
	s_wait_alu 0xfffd
	s_delay_alu instid0(VALU_DEP_2)
	v_add_co_ci_u32_e64 v1, null, s19, v1, vcc_lo
	global_store_b64 v[0:1], v[31:32], off
.LBB33_92:
	s_nop 0
	s_sendmsg sendmsg(MSG_DEALLOC_VGPRS)
	s_endpgm
	.section	.rodata,"a",@progbits
	.p2align	6, 0x0
	.amdhsa_kernel _ZL15flash_attn_tileILi64ELi64ELi32ELi2ELb0EEvPKcS1_S1_S1_S1_PKiPfP15HIP_vector_typeIfLj2EEffffjfiS5_IjLj3EEiiiiiiiiiiiliiliiiiil
		.amdhsa_group_segment_fixed_size 25600
		.amdhsa_private_segment_fixed_size 72
		.amdhsa_kernarg_size 464
		.amdhsa_user_sgpr_count 2
		.amdhsa_user_sgpr_dispatch_ptr 0
		.amdhsa_user_sgpr_queue_ptr 0
		.amdhsa_user_sgpr_kernarg_segment_ptr 1
		.amdhsa_user_sgpr_dispatch_id 0
		.amdhsa_user_sgpr_private_segment_size 0
		.amdhsa_wavefront_size32 1
		.amdhsa_uses_dynamic_stack 0
		.amdhsa_enable_private_segment 1
		.amdhsa_system_sgpr_workgroup_id_x 1
		.amdhsa_system_sgpr_workgroup_id_y 1
		.amdhsa_system_sgpr_workgroup_id_z 1
		.amdhsa_system_sgpr_workgroup_info 0
		.amdhsa_system_vgpr_workitem_id 1
		.amdhsa_next_free_vgpr 256
		.amdhsa_next_free_sgpr 48
		.amdhsa_reserve_vcc 1
		.amdhsa_float_round_mode_32 0
		.amdhsa_float_round_mode_16_64 0
		.amdhsa_float_denorm_mode_32 3
		.amdhsa_float_denorm_mode_16_64 3
		.amdhsa_fp16_overflow 0
		.amdhsa_workgroup_processor_mode 1
		.amdhsa_memory_ordered 1
		.amdhsa_forward_progress 1
		.amdhsa_inst_pref_size 255
		.amdhsa_round_robin_scheduling 0
		.amdhsa_exception_fp_ieee_invalid_op 0
		.amdhsa_exception_fp_denorm_src 0
		.amdhsa_exception_fp_ieee_div_zero 0
		.amdhsa_exception_fp_ieee_overflow 0
		.amdhsa_exception_fp_ieee_underflow 0
		.amdhsa_exception_fp_ieee_inexact 0
		.amdhsa_exception_int_div_zero 0
	.end_amdhsa_kernel
	.section	.text._ZL15flash_attn_tileILi64ELi64ELi32ELi2ELb0EEvPKcS1_S1_S1_S1_PKiPfP15HIP_vector_typeIfLj2EEffffjfiS5_IjLj3EEiiiiiiiiiiiliiliiiiil,"axG",@progbits,_ZL15flash_attn_tileILi64ELi64ELi32ELi2ELb0EEvPKcS1_S1_S1_S1_PKiPfP15HIP_vector_typeIfLj2EEffffjfiS5_IjLj3EEiiiiiiiiiiiliiliiiiil,comdat
.Lfunc_end33:
	.size	_ZL15flash_attn_tileILi64ELi64ELi32ELi2ELb0EEvPKcS1_S1_S1_S1_PKiPfP15HIP_vector_typeIfLj2EEffffjfiS5_IjLj3EEiiiiiiiiiiiliiliiiiil, .Lfunc_end33-_ZL15flash_attn_tileILi64ELi64ELi32ELi2ELb0EEvPKcS1_S1_S1_S1_PKiPfP15HIP_vector_typeIfLj2EEffffjfiS5_IjLj3EEiiiiiiiiiiiliiliiiiil
                                        ; -- End function
	.set _ZL15flash_attn_tileILi64ELi64ELi32ELi2ELb0EEvPKcS1_S1_S1_S1_PKiPfP15HIP_vector_typeIfLj2EEffffjfiS5_IjLj3EEiiiiiiiiiiiliiliiiiil.num_vgpr, 256
	.set _ZL15flash_attn_tileILi64ELi64ELi32ELi2ELb0EEvPKcS1_S1_S1_S1_PKiPfP15HIP_vector_typeIfLj2EEffffjfiS5_IjLj3EEiiiiiiiiiiiliiliiiiil.num_agpr, 0
	.set _ZL15flash_attn_tileILi64ELi64ELi32ELi2ELb0EEvPKcS1_S1_S1_S1_PKiPfP15HIP_vector_typeIfLj2EEffffjfiS5_IjLj3EEiiiiiiiiiiiliiliiiiil.numbered_sgpr, 48
	.set _ZL15flash_attn_tileILi64ELi64ELi32ELi2ELb0EEvPKcS1_S1_S1_S1_PKiPfP15HIP_vector_typeIfLj2EEffffjfiS5_IjLj3EEiiiiiiiiiiiliiliiiiil.num_named_barrier, 0
	.set _ZL15flash_attn_tileILi64ELi64ELi32ELi2ELb0EEvPKcS1_S1_S1_S1_PKiPfP15HIP_vector_typeIfLj2EEffffjfiS5_IjLj3EEiiiiiiiiiiiliiliiiiil.private_seg_size, 72
	.set _ZL15flash_attn_tileILi64ELi64ELi32ELi2ELb0EEvPKcS1_S1_S1_S1_PKiPfP15HIP_vector_typeIfLj2EEffffjfiS5_IjLj3EEiiiiiiiiiiiliiliiiiil.uses_vcc, 1
	.set _ZL15flash_attn_tileILi64ELi64ELi32ELi2ELb0EEvPKcS1_S1_S1_S1_PKiPfP15HIP_vector_typeIfLj2EEffffjfiS5_IjLj3EEiiiiiiiiiiiliiliiiiil.uses_flat_scratch, 1
	.set _ZL15flash_attn_tileILi64ELi64ELi32ELi2ELb0EEvPKcS1_S1_S1_S1_PKiPfP15HIP_vector_typeIfLj2EEffffjfiS5_IjLj3EEiiiiiiiiiiiliiliiiiil.has_dyn_sized_stack, 0
	.set _ZL15flash_attn_tileILi64ELi64ELi32ELi2ELb0EEvPKcS1_S1_S1_S1_PKiPfP15HIP_vector_typeIfLj2EEffffjfiS5_IjLj3EEiiiiiiiiiiiliiliiiiil.has_recursion, 0
	.set _ZL15flash_attn_tileILi64ELi64ELi32ELi2ELb0EEvPKcS1_S1_S1_S1_PKiPfP15HIP_vector_typeIfLj2EEffffjfiS5_IjLj3EEiiiiiiiiiiiliiliiiiil.has_indirect_call, 0
	.section	.AMDGPU.csdata,"",@progbits
; Kernel info:
; codeLenInByte = 52240
; TotalNumSgprs: 50
; NumVgprs: 256
; ScratchSize: 72
; MemoryBound: 0
; FloatMode: 240
; IeeeMode: 1
; LDSByteSize: 25600 bytes/workgroup (compile time only)
; SGPRBlocks: 0
; VGPRBlocks: 31
; NumSGPRsForWavesPerEU: 50
; NumVGPRsForWavesPerEU: 256
; Occupancy: 5
; WaveLimiterHint : 0
; COMPUTE_PGM_RSRC2:SCRATCH_EN: 1
; COMPUTE_PGM_RSRC2:USER_SGPR: 2
; COMPUTE_PGM_RSRC2:TRAP_HANDLER: 0
; COMPUTE_PGM_RSRC2:TGID_X_EN: 1
; COMPUTE_PGM_RSRC2:TGID_Y_EN: 1
; COMPUTE_PGM_RSRC2:TGID_Z_EN: 1
; COMPUTE_PGM_RSRC2:TIDIG_COMP_CNT: 1
	.section	.text._ZL25flash_attn_mask_to_KV_maxILi32EEvPK7__half2Piiii,"axG",@progbits,_ZL25flash_attn_mask_to_KV_maxILi32EEvPK7__half2Piiii,comdat
	.globl	_ZL25flash_attn_mask_to_KV_maxILi32EEvPK7__half2Piiii ; -- Begin function _ZL25flash_attn_mask_to_KV_maxILi32EEvPK7__half2Piiii
	.p2align	8
	.type	_ZL25flash_attn_mask_to_KV_maxILi32EEvPK7__half2Piiii,@function
_ZL25flash_attn_mask_to_KV_maxILi32EEvPK7__half2Piiii: ; @_ZL25flash_attn_mask_to_KV_maxILi32EEvPK7__half2Piiii
; %bb.0:
	s_load_b64 s[8:9], s[0:1], 0x0
	s_mov_b32 s2, exec_lo
	v_cmpx_gt_u32_e32 32, v0
; %bb.1:
	v_dual_mov_b32 v2, 1 :: v_dual_lshlrev_b32 v1, 2, v0
	ds_store_b32 v1, v2
; %bb.2:
	s_or_b32 exec_lo, exec_lo, s2
	s_clause 0x2
	s_load_b96 s[4:6], s[0:1], 0x10
	s_load_b64 s[2:3], s[0:1], 0x8
	s_load_b32 s1, s[0:1], 0x20
	v_dual_mov_b32 v2, 0 :: v_dual_and_b32 v1, 31, v0
	v_lshrrev_b32_e32 v5, 3, v0
	s_wait_dscnt 0x0
	s_barrier_signal -1
	s_delay_alu instid0(VALU_DEP_2)
	v_lshlrev_b32_e32 v6, 2, v1
	s_barrier_wait -1
	global_inv scope:SCOPE_SE
	s_wait_kmcnt 0x0
	s_mul_i32 s0, ttmp9, s5
	s_mul_i32 s6, s6, ttmp7
	s_lshl_b32 s0, s0, 5
	s_delay_alu instid0(SALU_CYCLE_1) | instskip(SKIP_2) | instid1(SALU_CYCLE_1)
	s_add_co_i32 s6, s6, s0
	v_cmp_eq_u32_e64 s0, 0, v1
	s_ashr_i32 s7, s6, 31
	s_lshl_b64 s[6:7], s[6:7], 2
	s_delay_alu instid0(SALU_CYCLE_1)
	s_add_nc_u64 s[6:7], s[8:9], s[6:7]
	s_lshl_b32 s8, s4, 8
	s_branch .LBB34_4
.LBB34_3:                               ;   in Loop: Header=BB34_4 Depth=1
	s_wait_alu 0xfffe
	s_or_b32 exec_lo, exec_lo, s9
	s_wait_dscnt 0x0
	s_barrier_signal -1
	s_barrier_wait -1
	global_inv scope:SCOPE_SE
	ds_load_b32 v1, v6
	s_wait_loadcnt_dscnt 0x0
	s_barrier_signal -1
	s_barrier_wait -1
	global_inv scope:SCOPE_SE
	v_cmp_ne_u32_e32 vcc_lo, 0, v1
	s_cmp_lg_u32 vcc_lo, exec_lo
	s_cselect_b32 s9, -1, 0
	s_wait_alu 0xfffe
	s_and_b32 vcc_lo, exec_lo, s9
	s_wait_alu 0xfffe
	s_cbranch_vccnz .LBB34_132
.LBB34_4:                               ; =>This Inner Loop Header: Depth=1
	s_mov_b32 s4, s8
	s_addk_co_i32 s8, 0xff00
	s_wait_alu 0xfffe
	s_cmp_lt_i32 s8, 0
	s_cbranch_scc1 .LBB34_131
; %bb.5:                                ;   in Loop: Header=BB34_4 Depth=1
	s_lshr_b32 s9, s8, 1
	s_wait_alu 0xfffe
	v_add_nc_u32_e32 v1, s9, v0
	s_delay_alu instid0(VALU_DEP_1) | instskip(NEXT) | instid1(VALU_DEP_1)
	v_lshlrev_b64_e32 v[3:4], 2, v[1:2]
	v_add_co_u32 v3, vcc_lo, s6, v3
	s_wait_alu 0xfffd
	s_delay_alu instid0(VALU_DEP_2) | instskip(SKIP_4) | instid1(VALU_DEP_2)
	v_add_co_ci_u32_e64 v4, null, s7, v4, vcc_lo
	global_load_b32 v3, v[3:4], off
	s_wait_loadcnt 0x0
	v_lshrrev_b32_e32 v4, 16, v3
	v_cmp_class_f16_e64 s9, v3, 0x204
	v_cmp_class_f16_e64 s10, v4, 0x204
	s_and_b32 s11, s9, s10
	s_mov_b32 s10, 0
	s_wait_alu 0xfffe
	s_and_saveexec_b32 s9, s11
	s_cbranch_execz .LBB34_129
; %bb.6:                                ;   in Loop: Header=BB34_4 Depth=1
	v_add_nc_u32_e32 v3, s5, v1
	s_mov_b32 s11, 0
	s_delay_alu instid0(VALU_DEP_1) | instskip(NEXT) | instid1(VALU_DEP_1)
	v_ashrrev_i32_e32 v4, 31, v3
	v_lshlrev_b64_e32 v[7:8], 2, v[3:4]
	s_delay_alu instid0(VALU_DEP_1) | instskip(SKIP_1) | instid1(VALU_DEP_2)
	v_add_co_u32 v7, vcc_lo, s6, v7
	s_wait_alu 0xfffd
	v_add_co_ci_u32_e64 v8, null, s7, v8, vcc_lo
	global_load_b32 v1, v[7:8], off
	s_wait_loadcnt 0x0
	v_cmp_class_f16_e64 s12, v1, 0x204
	s_and_saveexec_b32 s10, s12
	s_cbranch_execz .LBB34_128
; %bb.7:                                ;   in Loop: Header=BB34_4 Depth=1
	v_lshrrev_b32_e32 v1, 16, v1
	s_mov_b32 s12, 0
	s_delay_alu instid0(VALU_DEP_1)
	v_cmp_class_f16_e64 s13, v1, 0x204
	s_and_saveexec_b32 s11, s13
	s_cbranch_execz .LBB34_127
; %bb.8:                                ;   in Loop: Header=BB34_4 Depth=1
	v_add_nc_u32_e32 v3, s5, v3
	s_mov_b32 s13, 0
	s_delay_alu instid0(VALU_DEP_1) | instskip(NEXT) | instid1(VALU_DEP_1)
	v_ashrrev_i32_e32 v4, 31, v3
	v_lshlrev_b64_e32 v[7:8], 2, v[3:4]
	s_delay_alu instid0(VALU_DEP_1) | instskip(SKIP_1) | instid1(VALU_DEP_2)
	v_add_co_u32 v7, vcc_lo, s6, v7
	s_wait_alu 0xfffd
	v_add_co_ci_u32_e64 v8, null, s7, v8, vcc_lo
	global_load_b32 v1, v[7:8], off
	s_wait_loadcnt 0x0
	v_cmp_class_f16_e64 s14, v1, 0x204
	s_and_saveexec_b32 s12, s14
	s_cbranch_execz .LBB34_126
; %bb.9:                                ;   in Loop: Header=BB34_4 Depth=1
	v_lshrrev_b32_e32 v1, 16, v1
	s_mov_b32 s14, 0
	s_delay_alu instid0(VALU_DEP_1)
	v_cmp_class_f16_e64 s15, v1, 0x204
	s_and_saveexec_b32 s13, s15
	s_cbranch_execz .LBB34_125
; %bb.10:                               ;   in Loop: Header=BB34_4 Depth=1
	v_add_nc_u32_e32 v3, s5, v3
	s_mov_b32 s15, 0
	s_delay_alu instid0(VALU_DEP_1) | instskip(NEXT) | instid1(VALU_DEP_1)
	v_ashrrev_i32_e32 v4, 31, v3
	v_lshlrev_b64_e32 v[7:8], 2, v[3:4]
	s_delay_alu instid0(VALU_DEP_1) | instskip(SKIP_1) | instid1(VALU_DEP_2)
	v_add_co_u32 v7, vcc_lo, s6, v7
	s_wait_alu 0xfffd
	v_add_co_ci_u32_e64 v8, null, s7, v8, vcc_lo
	global_load_b32 v1, v[7:8], off
	s_wait_loadcnt 0x0
	v_cmp_class_f16_e64 s16, v1, 0x204
	s_and_saveexec_b32 s14, s16
	s_cbranch_execz .LBB34_124
; %bb.11:                               ;   in Loop: Header=BB34_4 Depth=1
	v_lshrrev_b32_e32 v1, 16, v1
	s_mov_b32 s16, 0
	s_delay_alu instid0(VALU_DEP_1)
	v_cmp_class_f16_e64 s17, v1, 0x204
	s_and_saveexec_b32 s15, s17
	s_cbranch_execz .LBB34_123
; %bb.12:                               ;   in Loop: Header=BB34_4 Depth=1
	v_add_nc_u32_e32 v3, s5, v3
	s_mov_b32 s17, 0
	s_delay_alu instid0(VALU_DEP_1) | instskip(NEXT) | instid1(VALU_DEP_1)
	v_ashrrev_i32_e32 v4, 31, v3
	v_lshlrev_b64_e32 v[7:8], 2, v[3:4]
	s_delay_alu instid0(VALU_DEP_1) | instskip(SKIP_1) | instid1(VALU_DEP_2)
	v_add_co_u32 v7, vcc_lo, s6, v7
	s_wait_alu 0xfffd
	v_add_co_ci_u32_e64 v8, null, s7, v8, vcc_lo
	global_load_b32 v1, v[7:8], off
	s_wait_loadcnt 0x0
	v_cmp_class_f16_e64 s18, v1, 0x204
	s_and_saveexec_b32 s16, s18
	s_cbranch_execz .LBB34_122
; %bb.13:                               ;   in Loop: Header=BB34_4 Depth=1
	;; [unrolled: 22-line block ×28, first 2 shown]
	v_lshrrev_b32_e32 v1, 16, v1
	s_mov_b32 s71, 0
	s_delay_alu instid0(VALU_DEP_1)
	v_cmp_class_f16_e64 s72, v1, 0x204
	s_and_saveexec_b32 s70, s72
	s_cbranch_execz .LBB34_69
; %bb.66:                               ;   in Loop: Header=BB34_4 Depth=1
	v_add_nc_u32_e32 v3, s5, v3
	s_delay_alu instid0(VALU_DEP_1) | instskip(NEXT) | instid1(VALU_DEP_1)
	v_ashrrev_i32_e32 v4, 31, v3
	v_lshlrev_b64_e32 v[3:4], 2, v[3:4]
	s_delay_alu instid0(VALU_DEP_1) | instskip(SKIP_1) | instid1(VALU_DEP_2)
	v_add_co_u32 v3, vcc_lo, s6, v3
	s_wait_alu 0xfffd
	v_add_co_ci_u32_e64 v4, null, s7, v4, vcc_lo
	global_load_b32 v1, v[3:4], off
	s_wait_loadcnt 0x0
	v_cmp_class_f16_e64 s73, v1, 0x204
	s_and_saveexec_b32 s72, s73
; %bb.67:                               ;   in Loop: Header=BB34_4 Depth=1
	v_lshrrev_b32_e32 v1, 16, v1
	s_delay_alu instid0(VALU_DEP_1)
	v_cmp_class_f16_e64 s71, v1, 0x204
	s_and_b32 s71, s71, exec_lo
; %bb.68:                               ;   in Loop: Header=BB34_4 Depth=1
	s_or_b32 exec_lo, exec_lo, s72
	s_delay_alu instid0(SALU_CYCLE_1)
	s_and_b32 s71, s71, exec_lo
.LBB34_69:                              ;   in Loop: Header=BB34_4 Depth=1
	s_or_b32 exec_lo, exec_lo, s70
	s_delay_alu instid0(SALU_CYCLE_1)
	s_and_b32 s70, s71, exec_lo
.LBB34_70:                              ;   in Loop: Header=BB34_4 Depth=1
	s_or_b32 exec_lo, exec_lo, s69
	s_delay_alu instid0(SALU_CYCLE_1)
	s_and_b32 s69, s70, exec_lo
.LBB34_71:                              ;   in Loop: Header=BB34_4 Depth=1
	s_or_b32 exec_lo, exec_lo, s68
	s_delay_alu instid0(SALU_CYCLE_1)
	s_and_b32 s68, s69, exec_lo
.LBB34_72:                              ;   in Loop: Header=BB34_4 Depth=1
	s_or_b32 exec_lo, exec_lo, s67
	s_delay_alu instid0(SALU_CYCLE_1)
	s_and_b32 s67, s68, exec_lo
.LBB34_73:                              ;   in Loop: Header=BB34_4 Depth=1
	s_or_b32 exec_lo, exec_lo, s66
	s_delay_alu instid0(SALU_CYCLE_1)
	s_and_b32 s66, s67, exec_lo
.LBB34_74:                              ;   in Loop: Header=BB34_4 Depth=1
	s_or_b32 exec_lo, exec_lo, s65
	s_delay_alu instid0(SALU_CYCLE_1)
	s_and_b32 s65, s66, exec_lo
.LBB34_75:                              ;   in Loop: Header=BB34_4 Depth=1
	s_or_b32 exec_lo, exec_lo, s64
	s_delay_alu instid0(SALU_CYCLE_1)
	s_and_b32 s64, s65, exec_lo
.LBB34_76:                              ;   in Loop: Header=BB34_4 Depth=1
	s_or_b32 exec_lo, exec_lo, s63
	s_delay_alu instid0(SALU_CYCLE_1)
	s_and_b32 s63, s64, exec_lo
.LBB34_77:                              ;   in Loop: Header=BB34_4 Depth=1
	s_or_b32 exec_lo, exec_lo, s62
	s_delay_alu instid0(SALU_CYCLE_1)
	s_and_b32 s62, s63, exec_lo
.LBB34_78:                              ;   in Loop: Header=BB34_4 Depth=1
	s_or_b32 exec_lo, exec_lo, s61
	s_delay_alu instid0(SALU_CYCLE_1)
	s_and_b32 s61, s62, exec_lo
.LBB34_79:                              ;   in Loop: Header=BB34_4 Depth=1
	s_or_b32 exec_lo, exec_lo, s60
	s_delay_alu instid0(SALU_CYCLE_1)
	s_and_b32 s60, s61, exec_lo
.LBB34_80:                              ;   in Loop: Header=BB34_4 Depth=1
	s_or_b32 exec_lo, exec_lo, s59
	s_delay_alu instid0(SALU_CYCLE_1)
	s_and_b32 s59, s60, exec_lo
.LBB34_81:                              ;   in Loop: Header=BB34_4 Depth=1
	s_or_b32 exec_lo, exec_lo, s58
	s_delay_alu instid0(SALU_CYCLE_1)
	s_and_b32 s58, s59, exec_lo
.LBB34_82:                              ;   in Loop: Header=BB34_4 Depth=1
	s_or_b32 exec_lo, exec_lo, s57
	s_delay_alu instid0(SALU_CYCLE_1)
	s_and_b32 s57, s58, exec_lo
.LBB34_83:                              ;   in Loop: Header=BB34_4 Depth=1
	s_or_b32 exec_lo, exec_lo, s56
	s_delay_alu instid0(SALU_CYCLE_1)
	s_and_b32 s56, s57, exec_lo
.LBB34_84:                              ;   in Loop: Header=BB34_4 Depth=1
	s_or_b32 exec_lo, exec_lo, s55
	s_delay_alu instid0(SALU_CYCLE_1)
	s_and_b32 s55, s56, exec_lo
.LBB34_85:                              ;   in Loop: Header=BB34_4 Depth=1
	s_or_b32 exec_lo, exec_lo, s54
	s_delay_alu instid0(SALU_CYCLE_1)
	s_and_b32 s54, s55, exec_lo
.LBB34_86:                              ;   in Loop: Header=BB34_4 Depth=1
	s_or_b32 exec_lo, exec_lo, s53
	s_delay_alu instid0(SALU_CYCLE_1)
	s_and_b32 s53, s54, exec_lo
.LBB34_87:                              ;   in Loop: Header=BB34_4 Depth=1
	s_or_b32 exec_lo, exec_lo, s52
	s_delay_alu instid0(SALU_CYCLE_1)
	s_and_b32 s52, s53, exec_lo
.LBB34_88:                              ;   in Loop: Header=BB34_4 Depth=1
	s_or_b32 exec_lo, exec_lo, s51
	s_delay_alu instid0(SALU_CYCLE_1)
	s_and_b32 s51, s52, exec_lo
.LBB34_89:                              ;   in Loop: Header=BB34_4 Depth=1
	s_or_b32 exec_lo, exec_lo, s50
	s_delay_alu instid0(SALU_CYCLE_1)
	s_and_b32 s50, s51, exec_lo
.LBB34_90:                              ;   in Loop: Header=BB34_4 Depth=1
	s_or_b32 exec_lo, exec_lo, s49
	s_delay_alu instid0(SALU_CYCLE_1)
	s_and_b32 s49, s50, exec_lo
.LBB34_91:                              ;   in Loop: Header=BB34_4 Depth=1
	s_or_b32 exec_lo, exec_lo, s48
	s_delay_alu instid0(SALU_CYCLE_1)
	s_and_b32 s48, s49, exec_lo
.LBB34_92:                              ;   in Loop: Header=BB34_4 Depth=1
	s_or_b32 exec_lo, exec_lo, s47
	s_delay_alu instid0(SALU_CYCLE_1)
	s_and_b32 s47, s48, exec_lo
.LBB34_93:                              ;   in Loop: Header=BB34_4 Depth=1
	s_or_b32 exec_lo, exec_lo, s46
	s_delay_alu instid0(SALU_CYCLE_1)
	s_and_b32 s46, s47, exec_lo
.LBB34_94:                              ;   in Loop: Header=BB34_4 Depth=1
	s_or_b32 exec_lo, exec_lo, s45
	s_delay_alu instid0(SALU_CYCLE_1)
	s_and_b32 s45, s46, exec_lo
.LBB34_95:                              ;   in Loop: Header=BB34_4 Depth=1
	s_or_b32 exec_lo, exec_lo, s44
	s_delay_alu instid0(SALU_CYCLE_1)
	s_and_b32 s44, s45, exec_lo
.LBB34_96:                              ;   in Loop: Header=BB34_4 Depth=1
	s_or_b32 exec_lo, exec_lo, s43
	s_delay_alu instid0(SALU_CYCLE_1)
	s_and_b32 s43, s44, exec_lo
.LBB34_97:                              ;   in Loop: Header=BB34_4 Depth=1
	s_or_b32 exec_lo, exec_lo, s42
	s_delay_alu instid0(SALU_CYCLE_1)
	s_and_b32 s42, s43, exec_lo
.LBB34_98:                              ;   in Loop: Header=BB34_4 Depth=1
	s_or_b32 exec_lo, exec_lo, s41
	s_delay_alu instid0(SALU_CYCLE_1)
	s_and_b32 s41, s42, exec_lo
.LBB34_99:                              ;   in Loop: Header=BB34_4 Depth=1
	s_or_b32 exec_lo, exec_lo, s40
	s_delay_alu instid0(SALU_CYCLE_1)
	s_and_b32 s40, s41, exec_lo
.LBB34_100:                             ;   in Loop: Header=BB34_4 Depth=1
	s_or_b32 exec_lo, exec_lo, s39
	s_delay_alu instid0(SALU_CYCLE_1)
	s_and_b32 s39, s40, exec_lo
.LBB34_101:                             ;   in Loop: Header=BB34_4 Depth=1
	s_or_b32 exec_lo, exec_lo, s38
	s_delay_alu instid0(SALU_CYCLE_1)
	s_and_b32 s38, s39, exec_lo
.LBB34_102:                             ;   in Loop: Header=BB34_4 Depth=1
	s_or_b32 exec_lo, exec_lo, s37
	s_delay_alu instid0(SALU_CYCLE_1)
	s_and_b32 s37, s38, exec_lo
.LBB34_103:                             ;   in Loop: Header=BB34_4 Depth=1
	s_or_b32 exec_lo, exec_lo, s36
	s_delay_alu instid0(SALU_CYCLE_1)
	s_and_b32 s36, s37, exec_lo
.LBB34_104:                             ;   in Loop: Header=BB34_4 Depth=1
	s_or_b32 exec_lo, exec_lo, s35
	s_delay_alu instid0(SALU_CYCLE_1)
	s_and_b32 s35, s36, exec_lo
.LBB34_105:                             ;   in Loop: Header=BB34_4 Depth=1
	s_or_b32 exec_lo, exec_lo, s34
	s_delay_alu instid0(SALU_CYCLE_1)
	s_and_b32 s34, s35, exec_lo
.LBB34_106:                             ;   in Loop: Header=BB34_4 Depth=1
	s_or_b32 exec_lo, exec_lo, s33
	s_delay_alu instid0(SALU_CYCLE_1)
	s_and_b32 s33, s34, exec_lo
.LBB34_107:                             ;   in Loop: Header=BB34_4 Depth=1
	s_or_b32 exec_lo, exec_lo, s31
	s_delay_alu instid0(SALU_CYCLE_1)
	s_and_b32 s31, s33, exec_lo
.LBB34_108:                             ;   in Loop: Header=BB34_4 Depth=1
	s_or_b32 exec_lo, exec_lo, s30
	s_delay_alu instid0(SALU_CYCLE_1)
	s_and_b32 s30, s31, exec_lo
.LBB34_109:                             ;   in Loop: Header=BB34_4 Depth=1
	s_or_b32 exec_lo, exec_lo, s29
	s_delay_alu instid0(SALU_CYCLE_1)
	s_and_b32 s29, s30, exec_lo
.LBB34_110:                             ;   in Loop: Header=BB34_4 Depth=1
	s_or_b32 exec_lo, exec_lo, s28
	s_delay_alu instid0(SALU_CYCLE_1)
	s_and_b32 s28, s29, exec_lo
.LBB34_111:                             ;   in Loop: Header=BB34_4 Depth=1
	s_or_b32 exec_lo, exec_lo, s27
	s_delay_alu instid0(SALU_CYCLE_1)
	s_and_b32 s27, s28, exec_lo
.LBB34_112:                             ;   in Loop: Header=BB34_4 Depth=1
	s_or_b32 exec_lo, exec_lo, s26
	s_delay_alu instid0(SALU_CYCLE_1)
	s_and_b32 s26, s27, exec_lo
.LBB34_113:                             ;   in Loop: Header=BB34_4 Depth=1
	s_or_b32 exec_lo, exec_lo, s25
	s_delay_alu instid0(SALU_CYCLE_1)
	s_and_b32 s25, s26, exec_lo
.LBB34_114:                             ;   in Loop: Header=BB34_4 Depth=1
	s_or_b32 exec_lo, exec_lo, s24
	s_delay_alu instid0(SALU_CYCLE_1)
	s_and_b32 s24, s25, exec_lo
.LBB34_115:                             ;   in Loop: Header=BB34_4 Depth=1
	s_or_b32 exec_lo, exec_lo, s23
	s_delay_alu instid0(SALU_CYCLE_1)
	s_and_b32 s23, s24, exec_lo
.LBB34_116:                             ;   in Loop: Header=BB34_4 Depth=1
	s_or_b32 exec_lo, exec_lo, s22
	s_delay_alu instid0(SALU_CYCLE_1)
	s_and_b32 s22, s23, exec_lo
.LBB34_117:                             ;   in Loop: Header=BB34_4 Depth=1
	s_or_b32 exec_lo, exec_lo, s21
	s_delay_alu instid0(SALU_CYCLE_1)
	s_and_b32 s21, s22, exec_lo
.LBB34_118:                             ;   in Loop: Header=BB34_4 Depth=1
	s_or_b32 exec_lo, exec_lo, s20
	s_delay_alu instid0(SALU_CYCLE_1)
	s_and_b32 s20, s21, exec_lo
.LBB34_119:                             ;   in Loop: Header=BB34_4 Depth=1
	s_or_b32 exec_lo, exec_lo, s19
	s_delay_alu instid0(SALU_CYCLE_1)
	s_and_b32 s19, s20, exec_lo
.LBB34_120:                             ;   in Loop: Header=BB34_4 Depth=1
	s_or_b32 exec_lo, exec_lo, s18
	s_delay_alu instid0(SALU_CYCLE_1)
	s_and_b32 s18, s19, exec_lo
.LBB34_121:                             ;   in Loop: Header=BB34_4 Depth=1
	s_or_b32 exec_lo, exec_lo, s17
	s_delay_alu instid0(SALU_CYCLE_1)
	s_and_b32 s17, s18, exec_lo
.LBB34_122:                             ;   in Loop: Header=BB34_4 Depth=1
	s_or_b32 exec_lo, exec_lo, s16
	s_delay_alu instid0(SALU_CYCLE_1)
	s_and_b32 s16, s17, exec_lo
.LBB34_123:                             ;   in Loop: Header=BB34_4 Depth=1
	s_or_b32 exec_lo, exec_lo, s15
	s_delay_alu instid0(SALU_CYCLE_1)
	s_and_b32 s15, s16, exec_lo
.LBB34_124:                             ;   in Loop: Header=BB34_4 Depth=1
	s_or_b32 exec_lo, exec_lo, s14
	s_delay_alu instid0(SALU_CYCLE_1)
	s_and_b32 s14, s15, exec_lo
.LBB34_125:                             ;   in Loop: Header=BB34_4 Depth=1
	s_or_b32 exec_lo, exec_lo, s13
	s_delay_alu instid0(SALU_CYCLE_1)
	s_and_b32 s13, s14, exec_lo
.LBB34_126:                             ;   in Loop: Header=BB34_4 Depth=1
	s_or_b32 exec_lo, exec_lo, s12
	s_delay_alu instid0(SALU_CYCLE_1)
	s_and_b32 s12, s13, exec_lo
.LBB34_127:                             ;   in Loop: Header=BB34_4 Depth=1
	s_wait_alu 0xfffe
	s_or_b32 exec_lo, exec_lo, s11
	s_delay_alu instid0(SALU_CYCLE_1)
	s_and_b32 s11, s12, exec_lo
.LBB34_128:                             ;   in Loop: Header=BB34_4 Depth=1
	s_wait_alu 0xfffe
	s_or_b32 exec_lo, exec_lo, s10
	s_delay_alu instid0(SALU_CYCLE_1)
	s_and_b32 s10, s11, exec_lo
.LBB34_129:                             ;   in Loop: Header=BB34_4 Depth=1
	s_wait_alu 0xfffe
	s_or_b32 exec_lo, exec_lo, s9
	v_cndmask_b32_e64 v1, 0, 1, s10
	s_mov_b32 s11, exec_lo
	s_delay_alu instid0(VALU_DEP_1)
	v_cmp_ne_u32_e32 vcc_lo, 0, v1
	s_and_saveexec_b32 s9, s0
	s_cbranch_execz .LBB34_3
; %bb.130:                              ;   in Loop: Header=BB34_4 Depth=1
	s_wait_alu 0xfffe
	s_cmp_eq_u32 vcc_lo, s11
	s_cselect_b32 s10, -1, 0
	s_wait_alu 0xfffe
	v_cndmask_b32_e64 v1, 0, 1, s10
	ds_store_b32 v5, v1
	s_branch .LBB34_3
.LBB34_131:                             ;   in Loop: Header=BB34_4 Depth=1
	s_cbranch_execz .LBB34_4
.LBB34_132:
	s_mov_b32 s0, exec_lo
	v_cmpx_eq_u32_e32 0, v0
	s_cbranch_execz .LBB34_134
; %bb.133:
	s_mul_i32 s0, s1, ttmp7
	v_dual_mov_b32 v0, 0 :: v_dual_mov_b32 v1, s4
	s_add_co_i32 s0, s0, ttmp9
	s_delay_alu instid0(SALU_CYCLE_1) | instskip(NEXT) | instid1(SALU_CYCLE_1)
	s_ashr_i32 s1, s0, 31
	s_lshl_b64 s[0:1], s[0:1], 2
	s_delay_alu instid0(SALU_CYCLE_1)
	s_add_nc_u64 s[0:1], s[2:3], s[0:1]
	global_store_b32 v0, v1, s[0:1]
.LBB34_134:
	s_endpgm
	.section	.rodata,"a",@progbits
	.p2align	6, 0x0
	.amdhsa_kernel _ZL25flash_attn_mask_to_KV_maxILi32EEvPK7__half2Piiii
		.amdhsa_group_segment_fixed_size 128
		.amdhsa_private_segment_fixed_size 0
		.amdhsa_kernarg_size 288
		.amdhsa_user_sgpr_count 2
		.amdhsa_user_sgpr_dispatch_ptr 0
		.amdhsa_user_sgpr_queue_ptr 0
		.amdhsa_user_sgpr_kernarg_segment_ptr 1
		.amdhsa_user_sgpr_dispatch_id 0
		.amdhsa_user_sgpr_private_segment_size 0
		.amdhsa_wavefront_size32 1
		.amdhsa_uses_dynamic_stack 0
		.amdhsa_enable_private_segment 0
		.amdhsa_system_sgpr_workgroup_id_x 1
		.amdhsa_system_sgpr_workgroup_id_y 1
		.amdhsa_system_sgpr_workgroup_id_z 0
		.amdhsa_system_sgpr_workgroup_info 0
		.amdhsa_system_vgpr_workitem_id 0
		.amdhsa_next_free_vgpr 9
		.amdhsa_next_free_sgpr 74
		.amdhsa_reserve_vcc 1
		.amdhsa_float_round_mode_32 0
		.amdhsa_float_round_mode_16_64 0
		.amdhsa_float_denorm_mode_32 3
		.amdhsa_float_denorm_mode_16_64 3
		.amdhsa_fp16_overflow 0
		.amdhsa_workgroup_processor_mode 1
		.amdhsa_memory_ordered 1
		.amdhsa_forward_progress 1
		.amdhsa_inst_pref_size 37
		.amdhsa_round_robin_scheduling 0
		.amdhsa_exception_fp_ieee_invalid_op 0
		.amdhsa_exception_fp_denorm_src 0
		.amdhsa_exception_fp_ieee_div_zero 0
		.amdhsa_exception_fp_ieee_overflow 0
		.amdhsa_exception_fp_ieee_underflow 0
		.amdhsa_exception_fp_ieee_inexact 0
		.amdhsa_exception_int_div_zero 0
	.end_amdhsa_kernel
	.section	.text._ZL25flash_attn_mask_to_KV_maxILi32EEvPK7__half2Piiii,"axG",@progbits,_ZL25flash_attn_mask_to_KV_maxILi32EEvPK7__half2Piiii,comdat
.Lfunc_end34:
	.size	_ZL25flash_attn_mask_to_KV_maxILi32EEvPK7__half2Piiii, .Lfunc_end34-_ZL25flash_attn_mask_to_KV_maxILi32EEvPK7__half2Piiii
                                        ; -- End function
	.set _ZL25flash_attn_mask_to_KV_maxILi32EEvPK7__half2Piiii.num_vgpr, 9
	.set _ZL25flash_attn_mask_to_KV_maxILi32EEvPK7__half2Piiii.num_agpr, 0
	.set _ZL25flash_attn_mask_to_KV_maxILi32EEvPK7__half2Piiii.numbered_sgpr, 74
	.set _ZL25flash_attn_mask_to_KV_maxILi32EEvPK7__half2Piiii.num_named_barrier, 0
	.set _ZL25flash_attn_mask_to_KV_maxILi32EEvPK7__half2Piiii.private_seg_size, 0
	.set _ZL25flash_attn_mask_to_KV_maxILi32EEvPK7__half2Piiii.uses_vcc, 1
	.set _ZL25flash_attn_mask_to_KV_maxILi32EEvPK7__half2Piiii.uses_flat_scratch, 0
	.set _ZL25flash_attn_mask_to_KV_maxILi32EEvPK7__half2Piiii.has_dyn_sized_stack, 0
	.set _ZL25flash_attn_mask_to_KV_maxILi32EEvPK7__half2Piiii.has_recursion, 0
	.set _ZL25flash_attn_mask_to_KV_maxILi32EEvPK7__half2Piiii.has_indirect_call, 0
	.section	.AMDGPU.csdata,"",@progbits
; Kernel info:
; codeLenInByte = 4720
; TotalNumSgprs: 76
; NumVgprs: 9
; ScratchSize: 0
; MemoryBound: 0
; FloatMode: 240
; IeeeMode: 1
; LDSByteSize: 128 bytes/workgroup (compile time only)
; SGPRBlocks: 0
; VGPRBlocks: 1
; NumSGPRsForWavesPerEU: 76
; NumVGPRsForWavesPerEU: 9
; Occupancy: 16
; WaveLimiterHint : 0
; COMPUTE_PGM_RSRC2:SCRATCH_EN: 0
; COMPUTE_PGM_RSRC2:USER_SGPR: 2
; COMPUTE_PGM_RSRC2:TRAP_HANDLER: 0
; COMPUTE_PGM_RSRC2:TGID_X_EN: 1
; COMPUTE_PGM_RSRC2:TGID_Y_EN: 1
; COMPUTE_PGM_RSRC2:TGID_Z_EN: 0
; COMPUTE_PGM_RSRC2:TIDIG_COMP_CNT: 0
	.section	.text._ZL33flash_attn_stream_k_fixup_uniformILi64ELi32ELi2EEvPfPK15HIP_vector_typeIfLj2EEiiiiiiS1_IjLj3EES5_S5_,"axG",@progbits,_ZL33flash_attn_stream_k_fixup_uniformILi64ELi32ELi2EEvPfPK15HIP_vector_typeIfLj2EEiiiiiiS1_IjLj3EES5_S5_,comdat
	.globl	_ZL33flash_attn_stream_k_fixup_uniformILi64ELi32ELi2EEvPfPK15HIP_vector_typeIfLj2EEiiiiiiS1_IjLj3EES5_S5_ ; -- Begin function _ZL33flash_attn_stream_k_fixup_uniformILi64ELi32ELi2EEvPfPK15HIP_vector_typeIfLj2EEiiiiiiS1_IjLj3EES5_S5_
	.p2align	8
	.type	_ZL33flash_attn_stream_k_fixup_uniformILi64ELi32ELi2EEvPfPK15HIP_vector_typeIfLj2EEiiiiiiS1_IjLj3EES5_S5_,@function
_ZL33flash_attn_stream_k_fixup_uniformILi64ELi32ELi2EEvPfPK15HIP_vector_typeIfLj2EEiiiiiiS1_IjLj3EES5_S5_: ; @_ZL33flash_attn_stream_k_fixup_uniformILi64ELi32ELi2EEvPfPK15HIP_vector_typeIfLj2EEiiiiiiS1_IjLj3EES5_S5_
; %bb.0:
	s_clause 0x1
	s_load_b256 s[4:11], s[0:1], 0x1c
	s_load_b128 s[12:15], s[0:1], 0x3c
	s_wait_kmcnt 0x0
	s_mul_hi_u32 s2, s7, ttmp9
	s_delay_alu instid0(SALU_CYCLE_1) | instskip(NEXT) | instid1(SALU_CYCLE_1)
	s_add_co_i32 s2, ttmp9, s2
	s_lshr_b32 s2, s2, s8
	s_delay_alu instid0(SALU_CYCLE_1) | instskip(SKIP_2) | instid1(SALU_CYCLE_1)
	s_mul_i32 s3, s2, s9
	s_load_b64 s[8:9], s[0:1], 0x10
	s_sub_co_i32 s7, ttmp9, s3
	s_mul_hi_u32 s3, s7, s10
	s_delay_alu instid0(SALU_CYCLE_1) | instskip(NEXT) | instid1(SALU_CYCLE_1)
	s_add_co_i32 s3, s7, s3
	s_lshr_b32 s3, s3, s11
	s_delay_alu instid0(SALU_CYCLE_1) | instskip(NEXT) | instid1(SALU_CYCLE_1)
	s_mul_i32 s10, s3, s12
	s_sub_co_i32 s7, s7, s10
	s_delay_alu instid0(SALU_CYCLE_1) | instskip(NEXT) | instid1(SALU_CYCLE_1)
	s_mul_hi_u32 s10, s7, s13
	s_add_co_i32 s10, s7, s10
	s_delay_alu instid0(SALU_CYCLE_1) | instskip(NEXT) | instid1(SALU_CYCLE_1)
	s_lshr_b32 s12, s10, s14
	s_mul_i32 s10, s12, s15
	s_lshl_b32 s12, s12, 1
	s_sub_co_i32 s11, s7, s10
	s_and_b32 s7, ttmp7, 0xffff
	s_lshl_b32 s13, s11, 5
	s_lshr_b32 s10, ttmp7, 16
	s_add_co_i32 s13, s13, s7
	s_wait_kmcnt 0x0
	s_cmp_lt_i32 s13, s8
	s_cselect_b32 s13, -1, 0
	s_add_co_i32 s14, s12, s10
	s_delay_alu instid0(SALU_CYCLE_1) | instskip(SKIP_1) | instid1(SALU_CYCLE_1)
	s_cmp_lt_i32 s14, s5
	s_cselect_b32 s14, -1, 0
	s_and_b32 s13, s13, s14
	s_delay_alu instid0(SALU_CYCLE_1)
	s_and_not1_b32 vcc_lo, exec_lo, s13
	s_cbranch_vccnz .LBB35_6
; %bb.1:
	s_mul_i32 s2, s2, s8
	s_mul_i32 s5, s3, s5
	s_add_co_i32 s2, s2, s7
	s_delay_alu instid0(SALU_CYCLE_1) | instskip(NEXT) | instid1(SALU_CYCLE_1)
	s_mul_i32 s2, s2, s9
	s_add_co_i32 s8, s2, s10
	s_load_b128 s[0:3], s[0:1], 0x0
	s_add_co_i32 s5, s8, s5
	s_mul_i32 s8, s9, s11
	s_add_co_i32 s5, s5, s12
	s_lshl_b32 s8, s8, 11
	s_lshl_b32 s5, s5, 6
	s_delay_alu instid0(SALU_CYCLE_1)
	s_add_co_i32 s8, s8, s5
	s_lshl_b32 s5, s7, 1
	v_or_b32_e32 v1, s8, v0
	s_mul_i32 s8, s6, ttmp9
	s_wait_alu 0xfffe
	s_add_co_i32 s9, s8, s6
	s_wait_alu 0xfffe
	s_add_co_i32 s12, s9, -2
	v_ashrrev_i32_e32 v2, 31, v1
	s_delay_alu instid0(VALU_DEP_1) | instskip(SKIP_1) | instid1(VALU_DEP_1)
	v_lshlrev_b64_e32 v[1:2], 2, v[1:2]
	s_wait_kmcnt 0x0
	v_add_co_u32 v1, vcc_lo, s0, v1
	s_delay_alu instid0(VALU_DEP_1)
	v_add_co_ci_u32_e64 v2, null, s1, v2, vcc_lo
	s_add_co_i32 s0, s5, s10
	s_lshl_b32 s1, s9, 6
	global_load_b32 v5, v[1:2], off
	s_wait_alu 0xfffe
	s_add_co_i32 s0, s0, s1
	s_wait_alu 0xfffe
	s_sub_co_i32 s0, s0, 64
	s_wait_alu 0xfffe
	s_ashr_i32 s1, s0, 31
	s_wait_alu 0xfffe
	s_lshl_b64 s[0:1], s[0:1], 3
	s_cmp_lt_i32 s12, s8
	s_wait_alu 0xfffe
	s_add_nc_u64 s[0:1], s[2:3], s[0:1]
	s_load_b32 s11, s[0:1], 0x4
	s_cbranch_scc1 .LBB35_4
; %bb.2:
	s_load_b32 s0, s[0:1], 0x0
	s_add_co_i32 s13, ttmp9, 1
	s_lshl_b32 s12, s4, 8
	s_mul_i32 s1, s6, s13
	s_lshl_b32 s6, s7, 7
	s_lshl_b32 s7, s10, 6
	s_wait_alu 0xfffe
	s_lshl_b32 s14, s1, 12
	s_add_co_i32 s6, s7, s6
	s_lshl_b32 s1, s1, 6
	s_add_co_i32 s14, s6, s14
	s_wait_alu 0xfffe
	s_add_co_i32 s1, s10, s1
	v_or_b32_e32 v0, s14, v0
	s_lshl_b32 s4, s4, 6
	s_ashr_i32 s13, s12, 31
	s_wait_alu 0xfffe
	s_add_co_i32 s1, s1, s4
	s_wait_kmcnt 0x0
	v_dual_mov_b32 v6, s11 :: v_dual_add_nc_u32 v3, 0xffffe000, v0
	s_lshl_b64 s[6:7], s[12:13], 2
	s_wait_alu 0xfffe
	s_add_co_i32 s4, s1, s5
	s_add_nc_u64 s[6:7], s[2:3], s[6:7]
	s_add_co_i32 s1, s9, -1
	s_addk_co_i32 s4, 0xff80
.LBB35_3:                               ; =>This Inner Loop Header: Depth=1
	v_ashrrev_i32_e32 v4, 31, v3
	s_ashr_i32 s5, s4, 31
	v_mov_b32_e32 v10, v6
	s_lshl_b64 s[10:11], s[4:5], 3
	s_wait_loadcnt 0x0
	v_mov_b32_e32 v9, v5
	v_lshlrev_b64_e32 v[7:8], 2, v[3:4]
	s_wait_alu 0xfffe
	s_add_nc_u64 s[10:11], s[2:3], s[10:11]
	v_max_num_f32_e64 v4, s0, s0
	s_load_b64 s[10:11], s[10:11], 0x0
	v_add_nc_u32_e32 v3, 0xfffff000, v3
	v_add_co_u32 v7, vcc_lo, s6, v7
	s_wait_alu 0xfffd
	v_add_co_ci_u32_e64 v8, null, s7, v8, vcc_lo
	v_readfirstlane_b32 s5, v4
	global_load_b32 v0, v[7:8], off
	s_wait_kmcnt 0x0
	v_max_num_f32_e64 v4, s10, s10
	s_delay_alu instid0(VALU_DEP_1) | instskip(SKIP_1) | instid1(SALU_CYCLE_3)
	v_readfirstlane_b32 s9, v4
	s_max_num_f32 s5, s5, s9
	s_sub_f32 s0, s0, s5
	s_sub_f32 s9, s10, s5
	s_wait_alu 0xfffe
	s_delay_alu instid0(SALU_CYCLE_1) | instskip(NEXT) | instid1(SALU_CYCLE_1)
	s_mul_f32 s10, s0, 0x3fb8aa3b
	s_mul_f32 s12, s9, 0x3fb8aa3b
	s_wait_alu 0xfffe
	s_delay_alu instid0(SALU_CYCLE_1)
	s_xor_b32 s13, s10, 0x80000000
	s_rndne_f32 s14, s10
	s_fmamk_f32 s13, s0, 0x3fb8aa3b, s13
	s_cmp_nlt_f32 s0, 0xc2ce8ed0
	s_rndne_f32 s15, s12
	s_wait_alu 0xfffe
	s_sub_f32 s10, s10, s14
	s_fmamk_f32 s13, s0, 0x32a5705f, s13
	s_cvt_i32_f32 s14, s14
	s_cselect_b32 vcc_lo, -1, 0
	s_cmp_ngt_f32 s0, 0x42b17218
	s_wait_alu 0xfffe
	s_add_f32 s10, s10, s13
	s_sub_f32 s13, s12, s15
	s_wait_alu 0xfffe
	s_delay_alu instid0(SALU_CYCLE_1) | instskip(SKIP_1) | instid1(TRANS32_DEP_1)
	v_s_exp_f32 s10, s10
	s_wait_alu 0xf1ff
	v_ldexp_f32 v4, s10, s14
	s_cvt_i32_f32 s10, s15
	s_delay_alu instid0(VALU_DEP_1) | instskip(SKIP_3) | instid1(VALU_DEP_1)
	v_cndmask_b32_e32 v4, 0, v4, vcc_lo
	s_cselect_b32 vcc_lo, -1, 0
	s_cmp_ge_f32 s0, 0xc1a00000
	s_wait_alu 0xfffe
	v_cndmask_b32_e32 v4, 0x7f800000, v4, vcc_lo
	s_cselect_b32 vcc_lo, -1, 0
	s_xor_b32 s0, s12, 0x80000000
	s_cmp_nlt_f32 s9, 0xc2ce8ed0
	s_wait_alu 0xfffe
	s_fmamk_f32 s0, s9, 0x3fb8aa3b, s0
	s_wait_alu 0xfffe
	s_delay_alu instid0(SALU_CYCLE_2) | instskip(SKIP_1) | instid1(SALU_CYCLE_2)
	s_fmamk_f32 s0, s9, 0x32a5705f, s0
	s_wait_alu 0xfffe
	s_add_f32 s0, s13, s0
	s_wait_alu 0xfffe
	s_delay_alu instid0(SALU_CYCLE_2) | instskip(SKIP_1) | instid1(TRANS32_DEP_1)
	v_s_exp_f32 s0, s0
	s_wait_alu 0xf1ff
	v_ldexp_f32 v7, s0, s10
	s_cselect_b32 s0, -1, 0
	s_cmp_ngt_f32 s9, 0x42b17218
	s_wait_alu 0xfffe
	s_delay_alu instid0(VALU_DEP_1) | instskip(SKIP_3) | instid1(VALU_DEP_1)
	v_cndmask_b32_e64 v7, 0, v7, s0
	s_cselect_b32 s0, -1, 0
	s_cmp_ge_f32 s9, 0xc1a00000
	s_wait_alu 0xfffe
	v_cndmask_b32_e64 v7, 0x7f800000, v7, s0
	s_cselect_b32 s0, -1, 0
	s_add_co_i32 s1, s1, -1
	s_sub_co_i32 s4, s4, 64
	s_wait_alu 0xfffe
	s_cmp_le_i32 s1, s8
	v_cndmask_b32_e64 v7, 0, v7, s0
	s_mov_b32 s0, s5
	s_wait_loadcnt 0x0
	s_delay_alu instid0(VALU_DEP_1) | instskip(NEXT) | instid1(VALU_DEP_1)
	v_dual_mul_f32 v5, v0, v7 :: v_dual_cndmask_b32 v4, 0, v4
	v_dual_mul_f32 v8, s11, v7 :: v_dual_fmac_f32 v5, v9, v4
	s_delay_alu instid0(VALU_DEP_1) | instskip(NEXT) | instid1(VALU_DEP_1)
	v_mov_b32_e32 v6, v8
	v_fmac_f32_e32 v6, v10, v4
	s_cbranch_scc0 .LBB35_3
	s_branch .LBB35_5
.LBB35_4:
	s_wait_kmcnt 0x0
	v_mov_b32_e32 v6, s11
.LBB35_5:
	s_wait_loadcnt 0x0
	s_delay_alu instid0(VALU_DEP_1) | instskip(NEXT) | instid1(VALU_DEP_1)
	v_div_scale_f32 v0, null, v6, v6, v5
	v_rcp_f32_e32 v3, v0
	s_delay_alu instid0(TRANS32_DEP_1) | instskip(NEXT) | instid1(VALU_DEP_1)
	v_fma_f32 v4, -v0, v3, 1.0
	v_fmac_f32_e32 v3, v4, v3
	v_div_scale_f32 v4, vcc_lo, v5, v6, v5
	s_delay_alu instid0(VALU_DEP_1) | instskip(NEXT) | instid1(VALU_DEP_1)
	v_mul_f32_e32 v7, v4, v3
	v_fma_f32 v8, -v0, v7, v4
	s_delay_alu instid0(VALU_DEP_1) | instskip(NEXT) | instid1(VALU_DEP_1)
	v_fmac_f32_e32 v7, v8, v3
	v_fma_f32 v0, -v0, v7, v4
	s_wait_alu 0xfffd
	s_delay_alu instid0(VALU_DEP_1) | instskip(NEXT) | instid1(VALU_DEP_1)
	v_div_fmas_f32 v0, v0, v3, v7
	v_div_fixup_f32 v0, v0, v6, v5
	global_store_b32 v[1:2], v0, off
.LBB35_6:
	s_endpgm
	.section	.rodata,"a",@progbits
	.p2align	6, 0x0
	.amdhsa_kernel _ZL33flash_attn_stream_k_fixup_uniformILi64ELi32ELi2EEvPfPK15HIP_vector_typeIfLj2EEiiiiiiS1_IjLj3EES5_S5_
		.amdhsa_group_segment_fixed_size 0
		.amdhsa_private_segment_fixed_size 0
		.amdhsa_kernarg_size 76
		.amdhsa_user_sgpr_count 2
		.amdhsa_user_sgpr_dispatch_ptr 0
		.amdhsa_user_sgpr_queue_ptr 0
		.amdhsa_user_sgpr_kernarg_segment_ptr 1
		.amdhsa_user_sgpr_dispatch_id 0
		.amdhsa_user_sgpr_private_segment_size 0
		.amdhsa_wavefront_size32 1
		.amdhsa_uses_dynamic_stack 0
		.amdhsa_enable_private_segment 0
		.amdhsa_system_sgpr_workgroup_id_x 1
		.amdhsa_system_sgpr_workgroup_id_y 1
		.amdhsa_system_sgpr_workgroup_id_z 1
		.amdhsa_system_sgpr_workgroup_info 0
		.amdhsa_system_vgpr_workitem_id 0
		.amdhsa_next_free_vgpr 11
		.amdhsa_next_free_sgpr 16
		.amdhsa_reserve_vcc 1
		.amdhsa_float_round_mode_32 0
		.amdhsa_float_round_mode_16_64 0
		.amdhsa_float_denorm_mode_32 3
		.amdhsa_float_denorm_mode_16_64 3
		.amdhsa_fp16_overflow 0
		.amdhsa_workgroup_processor_mode 1
		.amdhsa_memory_ordered 1
		.amdhsa_forward_progress 1
		.amdhsa_inst_pref_size 9
		.amdhsa_round_robin_scheduling 0
		.amdhsa_exception_fp_ieee_invalid_op 0
		.amdhsa_exception_fp_denorm_src 0
		.amdhsa_exception_fp_ieee_div_zero 0
		.amdhsa_exception_fp_ieee_overflow 0
		.amdhsa_exception_fp_ieee_underflow 0
		.amdhsa_exception_fp_ieee_inexact 0
		.amdhsa_exception_int_div_zero 0
	.end_amdhsa_kernel
	.section	.text._ZL33flash_attn_stream_k_fixup_uniformILi64ELi32ELi2EEvPfPK15HIP_vector_typeIfLj2EEiiiiiiS1_IjLj3EES5_S5_,"axG",@progbits,_ZL33flash_attn_stream_k_fixup_uniformILi64ELi32ELi2EEvPfPK15HIP_vector_typeIfLj2EEiiiiiiS1_IjLj3EES5_S5_,comdat
.Lfunc_end35:
	.size	_ZL33flash_attn_stream_k_fixup_uniformILi64ELi32ELi2EEvPfPK15HIP_vector_typeIfLj2EEiiiiiiS1_IjLj3EES5_S5_, .Lfunc_end35-_ZL33flash_attn_stream_k_fixup_uniformILi64ELi32ELi2EEvPfPK15HIP_vector_typeIfLj2EEiiiiiiS1_IjLj3EES5_S5_
                                        ; -- End function
	.set _ZL33flash_attn_stream_k_fixup_uniformILi64ELi32ELi2EEvPfPK15HIP_vector_typeIfLj2EEiiiiiiS1_IjLj3EES5_S5_.num_vgpr, 11
	.set _ZL33flash_attn_stream_k_fixup_uniformILi64ELi32ELi2EEvPfPK15HIP_vector_typeIfLj2EEiiiiiiS1_IjLj3EES5_S5_.num_agpr, 0
	.set _ZL33flash_attn_stream_k_fixup_uniformILi64ELi32ELi2EEvPfPK15HIP_vector_typeIfLj2EEiiiiiiS1_IjLj3EES5_S5_.numbered_sgpr, 16
	.set _ZL33flash_attn_stream_k_fixup_uniformILi64ELi32ELi2EEvPfPK15HIP_vector_typeIfLj2EEiiiiiiS1_IjLj3EES5_S5_.num_named_barrier, 0
	.set _ZL33flash_attn_stream_k_fixup_uniformILi64ELi32ELi2EEvPfPK15HIP_vector_typeIfLj2EEiiiiiiS1_IjLj3EES5_S5_.private_seg_size, 0
	.set _ZL33flash_attn_stream_k_fixup_uniformILi64ELi32ELi2EEvPfPK15HIP_vector_typeIfLj2EEiiiiiiS1_IjLj3EES5_S5_.uses_vcc, 1
	.set _ZL33flash_attn_stream_k_fixup_uniformILi64ELi32ELi2EEvPfPK15HIP_vector_typeIfLj2EEiiiiiiS1_IjLj3EES5_S5_.uses_flat_scratch, 0
	.set _ZL33flash_attn_stream_k_fixup_uniformILi64ELi32ELi2EEvPfPK15HIP_vector_typeIfLj2EEiiiiiiS1_IjLj3EES5_S5_.has_dyn_sized_stack, 0
	.set _ZL33flash_attn_stream_k_fixup_uniformILi64ELi32ELi2EEvPfPK15HIP_vector_typeIfLj2EEiiiiiiS1_IjLj3EES5_S5_.has_recursion, 0
	.set _ZL33flash_attn_stream_k_fixup_uniformILi64ELi32ELi2EEvPfPK15HIP_vector_typeIfLj2EEiiiiiiS1_IjLj3EES5_S5_.has_indirect_call, 0
	.section	.AMDGPU.csdata,"",@progbits
; Kernel info:
; codeLenInByte = 1140
; TotalNumSgprs: 18
; NumVgprs: 11
; ScratchSize: 0
; MemoryBound: 0
; FloatMode: 240
; IeeeMode: 1
; LDSByteSize: 0 bytes/workgroup (compile time only)
; SGPRBlocks: 0
; VGPRBlocks: 1
; NumSGPRsForWavesPerEU: 18
; NumVGPRsForWavesPerEU: 11
; Occupancy: 16
; WaveLimiterHint : 0
; COMPUTE_PGM_RSRC2:SCRATCH_EN: 0
; COMPUTE_PGM_RSRC2:USER_SGPR: 2
; COMPUTE_PGM_RSRC2:TRAP_HANDLER: 0
; COMPUTE_PGM_RSRC2:TGID_X_EN: 1
; COMPUTE_PGM_RSRC2:TGID_Y_EN: 1
; COMPUTE_PGM_RSRC2:TGID_Z_EN: 1
; COMPUTE_PGM_RSRC2:TIDIG_COMP_CNT: 0
	.section	.text._ZL33flash_attn_stream_k_fixup_generalILi64ELi32ELi2EEvPfPK15HIP_vector_typeIfLj2EEiiiiS1_IjLj3EES5_S5_S5_,"axG",@progbits,_ZL33flash_attn_stream_k_fixup_generalILi64ELi32ELi2EEvPfPK15HIP_vector_typeIfLj2EEiiiiS1_IjLj3EES5_S5_S5_,comdat
	.globl	_ZL33flash_attn_stream_k_fixup_generalILi64ELi32ELi2EEvPfPK15HIP_vector_typeIfLj2EEiiiiS1_IjLj3EES5_S5_S5_ ; -- Begin function _ZL33flash_attn_stream_k_fixup_generalILi64ELi32ELi2EEvPfPK15HIP_vector_typeIfLj2EEiiiiS1_IjLj3EES5_S5_S5_
	.p2align	8
	.type	_ZL33flash_attn_stream_k_fixup_generalILi64ELi32ELi2EEvPfPK15HIP_vector_typeIfLj2EEiiiiS1_IjLj3EES5_S5_S5_,@function
_ZL33flash_attn_stream_k_fixup_generalILi64ELi32ELi2EEvPfPK15HIP_vector_typeIfLj2EEiiiiS1_IjLj3EES5_S5_S5_: ; @_ZL33flash_attn_stream_k_fixup_generalILi64ELi32ELi2EEvPfPK15HIP_vector_typeIfLj2EEiiiiS1_IjLj3EES5_S5_S5_
; %bb.0:
	s_clause 0x1
	s_load_b128 s[4:7], s[0:1], 0x10
	s_load_b32 s16, s[0:1], 0x50
	s_mov_b32 s2, ttmp9
	s_ashr_i32 s3, ttmp9, 31
	s_mov_b32 s17, 0
	s_delay_alu instid0(SALU_CYCLE_1) | instskip(SKIP_3) | instid1(SALU_CYCLE_1)
	s_mov_b32 s8, s17
	s_wait_kmcnt 0x0
	s_ashr_i32 s19, s7, 31
	s_mov_b32 s18, s7
	s_mul_u64 s[2:3], s[18:19], s[2:3]
	s_delay_alu instid0(SALU_CYCLE_1) | instskip(NEXT) | instid1(SALU_CYCLE_1)
	s_mov_b32 s9, s3
	s_cmp_lg_u64 s[8:9], 0
	s_cbranch_scc0 .LBB36_21
; %bb.1:
	s_add_nc_u64 s[8:9], s[16:17], 0
	s_mov_b32 s15, s17
	s_xor_b64 s[8:9], s[8:9], 0
	s_mov_b32 s23, s17
	s_cvt_f32_u32 s7, s8
	s_cvt_f32_u32 s10, s9
	s_sub_nc_u64 s[12:13], 0, s[8:9]
	s_delay_alu instid0(SALU_CYCLE_2) | instskip(NEXT) | instid1(SALU_CYCLE_3)
	s_fmamk_f32 s7, s10, 0x4f800000, s7
	v_s_rcp_f32 s7, s7
	s_delay_alu instid0(TRANS32_DEP_1) | instskip(SKIP_1) | instid1(SALU_CYCLE_2)
	s_mul_f32 s7, s7, 0x5f7ffffc
	s_wait_alu 0xfffe
	s_mul_f32 s10, s7, 0x2f800000
	s_delay_alu instid0(SALU_CYCLE_3) | instskip(NEXT) | instid1(SALU_CYCLE_3)
	s_trunc_f32 s10, s10
	s_fmamk_f32 s7, s10, 0xcf800000, s7
	s_cvt_u32_f32 s11, s10
	s_wait_alu 0xfffe
	s_delay_alu instid0(SALU_CYCLE_1) | instskip(NEXT) | instid1(SALU_CYCLE_3)
	s_cvt_u32_f32 s10, s7
	s_mul_u64 s[20:21], s[12:13], s[10:11]
	s_delay_alu instid0(SALU_CYCLE_1)
	s_mul_hi_u32 s25, s10, s21
	s_mul_i32 s24, s10, s21
	s_mul_hi_u32 s14, s10, s20
	s_mul_i32 s22, s11, s20
	s_add_nc_u64 s[14:15], s[14:15], s[24:25]
	s_mul_hi_u32 s7, s11, s20
	s_mul_hi_u32 s26, s11, s21
	s_add_co_u32 s14, s14, s22
	s_wait_alu 0xfffe
	s_add_co_ci_u32 s22, s15, s7
	s_mul_i32 s20, s11, s21
	s_add_co_ci_u32 s21, s26, 0
	s_delay_alu instid0(SALU_CYCLE_1)
	s_add_nc_u64 s[14:15], s[22:23], s[20:21]
	s_mov_b32 s21, s17
	s_add_co_u32 s10, s10, s14
	s_cselect_b32 s7, -1, 0
	s_wait_alu 0xfffe
	s_cmp_lg_u32 s7, 0
	s_add_co_ci_u32 s11, s11, s15
	s_mov_b32 s15, s17
	s_mul_u64 s[12:13], s[12:13], s[10:11]
	s_delay_alu instid0(SALU_CYCLE_1)
	s_mul_hi_u32 s23, s10, s13
	s_mul_i32 s22, s10, s13
	s_mul_hi_u32 s14, s10, s12
	s_mul_i32 s20, s11, s12
	s_add_nc_u64 s[14:15], s[14:15], s[22:23]
	s_mul_hi_u32 s7, s11, s12
	s_mul_hi_u32 s24, s11, s13
	s_mul_i32 s12, s11, s13
	s_add_co_u32 s13, s14, s20
	s_wait_alu 0xfffe
	s_add_co_ci_u32 s20, s15, s7
	s_add_co_ci_u32 s13, s24, 0
	s_mov_b32 s15, s17
	s_add_nc_u64 s[12:13], s[20:21], s[12:13]
	s_delay_alu instid0(SALU_CYCLE_1) | instskip(SKIP_1) | instid1(SALU_CYCLE_1)
	s_add_co_u32 s7, s10, s12
	s_cselect_b32 s10, -1, 0
	s_cmp_lg_u32 s10, 0
	s_add_co_ci_u32 s20, s11, s13
	s_ashr_i32 s10, s3, 31
	s_delay_alu instid0(SALU_CYCLE_1) | instskip(NEXT) | instid1(SALU_CYCLE_1)
	s_mov_b32 s11, s10
	s_add_nc_u64 s[12:13], s[2:3], s[10:11]
	s_delay_alu instid0(SALU_CYCLE_1) | instskip(NEXT) | instid1(SALU_CYCLE_1)
	s_xor_b64 s[12:13], s[12:13], s[10:11]
	s_mul_hi_u32 s23, s12, s20
	s_mul_i32 s22, s12, s20
	s_wait_alu 0xfffe
	s_mul_hi_u32 s14, s12, s7
	s_mul_hi_u32 s24, s13, s7
	s_mul_i32 s7, s13, s7
	s_add_nc_u64 s[14:15], s[14:15], s[22:23]
	s_mul_hi_u32 s3, s13, s20
	s_wait_alu 0xfffe
	s_add_co_u32 s7, s14, s7
	s_mul_i32 s22, s13, s20
	s_add_co_ci_u32 s20, s15, s24
	s_add_co_ci_u32 s23, s3, 0
	s_delay_alu instid0(SALU_CYCLE_1) | instskip(NEXT) | instid1(SALU_CYCLE_1)
	s_add_nc_u64 s[14:15], s[20:21], s[22:23]
	s_mul_u64 s[20:21], s[8:9], s[14:15]
	s_delay_alu instid0(SALU_CYCLE_1)
	s_sub_co_u32 s3, s12, s20
	s_cselect_b32 s7, -1, 0
	s_sub_co_i32 s12, s13, s21
	s_wait_alu 0xfffe
	s_cmp_lg_u32 s7, 0
	s_sub_co_ci_u32 s12, s12, s9
	s_sub_co_u32 s20, s3, s8
	s_cselect_b32 s22, -1, 0
	s_delay_alu instid0(SALU_CYCLE_1) | instskip(SKIP_2) | instid1(SALU_CYCLE_1)
	s_cmp_lg_u32 s22, 0
	s_add_nc_u64 s[22:23], s[14:15], 1
	s_sub_co_ci_u32 s12, s12, 0
	s_cmp_ge_u32 s12, s9
	s_cselect_b32 s24, -1, 0
	s_cmp_ge_u32 s20, s8
	s_cselect_b32 s20, -1, 0
	s_cmp_eq_u32 s12, s9
	s_cselect_b32 s12, s20, s24
	s_add_nc_u64 s[24:25], s[14:15], 2
	s_cmp_lg_u32 s12, 0
	s_cselect_b32 s12, s24, s22
	s_cselect_b32 s20, s25, s23
	s_cmp_lg_u32 s7, 0
	s_sub_co_ci_u32 s7, s13, s21
	s_wait_alu 0xfffe
	s_cmp_ge_u32 s7, s9
	s_cselect_b32 s13, -1, 0
	s_cmp_ge_u32 s3, s8
	s_cselect_b32 s3, -1, 0
	s_cmp_eq_u32 s7, s9
	s_cselect_b32 s3, s3, s13
	s_delay_alu instid0(SALU_CYCLE_1) | instskip(SKIP_4) | instid1(SALU_CYCLE_1)
	s_cmp_lg_u32 s3, 0
	s_mov_b32 s3, s17
	s_cselect_b32 s9, s20, s15
	s_cselect_b32 s8, s12, s14
	s_xor_b64 s[10:11], s[10:11], 0
	s_xor_b64 s[8:9], s[8:9], s[10:11]
	s_delay_alu instid0(SALU_CYCLE_1)
	s_sub_nc_u64 s[20:21], s[8:9], s[10:11]
	s_and_not1_b32 vcc_lo, exec_lo, s3
	s_cbranch_vccnz .LBB36_3
.LBB36_2:
	v_cvt_f32_u32_e32 v1, s16
	s_sub_co_i32 s7, 0, s16
	s_delay_alu instid0(VALU_DEP_1) | instskip(NEXT) | instid1(TRANS32_DEP_1)
	v_rcp_iflag_f32_e32 v1, v1
	v_mul_f32_e32 v1, 0x4f7ffffe, v1
	s_delay_alu instid0(VALU_DEP_1) | instskip(NEXT) | instid1(VALU_DEP_1)
	v_cvt_u32_f32_e32 v1, v1
	v_readfirstlane_b32 s3, v1
	s_wait_alu 0xfffe
	s_mul_i32 s7, s7, s3
	s_wait_alu 0xfffe
	s_mul_hi_u32 s7, s3, s7
	s_wait_alu 0xfffe
	s_add_co_i32 s3, s3, s7
	s_delay_alu instid0(SALU_CYCLE_1) | instskip(NEXT) | instid1(SALU_CYCLE_1)
	s_mul_hi_u32 s3, s2, s3
	s_mul_i32 s7, s3, s16
	s_wait_alu 0xfffe
	s_sub_co_i32 s2, s2, s7
	s_add_co_i32 s7, s3, 1
	s_sub_co_i32 s8, s2, s16
	s_cmp_ge_u32 s2, s16
	s_wait_alu 0xfffe
	s_cselect_b32 s3, s7, s3
	s_cselect_b32 s2, s8, s2
	s_add_co_i32 s7, s3, 1
	s_cmp_ge_u32 s2, s16
	s_wait_alu 0xfffe
	s_cselect_b32 s20, s7, s3
.LBB36_3:
	s_add_co_i32 s2, ttmp9, 1
	s_mov_b32 s8, 0
	s_ashr_i32 s3, s2, 31
	s_delay_alu instid0(SALU_CYCLE_1) | instskip(NEXT) | instid1(SALU_CYCLE_1)
	s_mul_u64 s[2:3], s[18:19], s[2:3]
	s_mov_b32 s9, s3
	s_delay_alu instid0(SALU_CYCLE_1)
	s_cmp_lg_u64 s[8:9], 0
	s_cbranch_scc0 .LBB36_22
; %bb.4:
	s_add_nc_u64 s[10:11], s[16:17], 0
	s_mov_b32 s23, s8
	s_xor_b64 s[10:11], s[10:11], 0
	s_mov_b32 s27, s8
	s_cvt_f32_u32 s7, s10
	s_cvt_f32_u32 s9, s11
	s_sub_nc_u64 s[14:15], 0, s[10:11]
	s_wait_alu 0xfffe
	s_delay_alu instid0(SALU_CYCLE_1) | instskip(SKIP_1) | instid1(SALU_CYCLE_2)
	s_fmamk_f32 s7, s9, 0x4f800000, s7
	s_wait_alu 0xfffe
	v_s_rcp_f32 s7, s7
	s_delay_alu instid0(TRANS32_DEP_1) | instskip(SKIP_1) | instid1(SALU_CYCLE_2)
	s_mul_f32 s7, s7, 0x5f7ffffc
	s_wait_alu 0xfffe
	s_mul_f32 s9, s7, 0x2f800000
	s_delay_alu instid0(SALU_CYCLE_3) | instskip(NEXT) | instid1(SALU_CYCLE_3)
	s_trunc_f32 s9, s9
	s_fmamk_f32 s7, s9, 0xcf800000, s7
	s_cvt_u32_f32 s13, s9
	s_wait_alu 0xfffe
	s_delay_alu instid0(SALU_CYCLE_1) | instskip(NEXT) | instid1(SALU_CYCLE_3)
	s_cvt_u32_f32 s12, s7
	s_mul_u64 s[24:25], s[14:15], s[12:13]
	s_delay_alu instid0(SALU_CYCLE_1)
	s_mul_hi_u32 s29, s12, s25
	s_mul_i32 s28, s12, s25
	s_mul_hi_u32 s22, s12, s24
	s_mul_i32 s9, s13, s24
	s_add_nc_u64 s[22:23], s[22:23], s[28:29]
	s_mul_hi_u32 s7, s13, s24
	s_mul_hi_u32 s21, s13, s25
	s_add_co_u32 s9, s22, s9
	s_wait_alu 0xfffe
	s_add_co_ci_u32 s26, s23, s7
	s_mul_i32 s24, s13, s25
	s_add_co_ci_u32 s25, s21, 0
	s_delay_alu instid0(SALU_CYCLE_1)
	s_add_nc_u64 s[22:23], s[26:27], s[24:25]
	s_mov_b32 s25, s8
	s_add_co_u32 s12, s12, s22
	s_cselect_b32 s7, -1, 0
	s_wait_alu 0xfffe
	s_cmp_lg_u32 s7, 0
	s_add_co_ci_u32 s13, s13, s23
	s_mov_b32 s23, s8
	s_mul_u64 s[14:15], s[14:15], s[12:13]
	s_delay_alu instid0(SALU_CYCLE_1)
	s_mul_hi_u32 s27, s12, s15
	s_mul_i32 s26, s12, s15
	s_mul_hi_u32 s22, s12, s14
	s_mul_i32 s9, s13, s14
	s_add_nc_u64 s[22:23], s[22:23], s[26:27]
	s_mul_hi_u32 s7, s13, s14
	s_mul_hi_u32 s21, s13, s15
	s_add_co_u32 s9, s22, s9
	s_wait_alu 0xfffe
	s_add_co_ci_u32 s24, s23, s7
	s_mul_i32 s14, s13, s15
	s_add_co_ci_u32 s15, s21, 0
	s_mov_b32 s23, s8
	s_add_nc_u64 s[14:15], s[24:25], s[14:15]
	s_delay_alu instid0(SALU_CYCLE_1) | instskip(SKIP_1) | instid1(SALU_CYCLE_1)
	s_add_co_u32 s7, s12, s14
	s_cselect_b32 s9, -1, 0
	s_cmp_lg_u32 s9, 0
	s_add_co_ci_u32 s9, s13, s15
	s_ashr_i32 s12, s3, 31
	s_delay_alu instid0(SALU_CYCLE_1) | instskip(NEXT) | instid1(SALU_CYCLE_1)
	s_mov_b32 s13, s12
	s_add_nc_u64 s[14:15], s[2:3], s[12:13]
	s_delay_alu instid0(SALU_CYCLE_1) | instskip(NEXT) | instid1(SALU_CYCLE_1)
	s_xor_b64 s[14:15], s[14:15], s[12:13]
	s_mul_hi_u32 s27, s14, s9
	s_mul_i32 s26, s14, s9
	s_wait_alu 0xfffe
	s_mul_hi_u32 s22, s14, s7
	s_mul_hi_u32 s21, s15, s7
	s_mul_i32 s7, s15, s7
	s_add_nc_u64 s[22:23], s[22:23], s[26:27]
	s_mul_hi_u32 s3, s15, s9
	s_wait_alu 0xfffe
	s_add_co_u32 s7, s22, s7
	s_add_co_ci_u32 s24, s23, s21
	s_mul_i32 s26, s15, s9
	s_add_co_ci_u32 s27, s3, 0
	s_delay_alu instid0(SALU_CYCLE_1) | instskip(NEXT) | instid1(SALU_CYCLE_1)
	s_add_nc_u64 s[22:23], s[24:25], s[26:27]
	s_mul_u64 s[24:25], s[10:11], s[22:23]
	s_add_nc_u64 s[26:27], s[22:23], 1
	s_sub_co_u32 s3, s14, s24
	s_cselect_b32 s7, -1, 0
	s_sub_co_i32 s9, s15, s25
	s_wait_alu 0xfffe
	s_cmp_lg_u32 s7, 0
	s_add_nc_u64 s[28:29], s[22:23], 2
	s_sub_co_ci_u32 s9, s9, s11
	s_sub_co_u32 s14, s3, s10
	s_cselect_b32 s21, -1, 0
	s_delay_alu instid0(SALU_CYCLE_1) | instskip(SKIP_1) | instid1(SALU_CYCLE_1)
	s_cmp_lg_u32 s21, 0
	s_sub_co_ci_u32 s9, s9, 0
	s_cmp_ge_u32 s9, s11
	s_cselect_b32 s21, -1, 0
	s_cmp_ge_u32 s14, s10
	s_cselect_b32 s14, -1, 0
	s_cmp_eq_u32 s9, s11
	s_cselect_b32 s9, s14, s21
	s_delay_alu instid0(SALU_CYCLE_1)
	s_cmp_lg_u32 s9, 0
	s_cselect_b32 s9, s28, s26
	s_cselect_b32 s14, s29, s27
	s_cmp_lg_u32 s7, 0
	s_sub_co_ci_u32 s7, s15, s25
	s_wait_alu 0xfffe
	s_cmp_ge_u32 s7, s11
	s_cselect_b32 s15, -1, 0
	s_cmp_ge_u32 s3, s10
	s_cselect_b32 s3, -1, 0
	s_cmp_eq_u32 s7, s11
	s_cselect_b32 s3, s3, s15
	s_delay_alu instid0(SALU_CYCLE_1) | instskip(SKIP_3) | instid1(SALU_CYCLE_1)
	s_cmp_lg_u32 s3, 0
	s_cselect_b32 s11, s14, s23
	s_cselect_b32 s10, s9, s22
	s_xor_b64 s[12:13], s[12:13], 0
	s_xor_b64 s[10:11], s[10:11], s[12:13]
	s_delay_alu instid0(SALU_CYCLE_1)
	s_sub_nc_u64 s[10:11], s[10:11], s[12:13]
	s_load_b96 s[12:14], s[0:1], 0x44
	s_and_not1_b32 vcc_lo, exec_lo, s8
	s_cbranch_vccnz .LBB36_6
.LBB36_5:
	v_cvt_f32_u32_e32 v1, s16
	s_sub_co_i32 s7, 0, s16
	s_delay_alu instid0(VALU_DEP_1) | instskip(NEXT) | instid1(TRANS32_DEP_1)
	v_rcp_iflag_f32_e32 v1, v1
	v_mul_f32_e32 v1, 0x4f7ffffe, v1
	s_delay_alu instid0(VALU_DEP_1) | instskip(NEXT) | instid1(VALU_DEP_1)
	v_cvt_u32_f32_e32 v1, v1
	v_readfirstlane_b32 s3, v1
	s_wait_alu 0xfffe
	s_mul_i32 s7, s7, s3
	s_wait_alu 0xfffe
	s_mul_hi_u32 s7, s3, s7
	s_wait_alu 0xfffe
	s_add_co_i32 s3, s3, s7
	s_delay_alu instid0(SALU_CYCLE_1) | instskip(NEXT) | instid1(SALU_CYCLE_1)
	s_mul_hi_u32 s3, s2, s3
	s_mul_i32 s7, s3, s16
	s_wait_alu 0xfffe
	s_sub_co_i32 s2, s2, s7
	s_add_co_i32 s7, s3, 1
	s_sub_co_i32 s8, s2, s16
	s_cmp_ge_u32 s2, s16
	s_wait_alu 0xfffe
	s_cselect_b32 s3, s7, s3
	s_cselect_b32 s2, s8, s2
	s_add_co_i32 s7, s3, 1
	s_cmp_ge_u32 s2, s16
	s_wait_alu 0xfffe
	s_cselect_b32 s10, s7, s3
.LBB36_6:
	s_mov_b32 s21, 0
	s_wait_kmcnt 0x0
	s_mov_b32 s22, s12
	s_mov_b32 s23, s21
	s_cmp_eq_u32 s20, s10
	s_mul_u64 s[2:3], s[20:21], s[22:23]
	s_cselect_b32 s7, -1, 0
	s_add_co_i32 s2, s3, s20
	s_mov_b32 s11, s21
	s_lshr_b32 s12, s2, s13
	s_mul_u64 s[2:3], s[10:11], s[22:23]
	s_mul_i32 s2, s12, s14
	s_delay_alu instid0(SALU_CYCLE_1) | instskip(SKIP_2) | instid1(SALU_CYCLE_1)
	s_cmp_eq_u32 s2, s20
	s_cselect_b32 s2, -1, 0
	s_add_co_i32 s3, s3, s10
	s_lshr_b32 s3, s3, s13
	s_delay_alu instid0(SALU_CYCLE_1)
	s_cmp_eq_u32 s12, s3
	s_mul_i32 s3, s3, s14
	s_cselect_b32 s8, -1, 0
	s_cmp_lg_u32 s3, s10
	s_cselect_b32 s3, -1, 0
	s_wait_alu 0xfffe
	s_or_b32 s2, s7, s2
	s_and_b32 s3, s8, s3
	s_delay_alu instid0(SALU_CYCLE_1) | instskip(NEXT) | instid1(SALU_CYCLE_1)
	s_or_b32 s2, s2, s3
	s_and_b32 vcc_lo, exec_lo, s2
	s_cbranch_vccnz .LBB36_24
; %bb.7:
	s_load_b256 s[24:31], s[0:1], 0x20
	s_mov_b32 s3, s21
	s_wait_kmcnt 0x0
	s_mov_b32 s2, s24
	s_delay_alu instid0(SALU_CYCLE_1) | instskip(NEXT) | instid1(SALU_CYCLE_1)
	s_mul_u64 s[2:3], s[20:21], s[2:3]
	s_add_co_i32 s2, s3, s20
	s_delay_alu instid0(SALU_CYCLE_1) | instskip(SKIP_2) | instid1(SALU_CYCLE_1)
	s_lshr_b32 s7, s2, s25
	s_load_b32 s2, s[0:1], 0x40
	s_mul_i32 s3, s7, s26
	s_sub_co_i32 s3, s20, s3
	s_delay_alu instid0(SALU_CYCLE_1) | instskip(NEXT) | instid1(SALU_CYCLE_1)
	s_mul_hi_u32 s8, s3, s27
	s_add_co_i32 s8, s3, s8
	s_delay_alu instid0(SALU_CYCLE_1) | instskip(NEXT) | instid1(SALU_CYCLE_1)
	s_lshr_b32 s8, s8, s28
	s_mul_i32 s9, s8, s29
	s_delay_alu instid0(SALU_CYCLE_1) | instskip(NEXT) | instid1(SALU_CYCLE_1)
	s_sub_co_i32 s9, s3, s9
	s_mul_hi_u32 s3, s9, s30
	s_delay_alu instid0(SALU_CYCLE_1) | instskip(NEXT) | instid1(SALU_CYCLE_1)
	s_add_co_i32 s3, s9, s3
	s_lshr_b32 s24, s3, s31
	s_mov_b32 s3, s21
	s_wait_kmcnt 0x0
	s_mul_i32 s2, s24, s2
	s_lshl_b32 s21, s24, 1
	s_sub_co_i32 s2, s9, s2
	s_delay_alu instid0(SALU_CYCLE_1) | instskip(SKIP_2) | instid1(SALU_CYCLE_1)
	s_mul_u64 s[10:11], s[2:3], s[22:23]
	s_lshr_b32 s3, ttmp7, 16
	s_add_co_i32 s2, s2, s11
	s_lshr_b32 s15, s2, s13
	s_and_b32 s2, ttmp7, 0xffff
	s_lshl_b32 s9, s15, 5
	s_delay_alu instid0(SALU_CYCLE_1) | instskip(NEXT) | instid1(SALU_CYCLE_1)
	s_add_co_i32 s9, s9, s2
	s_cmp_lt_i32 s9, s4
	s_cselect_b32 s9, -1, 0
	s_add_co_i32 s10, s21, s3
	s_delay_alu instid0(SALU_CYCLE_1) | instskip(SKIP_1) | instid1(SALU_CYCLE_1)
	s_cmp_lt_i32 s10, s6
	s_cselect_b32 s10, -1, 0
	s_and_b32 s9, s9, s10
	s_delay_alu instid0(SALU_CYCLE_1)
	s_and_not1_b32 vcc_lo, exec_lo, s9
	s_cbranch_vccnz .LBB36_24
; %bb.8:
	s_mul_i32 s4, s7, s4
	s_mul_i32 s6, s8, s6
	s_add_co_i32 s4, s4, s2
	s_load_b128 s[8:11], s[0:1], 0x0
	s_mul_i32 s4, s4, s5
	s_mul_i32 s1, s5, s15
	s_add_co_i32 s4, s4, s3
	s_lshl_b32 s1, s1, 11
	s_add_co_i32 s0, s4, s6
	s_lshl_b32 s15, s2, 1
	s_add_co_i32 s0, s0, s21
	s_add_co_i32 s15, s15, s3
	s_lshl_b32 s0, s0, 6
	v_cvt_f32_u32_e32 v4, s16
	s_add_co_i32 s1, s1, s0
	s_add_co_i32 s34, ttmp9, -1
	v_or_b32_e32 v1, s1, v0
	s_add_nc_u64 s[0:1], s[16:17], 0
	v_rcp_iflag_f32_e32 v4, v4
	s_wait_alu 0xfffe
	s_xor_b64 s[6:7], s[0:1], 0
	s_lshl_b32 s0, ttmp9, 6
	v_ashrrev_i32_e32 v2, 31, v1
	s_wait_alu 0xfffe
	s_cvt_f32_u32 s1, s6
	s_cvt_f32_u32 s2, s7
	s_add_co_i32 s0, s15, s0
	v_lshl_or_b32 v0, s15, 6, v0
	v_lshlrev_b64_e32 v[1:2], 2, v[1:2]
	s_wait_alu 0xfffe
	s_fmamk_f32 s2, s2, 0x4f800000, s1
	s_ashr_i32 s1, s0, 31
	s_sub_nc_u64 s[30:31], 0, s[6:7]
	s_wait_alu 0xfffe
	s_lshl_b64 s[0:1], s[0:1], 3
	v_s_rcp_f32 s2, s2
	s_wait_kmcnt 0x0
	v_add_co_u32 v1, vcc_lo, s8, v1
	s_delay_alu instid0(VALU_DEP_1)
	v_add_co_ci_u32_e64 v2, null, s9, v2, vcc_lo
	s_wait_alu 0xfffe
	s_add_nc_u64 s[0:1], s[10:11], s[0:1]
	s_mov_b32 s8, 0
	s_load_b64 s[26:27], s[0:1], 0x0
	global_load_b32 v3, v[1:2], off
	s_mul_f32 s2, s2, 0x5f7ffffc
	v_mul_f32_e32 v4, 0x4f7ffffe, v4
	s_lshl_b32 s0, s16, 8
	s_wait_alu 0xfffe
	s_mul_f32 s1, s2, 0x2f800000
	s_wait_alu 0xfffe
	s_delay_alu instid0(SALU_CYCLE_2)
	s_trunc_f32 s3, s1
	s_mov_b32 s1, s8
	s_wait_alu 0xfffe
	s_lshl_b64 s[0:1], s[0:1], 2
	s_fmamk_f32 s2, s3, 0xcf800000, s2
	s_cvt_u32_f32 s29, s3
	s_wait_alu 0xfffe
	s_add_nc_u64 s[24:25], s[10:11], s[0:1]
	s_cvt_u32_f32 s28, s2
	s_wait_kmcnt 0x0
	v_mov_b32_e32 v5, s27
	v_cvt_u32_f32_e32 v4, v4
.LBB36_9:                               ; =>This Inner Loop Header: Depth=1
	s_wait_alu 0xfffe
	s_ashr_i32 s35, s34, 31
	s_mov_b32 s2, -1
	s_wait_alu 0xfffe
	s_mul_u64 s[0:1], s[34:35], s[18:19]
                                        ; implicit-def: $sgpr38_sgpr39
	s_wait_alu 0xfffe
	s_mov_b32 s9, s1
	s_wait_alu 0xfffe
	s_cmp_lg_u64 s[8:9], 0
	s_cbranch_scc0 .LBB36_11
; %bb.10:                               ;   in Loop: Header=BB36_9 Depth=1
	s_mul_u64 s[2:3], s[30:31], s[28:29]
	s_mov_b32 s37, s8
	s_wait_alu 0xfffe
	s_mul_hi_u32 s5, s28, s3
	s_mul_i32 s4, s28, s3
	s_mul_hi_u32 s36, s28, s2
	s_mul_hi_u32 s9, s29, s2
	s_wait_alu 0xfffe
	s_add_nc_u64 s[4:5], s[36:37], s[4:5]
	s_mul_i32 s2, s29, s2
	s_mul_hi_u32 s17, s29, s3
	s_wait_alu 0xfffe
	s_add_co_u32 s2, s4, s2
	s_add_co_ci_u32 s2, s5, s9
	s_add_co_ci_u32 s5, s17, 0
	s_mul_i32 s4, s29, s3
	s_mov_b32 s3, s8
	s_mov_b32 s39, s8
	s_wait_alu 0xfffe
	s_add_nc_u64 s[2:3], s[2:3], s[4:5]
	s_wait_alu 0xfffe
	s_add_co_u32 s2, s28, s2
	s_cselect_b32 s4, -1, 0
	s_wait_alu 0xfffe
	s_cmp_lg_u32 s4, 0
	s_add_co_ci_u32 s3, s29, s3
	s_wait_alu 0xfffe
	s_mul_u64 s[4:5], s[30:31], s[2:3]
	s_wait_alu 0xfffe
	s_mul_hi_u32 s37, s2, s5
	s_mul_i32 s36, s2, s5
	s_mul_hi_u32 s38, s2, s4
	s_mul_hi_u32 s9, s3, s4
	s_mul_i32 s4, s3, s4
	s_wait_alu 0xfffe
	s_add_nc_u64 s[36:37], s[38:39], s[36:37]
	s_mul_hi_u32 s17, s3, s5
	s_wait_alu 0xfffe
	s_add_co_u32 s4, s36, s4
	s_add_co_ci_u32 s4, s37, s9
	s_add_co_ci_u32 s37, s17, 0
	s_mul_i32 s36, s3, s5
	s_mov_b32 s5, s8
	s_wait_alu 0xfffe
	s_add_nc_u64 s[4:5], s[4:5], s[36:37]
	s_mov_b32 s37, s8
	s_wait_alu 0xfffe
	s_add_co_u32 s9, s2, s4
	s_cselect_b32 s2, -1, 0
	s_wait_alu 0xfffe
	s_cmp_lg_u32 s2, 0
	s_add_co_ci_u32 s17, s3, s5
	s_ashr_i32 s2, s1, 31
	s_wait_alu 0xfffe
	s_mov_b32 s3, s2
	s_wait_alu 0xfffe
	s_add_nc_u64 s[4:5], s[0:1], s[2:3]
	s_wait_alu 0xfffe
	s_xor_b64 s[4:5], s[4:5], s[2:3]
	s_wait_alu 0xfffe
	s_mul_hi_u32 s39, s4, s17
	s_mul_i32 s38, s4, s17
	s_mul_hi_u32 s36, s4, s9
	s_mul_i32 s21, s5, s9
	s_wait_alu 0xfffe
	s_add_nc_u64 s[36:37], s[36:37], s[38:39]
	s_mul_hi_u32 s9, s5, s9
	s_mul_hi_u32 s1, s5, s17
	s_wait_alu 0xfffe
	s_add_co_u32 s21, s36, s21
	s_add_co_ci_u32 s36, s37, s9
	s_add_co_ci_u32 s39, s1, 0
	s_mul_i32 s38, s5, s17
	s_mov_b32 s37, s8
	s_wait_alu 0xfffe
	s_add_nc_u64 s[36:37], s[36:37], s[38:39]
	s_wait_alu 0xfffe
	s_mul_u64 s[38:39], s[6:7], s[36:37]
	s_add_nc_u64 s[40:41], s[36:37], 1
	s_sub_co_u32 s1, s4, s38
	s_cselect_b32 s4, -1, 0
	s_sub_co_i32 s9, s5, s39
	s_wait_alu 0xfffe
	s_cmp_lg_u32 s4, 0
	s_add_nc_u64 s[42:43], s[36:37], 2
	s_sub_co_ci_u32 s9, s9, s7
	s_sub_co_u32 s17, s1, s6
	s_cselect_b32 s21, -1, 0
	s_delay_alu instid0(SALU_CYCLE_1)
	s_cmp_lg_u32 s21, 0
	s_wait_alu 0xfffe
	s_sub_co_ci_u32 s9, s9, 0
	s_wait_alu 0xfffe
	s_cmp_ge_u32 s9, s7
	s_cselect_b32 s21, -1, 0
	s_cmp_ge_u32 s17, s6
	s_cselect_b32 s17, -1, 0
	s_cmp_eq_u32 s9, s7
	s_wait_alu 0xfffe
	s_cselect_b32 s9, s17, s21
	s_wait_alu 0xfffe
	s_cmp_lg_u32 s9, 0
	s_cselect_b32 s9, s42, s40
	s_cselect_b32 s17, s43, s41
	s_cmp_lg_u32 s4, 0
	s_sub_co_ci_u32 s4, s5, s39
	s_wait_alu 0xfffe
	s_cmp_ge_u32 s4, s7
	s_cselect_b32 s5, -1, 0
	s_cmp_ge_u32 s1, s6
	s_cselect_b32 s1, -1, 0
	s_cmp_eq_u32 s4, s7
	s_wait_alu 0xfffe
	s_cselect_b32 s1, s1, s5
	s_wait_alu 0xfffe
	s_cmp_lg_u32 s1, 0
	s_cselect_b32 s5, s17, s37
	s_cselect_b32 s4, s9, s36
	s_xor_b64 s[2:3], s[2:3], 0
	s_wait_alu 0xfffe
	s_xor_b64 s[4:5], s[4:5], s[2:3]
	s_wait_alu 0xfffe
	s_sub_nc_u64 s[38:39], s[4:5], s[2:3]
	s_mov_b32 s2, 0
.LBB36_11:                              ;   in Loop: Header=BB36_9 Depth=1
	s_wait_alu 0xfffe
	s_and_not1_b32 vcc_lo, exec_lo, s2
	s_wait_alu 0xfffe
	s_cbranch_vccnz .LBB36_13
; %bb.12:                               ;   in Loop: Header=BB36_9 Depth=1
	v_readfirstlane_b32 s1, v4
	s_sub_co_i32 s2, 0, s16
	s_wait_alu 0xfffe
	s_mul_i32 s2, s2, s1
	s_wait_alu 0xfffe
	s_mul_hi_u32 s2, s1, s2
	s_wait_alu 0xfffe
	s_add_co_i32 s1, s1, s2
	s_wait_alu 0xfffe
	s_mul_hi_u32 s1, s0, s1
	s_wait_alu 0xfffe
	s_mul_i32 s2, s1, s16
	s_wait_alu 0xfffe
	s_sub_co_i32 s0, s0, s2
	s_add_co_i32 s2, s1, 1
	s_wait_alu 0xfffe
	s_sub_co_i32 s3, s0, s16
	s_cmp_ge_u32 s0, s16
	s_cselect_b32 s1, s2, s1
	s_wait_alu 0xfffe
	s_cselect_b32 s0, s3, s0
	s_add_co_i32 s2, s1, 1
	s_wait_alu 0xfffe
	s_cmp_ge_u32 s0, s16
	s_cselect_b32 s38, s2, s1
.LBB36_13:                              ;   in Loop: Header=BB36_9 Depth=1
	v_readfirstlane_b32 s9, v0
	s_cmp_lg_u32 s20, s38
	s_mov_b32 s0, -1
                                        ; implicit-def: $sgpr21
                                        ; implicit-def: $vgpr6
                                        ; implicit-def: $vgpr7
                                        ; implicit-def: $sgpr17
                                        ; implicit-def: $sgpr27
	s_cbranch_scc1 .LBB36_16
; %bb.14:                               ;   in Loop: Header=BB36_9 Depth=1
	s_wait_alu 0xfffe
	s_and_not1_b32 vcc_lo, exec_lo, s0
	s_wait_alu 0xfffe
	s_cbranch_vccz .LBB36_19
.LBB36_15:                              ;   in Loop: Header=BB36_9 Depth=1
	s_and_not1_b32 vcc_lo, exec_lo, s21
	s_wait_alu 0xfffe
	s_cbranch_vccnz .LBB36_20
	s_branch .LBB36_23
.LBB36_16:                              ;   in Loop: Header=BB36_9 Depth=1
	s_add_co_i32 s0, s34, s16
	s_mov_b32 s1, s8
	s_wait_alu 0xfffe
	s_lshl_b32 s0, s0, 6
	v_max_num_f32_e64 v6, s26, s26
	s_wait_alu 0xfffe
	s_add_co_i32 s0, s0, s15
	s_mov_b32 s39, s8
	s_wait_alu 0xfffe
	s_lshl_b64 s[0:1], s[0:1], 3
	s_mul_u64 s[40:41], s[38:39], s[22:23]
	s_wait_alu 0xfffe
	s_add_nc_u64 s[0:1], s[10:11], s[0:1]
	s_mov_b32 s27, s20
	s_load_b64 s[36:37], s[0:1], 0x0
	v_readfirstlane_b32 s0, v6
	s_wait_kmcnt 0x0
	v_max_num_f32_e64 v7, s36, s36
	s_delay_alu instid0(VALU_DEP_1) | instskip(SKIP_2) | instid1(SALU_CYCLE_2)
	v_readfirstlane_b32 s1, v7
	s_max_num_f32 s9, s0, s1
	s_wait_alu 0xfffe
	s_sub_f32 s33, s26, s9
	s_sub_f32 s35, s36, s9
	s_wait_alu 0xfffe
	s_delay_alu instid0(SALU_CYCLE_1)
	s_cmp_nlt_f32 s33, 0xc2ce8ed0
	s_cselect_b32 s0, -1, 0
	s_cmp_ngt_f32 s33, 0x42b17218
	s_cselect_b32 s1, -1, 0
	s_cmp_ge_f32 s33, 0xc1a00000
	s_cselect_b32 s2, -1, 0
	s_cmp_nlt_f32 s35, 0xc2ce8ed0
	s_cselect_b32 s3, -1, 0
	s_cmp_ngt_f32 s35, 0x42b17218
	s_cselect_b32 s4, -1, 0
	s_cmp_ge_f32 s35, 0xc1a00000
	s_cselect_b32 s5, -1, 0
	s_add_co_i32 s17, s41, s38
	s_wait_alu 0xfffe
	s_lshr_b32 s17, s17, s13
	s_wait_alu 0xfffe
	s_mul_i32 s21, s17, s14
	s_delay_alu instid0(SALU_CYCLE_1)
	s_cmp_eq_u32 s21, s38
	s_cselect_b32 s21, -1, 0
	s_cmp_lt_u32 s17, s12
	s_cselect_b32 s17, -1, 0
	s_wait_alu 0xfffe
	s_or_b32 s17, s17, s21
	s_mov_b32 s21, -1
	s_wait_alu 0xfffe
	s_and_b32 vcc_lo, exec_lo, s17
	s_mov_b32 s17, s34
	s_wait_alu 0xfffe
	s_cbranch_vccnz .LBB36_18
; %bb.17:                               ;   in Loop: Header=BB36_9 Depth=1
	s_add_co_i32 s17, s34, -1
	s_mov_b32 s21, 0
	s_mov_b32 s27, s38
.LBB36_18:                              ;   in Loop: Header=BB36_9 Depth=1
	v_lshl_add_u32 v6, s34, 12, v0
	s_mul_f32 s36, s35, 0x3fb8aa3b
	s_mul_f32 s38, s33, 0x3fb8aa3b
	s_wait_alu 0xfffe
	s_delay_alu instid0(SALU_CYCLE_1)
	s_xor_b32 s39, s36, 0x80000000
	v_ashrrev_i32_e32 v7, 31, v6
	s_rndne_f32 s40, s36
	s_fmamk_f32 s39, s35, 0x3fb8aa3b, s39
	s_xor_b32 s41, s38, 0x80000000
	s_rndne_f32 s42, s38
	v_lshlrev_b64_e32 v[6:7], 2, v[6:7]
	s_sub_f32 s36, s36, s40
	s_fmamk_f32 s35, s35, 0x32a5705f, s39
	s_fmamk_f32 s39, s33, 0x3fb8aa3b, s41
	s_sub_f32 s38, s38, s42
	s_delay_alu instid0(VALU_DEP_1)
	v_add_co_u32 v6, vcc_lo, s24, v6
	s_wait_alu 0xfffd
	v_add_co_ci_u32_e64 v7, null, s25, v7, vcc_lo
	s_wait_alu 0xfffe
	s_add_f32 s35, s36, s35
	s_fmamk_f32 s33, s33, 0x32a5705f, s39
	s_cvt_i32_f32 s36, s40
	global_load_b32 v6, v[6:7], off
	s_wait_alu 0xfffe
	v_s_exp_f32 s35, s35
	s_add_f32 s33, s38, s33
	s_wait_alu 0xfffe
	s_delay_alu instid0(SALU_CYCLE_2) | instskip(NEXT) | instid1(TRANS32_DEP_2)
	v_s_exp_f32 s33, s33
	v_ldexp_f32 v7, s35, s36
	s_cvt_i32_f32 s35, s42
	s_wait_alu 0xf1fe
	s_delay_alu instid0(TRANS32_DEP_1) | instid1(SALU_CYCLE_2)
	v_ldexp_f32 v8, s33, s35
	s_delay_alu instid0(VALU_DEP_2) | instskip(NEXT) | instid1(VALU_DEP_2)
	v_cndmask_b32_e64 v7, 0, v7, s3
	v_cndmask_b32_e64 v8, 0, v8, s0
	s_delay_alu instid0(VALU_DEP_2) | instskip(NEXT) | instid1(VALU_DEP_2)
	v_cndmask_b32_e64 v7, 0x7f800000, v7, s4
	v_cndmask_b32_e64 v8, 0x7f800000, v8, s1
	;; [unrolled: 3-line block ×3, first 2 shown]
	s_wait_loadcnt 0x0
	s_delay_alu instid0(VALU_DEP_2) | instskip(SKIP_1) | instid1(VALU_DEP_1)
	v_mul_f32_e32 v6, v6, v7
	v_mul_f32_e32 v7, s37, v7
	v_fmac_f32_e32 v7, v5, v8
	s_delay_alu instid0(VALU_DEP_3)
	v_fmac_f32_e32 v6, v3, v8
	s_cbranch_execnz .LBB36_15
.LBB36_19:                              ;   in Loop: Header=BB36_9 Depth=1
	s_wait_loadcnt 0x0
	v_dual_mov_b32 v7, v5 :: v_dual_mov_b32 v6, v3
	s_add_co_i32 s17, s34, -1
	s_mov_b32 s27, s20
	s_mov_b32 s9, s26
	s_cbranch_execz .LBB36_23
.LBB36_20:                              ;   in Loop: Header=BB36_9 Depth=1
	v_mov_b32_e32 v5, v7
	s_wait_loadcnt 0x0
	v_mov_b32_e32 v3, v6
	s_wait_alu 0xfffe
	s_mov_b32 s20, s27
	s_mov_b32 s34, s17
	;; [unrolled: 1-line block ×3, first 2 shown]
	s_branch .LBB36_9
.LBB36_21:
                                        ; implicit-def: $sgpr20_sgpr21
	s_branch .LBB36_2
.LBB36_22:
                                        ; implicit-def: $sgpr10_sgpr11
	s_load_b96 s[12:14], s[0:1], 0x44
	s_branch .LBB36_5
.LBB36_23:
	v_div_scale_f32 v0, null, v7, v7, v6
	s_wait_loadcnt 0x0
	s_delay_alu instid0(VALU_DEP_1) | instskip(NEXT) | instid1(TRANS32_DEP_1)
	v_rcp_f32_e32 v3, v0
	v_fma_f32 v4, -v0, v3, 1.0
	s_delay_alu instid0(VALU_DEP_1) | instskip(SKIP_1) | instid1(VALU_DEP_1)
	v_fmac_f32_e32 v3, v4, v3
	v_div_scale_f32 v4, vcc_lo, v6, v7, v6
	v_mul_f32_e32 v5, v4, v3
	s_delay_alu instid0(VALU_DEP_1) | instskip(NEXT) | instid1(VALU_DEP_1)
	v_fma_f32 v8, -v0, v5, v4
	v_fmac_f32_e32 v5, v8, v3
	s_delay_alu instid0(VALU_DEP_1) | instskip(SKIP_1) | instid1(VALU_DEP_1)
	v_fma_f32 v0, -v0, v5, v4
	s_wait_alu 0xfffd
	v_div_fmas_f32 v0, v0, v3, v5
	s_delay_alu instid0(VALU_DEP_1)
	v_div_fixup_f32 v0, v0, v7, v6
	global_store_b32 v[1:2], v0, off
.LBB36_24:
	s_endpgm
	.section	.rodata,"a",@progbits
	.p2align	6, 0x0
	.amdhsa_kernel _ZL33flash_attn_stream_k_fixup_generalILi64ELi32ELi2EEvPfPK15HIP_vector_typeIfLj2EEiiiiS1_IjLj3EES5_S5_S5_
		.amdhsa_group_segment_fixed_size 0
		.amdhsa_private_segment_fixed_size 0
		.amdhsa_kernarg_size 336
		.amdhsa_user_sgpr_count 2
		.amdhsa_user_sgpr_dispatch_ptr 0
		.amdhsa_user_sgpr_queue_ptr 0
		.amdhsa_user_sgpr_kernarg_segment_ptr 1
		.amdhsa_user_sgpr_dispatch_id 0
		.amdhsa_user_sgpr_private_segment_size 0
		.amdhsa_wavefront_size32 1
		.amdhsa_uses_dynamic_stack 0
		.amdhsa_enable_private_segment 0
		.amdhsa_system_sgpr_workgroup_id_x 1
		.amdhsa_system_sgpr_workgroup_id_y 1
		.amdhsa_system_sgpr_workgroup_id_z 1
		.amdhsa_system_sgpr_workgroup_info 0
		.amdhsa_system_vgpr_workitem_id 0
		.amdhsa_next_free_vgpr 9
		.amdhsa_next_free_sgpr 44
		.amdhsa_reserve_vcc 1
		.amdhsa_float_round_mode_32 0
		.amdhsa_float_round_mode_16_64 0
		.amdhsa_float_denorm_mode_32 3
		.amdhsa_float_denorm_mode_16_64 3
		.amdhsa_fp16_overflow 0
		.amdhsa_workgroup_processor_mode 1
		.amdhsa_memory_ordered 1
		.amdhsa_forward_progress 1
		.amdhsa_inst_pref_size 28
		.amdhsa_round_robin_scheduling 0
		.amdhsa_exception_fp_ieee_invalid_op 0
		.amdhsa_exception_fp_denorm_src 0
		.amdhsa_exception_fp_ieee_div_zero 0
		.amdhsa_exception_fp_ieee_overflow 0
		.amdhsa_exception_fp_ieee_underflow 0
		.amdhsa_exception_fp_ieee_inexact 0
		.amdhsa_exception_int_div_zero 0
	.end_amdhsa_kernel
	.section	.text._ZL33flash_attn_stream_k_fixup_generalILi64ELi32ELi2EEvPfPK15HIP_vector_typeIfLj2EEiiiiS1_IjLj3EES5_S5_S5_,"axG",@progbits,_ZL33flash_attn_stream_k_fixup_generalILi64ELi32ELi2EEvPfPK15HIP_vector_typeIfLj2EEiiiiS1_IjLj3EES5_S5_S5_,comdat
.Lfunc_end36:
	.size	_ZL33flash_attn_stream_k_fixup_generalILi64ELi32ELi2EEvPfPK15HIP_vector_typeIfLj2EEiiiiS1_IjLj3EES5_S5_S5_, .Lfunc_end36-_ZL33flash_attn_stream_k_fixup_generalILi64ELi32ELi2EEvPfPK15HIP_vector_typeIfLj2EEiiiiS1_IjLj3EES5_S5_S5_
                                        ; -- End function
	.set _ZL33flash_attn_stream_k_fixup_generalILi64ELi32ELi2EEvPfPK15HIP_vector_typeIfLj2EEiiiiS1_IjLj3EES5_S5_S5_.num_vgpr, 9
	.set _ZL33flash_attn_stream_k_fixup_generalILi64ELi32ELi2EEvPfPK15HIP_vector_typeIfLj2EEiiiiS1_IjLj3EES5_S5_S5_.num_agpr, 0
	.set _ZL33flash_attn_stream_k_fixup_generalILi64ELi32ELi2EEvPfPK15HIP_vector_typeIfLj2EEiiiiS1_IjLj3EES5_S5_S5_.numbered_sgpr, 44
	.set _ZL33flash_attn_stream_k_fixup_generalILi64ELi32ELi2EEvPfPK15HIP_vector_typeIfLj2EEiiiiS1_IjLj3EES5_S5_S5_.num_named_barrier, 0
	.set _ZL33flash_attn_stream_k_fixup_generalILi64ELi32ELi2EEvPfPK15HIP_vector_typeIfLj2EEiiiiS1_IjLj3EES5_S5_S5_.private_seg_size, 0
	.set _ZL33flash_attn_stream_k_fixup_generalILi64ELi32ELi2EEvPfPK15HIP_vector_typeIfLj2EEiiiiS1_IjLj3EES5_S5_S5_.uses_vcc, 1
	.set _ZL33flash_attn_stream_k_fixup_generalILi64ELi32ELi2EEvPfPK15HIP_vector_typeIfLj2EEiiiiS1_IjLj3EES5_S5_S5_.uses_flat_scratch, 0
	.set _ZL33flash_attn_stream_k_fixup_generalILi64ELi32ELi2EEvPfPK15HIP_vector_typeIfLj2EEiiiiS1_IjLj3EES5_S5_S5_.has_dyn_sized_stack, 0
	.set _ZL33flash_attn_stream_k_fixup_generalILi64ELi32ELi2EEvPfPK15HIP_vector_typeIfLj2EEiiiiS1_IjLj3EES5_S5_S5_.has_recursion, 0
	.set _ZL33flash_attn_stream_k_fixup_generalILi64ELi32ELi2EEvPfPK15HIP_vector_typeIfLj2EEiiiiS1_IjLj3EES5_S5_S5_.has_indirect_call, 0
	.section	.AMDGPU.csdata,"",@progbits
; Kernel info:
; codeLenInByte = 3548
; TotalNumSgprs: 46
; NumVgprs: 9
; ScratchSize: 0
; MemoryBound: 0
; FloatMode: 240
; IeeeMode: 1
; LDSByteSize: 0 bytes/workgroup (compile time only)
; SGPRBlocks: 0
; VGPRBlocks: 1
; NumSGPRsForWavesPerEU: 46
; NumVGPRsForWavesPerEU: 9
; Occupancy: 16
; WaveLimiterHint : 0
; COMPUTE_PGM_RSRC2:SCRATCH_EN: 0
; COMPUTE_PGM_RSRC2:USER_SGPR: 2
; COMPUTE_PGM_RSRC2:TRAP_HANDLER: 0
; COMPUTE_PGM_RSRC2:TGID_X_EN: 1
; COMPUTE_PGM_RSRC2:TGID_Y_EN: 1
; COMPUTE_PGM_RSRC2:TGID_Z_EN: 1
; COMPUTE_PGM_RSRC2:TIDIG_COMP_CNT: 0
	.section	.text._ZL15flash_attn_tileILi64ELi64ELi16ELi2ELb0EEvPKcS1_S1_S1_S1_PKiPfP15HIP_vector_typeIfLj2EEffffjfiS5_IjLj3EEiiiiiiiiiiiliiliiiiil,"axG",@progbits,_ZL15flash_attn_tileILi64ELi64ELi16ELi2ELb0EEvPKcS1_S1_S1_S1_PKiPfP15HIP_vector_typeIfLj2EEffffjfiS5_IjLj3EEiiiiiiiiiiiliiliiiiil,comdat
	.globl	_ZL15flash_attn_tileILi64ELi64ELi16ELi2ELb0EEvPKcS1_S1_S1_S1_PKiPfP15HIP_vector_typeIfLj2EEffffjfiS5_IjLj3EEiiiiiiiiiiiliiliiiiil ; -- Begin function _ZL15flash_attn_tileILi64ELi64ELi16ELi2ELb0EEvPKcS1_S1_S1_S1_PKiPfP15HIP_vector_typeIfLj2EEffffjfiS5_IjLj3EEiiiiiiiiiiiliiliiiiil
	.p2align	8
	.type	_ZL15flash_attn_tileILi64ELi64ELi16ELi2ELb0EEvPKcS1_S1_S1_S1_PKiPfP15HIP_vector_typeIfLj2EEffffjfiS5_IjLj3EEiiiiiiiiiiiliiliiiiil,@function
_ZL15flash_attn_tileILi64ELi64ELi16ELi2ELb0EEvPKcS1_S1_S1_S1_PKiPfP15HIP_vector_typeIfLj2EEffffjfiS5_IjLj3EEiiiiiiiiiiiliiliiiiil: ; @_ZL15flash_attn_tileILi64ELi64ELi16ELi2ELb0EEvPKcS1_S1_S1_S1_PKiPfP15HIP_vector_typeIfLj2EEffffjfiS5_IjLj3EEiiiiiiiiiiiliiliiiiil
; %bb.0:
	s_clause 0x1
	s_load_b128 s[20:23], s[0:1], 0x5c
	s_load_b64 s[30:31], s[0:1], 0x80
	s_lshr_b32 s5, ttmp7, 16
	s_load_b64 s[38:39], s[0:1], 0xb8
	s_mov_b32 s37, 0
	s_mov_b64 s[34:35], 0
	s_wait_kmcnt 0x0
	s_lshr_b32 s2, s23, 31
	s_delay_alu instid0(SALU_CYCLE_1) | instskip(NEXT) | instid1(SALU_CYCLE_1)
	s_add_co_i32 s2, s23, s2
	s_ashr_i32 s2, s2, 1
	s_delay_alu instid0(SALU_CYCLE_1) | instskip(SKIP_1) | instid1(SALU_CYCLE_2)
	s_cvt_f32_u32 s3, s2
	s_sub_co_i32 s4, 0, s2
	v_rcp_iflag_f32_e32 v1, s3
	s_delay_alu instid0(TRANS32_DEP_1) | instskip(SKIP_2) | instid1(SALU_CYCLE_2)
	v_readfirstlane_b32 s3, v1
	s_mul_f32 s3, s3, 0x4f7ffffe
	s_wait_alu 0xfffe
	s_cvt_u32_f32 s3, s3
	s_wait_alu 0xfffe
	s_delay_alu instid0(SALU_CYCLE_2) | instskip(NEXT) | instid1(SALU_CYCLE_1)
	s_mul_i32 s4, s4, s3
	s_mul_hi_u32 s4, s3, s4
	s_delay_alu instid0(SALU_CYCLE_1)
	s_add_co_i32 s3, s3, s4
	s_wait_alu 0xfffe
	s_mul_hi_u32 s3, s5, s3
	s_wait_alu 0xfffe
	s_mul_i32 s4, s3, s2
	s_add_co_i32 s6, s3, 1
	s_sub_co_i32 s4, s5, s4
	s_delay_alu instid0(SALU_CYCLE_1)
	s_sub_co_i32 s7, s4, s2
	s_cmp_ge_u32 s4, s2
	s_cselect_b32 s3, s6, s3
	s_cselect_b32 s4, s7, s4
	s_wait_alu 0xfffe
	s_add_co_i32 s6, s3, 1
	s_cmp_ge_u32 s4, s2
	s_cselect_b32 s28, s6, s3
	s_abs_i32 s3, s31
	s_abs_i32 s7, s23
	s_wait_alu 0xfffe
	s_cvt_f32_u32 s2, s3
	s_sub_co_i32 s4, 0, s3
	s_lshl_b32 s5, s5, 1
	s_mul_i32 s6, s28, s23
	s_wait_alu 0xfffe
	v_rcp_iflag_f32_e32 v1, s2
	s_delay_alu instid0(TRANS32_DEP_1) | instskip(SKIP_2) | instid1(SALU_CYCLE_2)
	v_readfirstlane_b32 s2, v1
	s_mul_f32 s2, s2, 0x4f7ffffe
	s_wait_alu 0xfffe
	s_cvt_u32_f32 s2, s2
	s_wait_alu 0xfffe
	s_delay_alu instid0(SALU_CYCLE_2) | instskip(NEXT) | instid1(SALU_CYCLE_1)
	s_mul_i32 s4, s4, s2
	s_mul_hi_u32 s4, s2, s4
	s_delay_alu instid0(SALU_CYCLE_1)
	s_add_co_i32 s4, s2, s4
	s_sub_co_i32 s2, s5, s6
	s_mul_hi_u32 s4, s7, s4
	s_xor_b32 s5, s23, s31
	s_mul_i32 s6, s4, s3
	s_ashr_i32 s24, s5, 31
	s_sub_co_i32 s5, s7, s6
	s_add_co_i32 s6, s4, 1
	s_sub_co_i32 s7, s5, s3
	s_cmp_ge_u32 s5, s3
	s_cselect_b32 s4, s6, s4
	s_cselect_b32 s5, s7, s5
	s_add_co_i32 s6, s4, 1
	s_cmp_ge_u32 s5, s3
	s_cselect_b32 s3, s6, s4
	s_load_b512 s[4:19], s[0:1], 0x0
	s_xor_b32 s3, s3, s24
	s_wait_alu 0xfffe
	s_sub_co_i32 s33, s3, s24
	s_delay_alu instid0(SALU_CYCLE_1) | instskip(SKIP_2) | instid1(SALU_CYCLE_3)
	s_abs_i32 s3, s33
	s_wait_alu 0xfffe
	s_cvt_f32_u32 s24, s3
	v_rcp_iflag_f32_e32 v1, s24
	s_wait_kmcnt 0x0
	s_cmp_eq_u64 s[10:11], 0
	s_delay_alu instid0(TRANS32_DEP_1)
	v_readfirstlane_b32 s27, v1
	s_cbranch_scc1 .LBB37_2
; %bb.1:
	s_abs_i32 s26, s38
	s_delay_alu instid0(SALU_CYCLE_1) | instskip(SKIP_1) | instid1(SALU_CYCLE_2)
	s_cvt_f32_u32 s24, s26
	s_wait_alu 0xfffe
	v_rcp_iflag_f32_e32 v1, s24
	s_delay_alu instid0(TRANS32_DEP_1) | instskip(SKIP_2) | instid1(SALU_CYCLE_2)
	v_readfirstlane_b32 s24, v1
	s_mul_f32 s24, s24, 0x4f7ffffe
	s_wait_alu 0xfffe
	s_cvt_u32_f32 s29, s24
	s_sub_co_i32 s24, 0, s26
	s_wait_alu 0xfffe
	s_delay_alu instid0(SALU_CYCLE_1) | instskip(SKIP_4) | instid1(SALU_CYCLE_1)
	s_mul_i32 s24, s24, s29
	s_wait_alu 0xfffe
	s_mul_hi_u32 s31, s29, s24
	s_load_b64 s[24:25], s[0:1], 0xc8
	s_add_co_i32 s29, s29, s31
	s_mul_hi_u32 s29, s28, s29
	s_delay_alu instid0(SALU_CYCLE_1) | instskip(NEXT) | instid1(SALU_CYCLE_1)
	s_mul_i32 s29, s29, s26
	s_sub_co_i32 s29, s28, s29
	s_delay_alu instid0(SALU_CYCLE_1) | instskip(SKIP_2) | instid1(SALU_CYCLE_1)
	s_sub_co_i32 s31, s29, s26
	s_cmp_ge_u32 s29, s26
	s_cselect_b32 s29, s31, s29
	s_sub_co_i32 s31, s29, s26
	s_cmp_ge_u32 s29, s26
	s_cselect_b32 s34, s31, s29
	s_delay_alu instid0(SALU_CYCLE_1)
	s_ashr_i32 s35, s34, 31
	s_wait_kmcnt 0x0
	s_mul_u64 s[24:25], s[24:25], s[34:35]
	s_wait_alu 0xfffe
	s_add_nc_u64 s[34:35], s[10:11], s[24:25]
.LBB37_2:
	v_bfe_u32 v22, v0, 10, 10
	s_lshl_b32 s31, ttmp9, 4
	v_and_b32_e32 v46, 0x3ff, v0
	s_load_b96 s[24:26], s[0:1], 0x70
	s_delay_alu instid0(VALU_DEP_2) | instskip(SKIP_1) | instid1(VALU_DEP_3)
	v_lshlrev_b32_e32 v12, 3, v22
	v_lshlrev_b32_e32 v44, 2, v22
	;; [unrolled: 1-line block ×3, first 2 shown]
	s_delay_alu instid0(VALU_DEP_3) | instskip(NEXT) | instid1(VALU_DEP_3)
	v_or_b32_e32 v23, 2, v12
	v_add_nc_u32_e32 v45, s31, v44
	v_or_b32_e32 v24, 3, v12
	v_or_b32_e32 v25, 4, v12
	s_delay_alu instid0(VALU_DEP_4) | instskip(NEXT) | instid1(VALU_DEP_4)
	v_lshrrev_b32_e32 v41, 1, v23
	v_mul_hi_u32 v1, v45, s20
	s_delay_alu instid0(VALU_DEP_4) | instskip(NEXT) | instid1(VALU_DEP_4)
	v_lshrrev_b32_e32 v39, 1, v24
	v_lshrrev_b32_e32 v38, 1, v25
	s_delay_alu instid0(VALU_DEP_4) | instskip(NEXT) | instid1(VALU_DEP_3)
	v_add_nc_u32_e32 v43, s31, v41
	v_add_nc_u32_e32 v42, s31, v39
	s_wait_kmcnt 0x0
	s_ashr_i32 s45, s24, 31
	v_add_nc_u32_e32 v1, v45, v1
	v_mul_hi_u32 v0, v43, s20
	s_mov_b32 s44, s24
	v_mul_hi_u32 v2, v42, s20
	s_lshr_b64 s[10:11], s[44:45], 2
	v_lshrrev_b32_e32 v1, s21, v1
	s_lshr_b32 s11, s45, 2
	v_add_nc_u32_e32 v40, s31, v38
	s_mul_i32 s40, s28, s26
	v_add_nc_u32_e32 v0, v43, v0
	v_mul_lo_u32 v1, v1, s22
	v_add_nc_u32_e32 v4, v42, v2
	v_mul_hi_u32 v9, v40, s20
	s_mul_i32 s42, s2, s25
	v_lshrrev_b32_e32 v3, s21, v0
	s_ashr_i32 s41, s40, 31
	v_lshrrev_b32_e32 v4, s21, v4
	s_ashr_i32 s43, s42, 31
	v_sub_nc_u32_e32 v0, v45, v1
	v_mul_lo_u32 v3, v3, s22
	s_add_nc_u64 s[4:5], s[4:5], s[40:41]
	v_mul_lo_u32 v7, v4, s22
	s_add_nc_u64 s[4:5], s[4:5], s[42:43]
	v_mad_co_u64_u32 v[1:2], null, s10, v0, 0
	s_ashr_i32 s47, s25, 31
	s_and_b32 s46, s25, -4
	v_sub_nc_u32_e32 v8, v43, v3
	s_add_nc_u64 s[24:25], s[4:5], s[46:47]
	v_sub_nc_u32_e32 v10, v42, v7
	s_cmp_eq_u64 s[14:15], 0
	s_delay_alu instid0(VALU_DEP_2) | instskip(NEXT) | instid1(VALU_DEP_1)
	v_mad_co_u64_u32 v[3:4], null, s10, v8, 0
	v_mad_co_u64_u32 v[5:6], null, s11, v0, v[2:3]
	s_delay_alu instid0(VALU_DEP_3) | instskip(NEXT) | instid1(VALU_DEP_2)
	v_mad_co_u64_u32 v[6:7], null, s10, v10, 0
	v_mov_b32_e32 v2, v5
	s_delay_alu instid0(VALU_DEP_4) | instskip(SKIP_1) | instid1(VALU_DEP_3)
	v_mad_co_u64_u32 v[4:5], null, s11, v8, v[4:5]
	v_add_nc_u32_e32 v5, v40, v9
	v_lshlrev_b64_e32 v[1:2], 2, v[1:2]
	s_delay_alu instid0(VALU_DEP_2) | instskip(SKIP_1) | instid1(VALU_DEP_3)
	v_lshrrev_b32_e32 v11, s21, v5
	v_mov_b32_e32 v5, v7
	v_add_co_u32 v7, vcc_lo, s4, v1
	s_delay_alu instid0(VALU_DEP_1)
	v_add_co_ci_u32_e64 v8, null, s5, v2, vcc_lo
	s_wait_alu 0xfffe
	v_add_co_u32 v9, vcc_lo, s24, v1
	s_wait_alu 0xfffd
	v_add_co_ci_u32_e64 v13, null, s25, v2, vcc_lo
	v_lshlrev_b64_e32 v[1:2], 2, v[3:4]
	v_add_co_u32 v3, vcc_lo, v7, v26
	v_mul_lo_u32 v7, v11, s22
	v_mad_co_u64_u32 v[10:11], null, s11, v10, v[5:6]
	s_wait_alu 0xfffd
	v_add_co_ci_u32_e64 v4, null, 0, v8, vcc_lo
	v_add_co_u32 v8, vcc_lo, v9, v26
	s_wait_alu 0xfffd
	v_add_co_ci_u32_e64 v9, null, 0, v13, vcc_lo
	v_sub_nc_u32_e32 v14, v40, v7
	v_mov_b32_e32 v7, v10
	v_or_b32_e32 v27, 5, v12
	v_or_b32_e32 v28, 6, v12
	;; [unrolled: 1-line block ×3, first 2 shown]
	v_add_co_u32 v11, vcc_lo, s4, v1
	s_delay_alu instid0(VALU_DEP_4) | instskip(NEXT) | instid1(VALU_DEP_4)
	v_lshrrev_b32_e32 v35, 1, v27
	v_lshrrev_b32_e32 v34, 1, v28
	s_wait_alu 0xfffd
	v_add_co_ci_u32_e64 v13, null, s5, v2, vcc_lo
	v_lshrrev_b32_e32 v32, 1, v29
	v_add_nc_u32_e32 v37, s31, v35
	v_add_nc_u32_e32 v36, s31, v34
	v_add_co_u32 v10, vcc_lo, v11, v26
	v_mad_co_u64_u32 v[1:2], null, s10, v14, 0
	s_delay_alu instid0(VALU_DEP_4) | instskip(NEXT) | instid1(VALU_DEP_4)
	v_mul_hi_u32 v5, v37, s20
	v_mul_hi_u32 v12, v36, s20
	s_wait_alu 0xfffd
	v_add_co_ci_u32_e64 v11, null, 0, v13, vcc_lo
	v_add_nc_u32_e32 v33, s31, v32
	s_delay_alu instid0(VALU_DEP_4) | instskip(NEXT) | instid1(VALU_DEP_2)
	v_add_nc_u32_e32 v5, v37, v5
	v_mul_hi_u32 v16, v33, s20
	s_delay_alu instid0(VALU_DEP_2) | instskip(SKIP_2) | instid1(VALU_DEP_3)
	v_lshrrev_b32_e32 v13, s21, v5
	v_lshlrev_b64_e32 v[5:6], 2, v[6:7]
	v_add_nc_u32_e32 v7, v36, v12
	v_mul_lo_u32 v15, v13, s22
	v_mad_co_u64_u32 v[12:13], null, s11, v14, v[2:3]
	s_delay_alu instid0(VALU_DEP_3) | instskip(SKIP_3) | instid1(VALU_DEP_3)
	v_lshrrev_b32_e32 v7, s21, v7
	v_add_co_u32 v13, vcc_lo, s24, v5
	s_wait_alu 0xfffd
	v_add_co_ci_u32_e64 v14, null, s25, v6, vcc_lo
	v_mul_lo_u32 v7, v7, s22
	v_sub_nc_u32_e32 v17, v37, v15
	v_dual_mov_b32 v2, v12 :: v_dual_add_nc_u32 v15, v33, v16
	v_add_co_u32 v12, vcc_lo, v13, v26
	s_delay_alu instid0(VALU_DEP_3) | instskip(NEXT) | instid1(VALU_DEP_3)
	v_mad_co_u64_u32 v[5:6], null, s10, v17, 0
	v_lshrrev_b32_e32 v15, s21, v15
	v_sub_nc_u32_e32 v7, v36, v7
	v_lshlrev_b64_e32 v[1:2], 2, v[1:2]
	s_wait_alu 0xfffd
	v_add_co_ci_u32_e64 v13, null, 0, v14, vcc_lo
	v_mul_lo_u32 v16, v15, s22
	v_mad_co_u64_u32 v[14:15], null, s10, v7, 0
	s_delay_alu instid0(VALU_DEP_4) | instskip(SKIP_3) | instid1(VALU_DEP_4)
	v_add_co_u32 v18, vcc_lo, s4, v1
	s_wait_alu 0xfffd
	v_add_co_ci_u32_e64 v19, null, s5, v2, vcc_lo
	v_mad_co_u64_u32 v[1:2], null, s11, v17, v[6:7]
	v_mov_b32_e32 v2, v15
	v_sub_nc_u32_e32 v20, v33, v16
	s_delay_alu instid0(VALU_DEP_3) | instskip(NEXT) | instid1(VALU_DEP_3)
	v_mov_b32_e32 v6, v1
	v_mad_co_u64_u32 v[1:2], null, s11, v7, v[2:3]
	s_clause 0x3
	global_load_b64 v[3:4], v[3:4], off
	global_load_b64 v[7:8], v[8:9], off
	;; [unrolled: 1-line block ×4, first 2 shown]
	v_mad_co_u64_u32 v[16:17], null, s10, v20, 0
	v_lshlrev_b64_e32 v[5:6], 2, v[5:6]
	s_delay_alu instid0(VALU_DEP_2) | instskip(SKIP_1) | instid1(VALU_DEP_1)
	v_dual_mov_b32 v15, v1 :: v_dual_mov_b32 v2, v17
	s_wait_loadcnt 0x3
	v_mad_co_u64_u32 v[20:21], null, s11, v20, v[2:3]
	s_delay_alu instid0(VALU_DEP_2) | instskip(NEXT) | instid1(VALU_DEP_2)
	v_lshlrev_b64_e32 v[1:2], 2, v[14:15]
	v_mov_b32_e32 v17, v20
	v_add_co_u32 v18, vcc_lo, v18, v26
	s_wait_alu 0xfffd
	v_add_co_ci_u32_e64 v19, null, 0, v19, vcc_lo
	v_add_co_u32 v5, vcc_lo, s24, v5
	s_wait_alu 0xfffd
	v_add_co_ci_u32_e64 v6, null, s25, v6, vcc_lo
	v_lshlrev_b64_e32 v[13:14], 2, v[16:17]
	s_delay_alu instid0(VALU_DEP_3) | instskip(SKIP_1) | instid1(VALU_DEP_3)
	v_add_co_u32 v5, vcc_lo, v5, v26
	s_wait_alu 0xfffd
	v_add_co_ci_u32_e64 v6, null, 0, v6, vcc_lo
	v_add_co_u32 v1, vcc_lo, s4, v1
	s_wait_alu 0xfffd
	v_add_co_ci_u32_e64 v2, null, s5, v2, vcc_lo
	;; [unrolled: 3-line block ×4, first 2 shown]
	v_add_co_u32 v13, vcc_lo, v13, v26
	global_load_b64 v[18:19], v[18:19], off
	s_wait_alu 0xfffd
	v_add_co_ci_u32_e64 v14, null, 0, v14, vcc_lo
	s_clause 0x2
	global_load_b64 v[5:6], v[5:6], off
	global_load_b64 v[15:16], v[1:2], off
	;; [unrolled: 1-line block ×3, first 2 shown]
	s_load_b32 s4, s[0:1], 0x40
	v_lshl_add_u32 v2, v46, 2, 0x3400
	v_lshlrev_b32_e32 v1, 10, v22
	s_delay_alu instid0(VALU_DEP_2) | instskip(NEXT) | instid1(VALU_DEP_2)
	v_lshl_add_u32 v20, v23, 7, v2
	v_add_nc_u32_e32 v17, v2, v1
	v_lshl_add_u32 v21, v24, 7, v2
	v_lshl_add_u32 v22, v25, 7, v2
	;; [unrolled: 1-line block ×5, first 2 shown]
	s_wait_kmcnt 0x0
	v_fma_mixlo_f16 v4, s4, v4, 0
	v_fma_mixlo_f16 v3, s4, v3, 0
	s_wait_loadcnt 0x6
	v_fma_mixlo_f16 v8, s4, v8, 0
	v_fma_mixlo_f16 v7, s4, v7, 0
	v_lshlrev_b32_e32 v4, 16, v4
	v_and_b32_e32 v3, 0xffff, v3
	s_delay_alu instid0(VALU_DEP_4) | instskip(NEXT) | instid1(VALU_DEP_4)
	v_lshlrev_b32_e32 v8, 16, v8
	v_and_b32_e32 v7, 0xffff, v7
	s_delay_alu instid0(VALU_DEP_3) | instskip(NEXT) | instid1(VALU_DEP_2)
	v_or_b32_e32 v3, v4, v3
	v_or_b32_e32 v4, v8, v7
	s_wait_loadcnt 0x5
	v_fma_mixlo_f16 v7, s4, v9, 0
	v_fma_mixlo_f16 v8, s4, v10, 0
	s_wait_loadcnt 0x4
	v_fma_mixlo_f16 v9, s4, v11, 0
	v_fma_mixlo_f16 v10, s4, v12, 0
	ds_store_2addr_b32 v17, v3, v4 offset1:32
	v_and_b32_e32 v4, 0xffff, v7
	v_lshlrev_b32_e32 v3, 16, v8
	v_and_b32_e32 v8, 0xffff, v9
	v_lshlrev_b32_e32 v7, 16, v10
	s_delay_alu instid0(VALU_DEP_3) | instskip(NEXT) | instid1(VALU_DEP_2)
	v_or_b32_e32 v3, v3, v4
	v_or_b32_e32 v4, v7, v8
	s_wait_loadcnt 0x3
	v_fma_mixlo_f16 v11, s4, v18, 0
	v_fma_mixlo_f16 v12, s4, v19, 0
	s_wait_loadcnt 0x2
	v_fma_mixlo_f16 v5, s4, v5, 0
	v_fma_mixlo_f16 v6, s4, v6, 0
	;; [unrolled: 3-line block ×4, first 2 shown]
	v_lshlrev_b32_e32 v9, 16, v12
	v_and_b32_e32 v10, 0xffff, v11
	v_lshlrev_b32_e32 v6, 16, v6
	v_and_b32_e32 v5, 0xffff, v5
	;; [unrolled: 2-line block ×4, first 2 shown]
	v_or_b32_e32 v7, v9, v10
	v_or_b32_e32 v5, v6, v5
	;; [unrolled: 1-line block ×3, first 2 shown]
	s_delay_alu instid0(VALU_DEP_4)
	v_or_b32_e32 v8, v14, v13
	ds_store_b32 v20, v3
	ds_store_b32 v21, v4
	;; [unrolled: 1-line block ×6, first 2 shown]
	s_wait_dscnt 0x0
	s_barrier_signal -1
	s_barrier_wait -1
	global_inv scope:SCOPE_SE
	s_cbranch_scc1 .LBB37_4
; %bb.3:
	s_load_b32 s4, s[0:1], 0xd0
	s_mov_b32 s5, 0
	s_wait_kmcnt 0x0
	s_mul_i32 s4, s4, s28
	s_wait_alu 0xfffe
	s_add_co_i32 s4, s4, ttmp9
	s_wait_alu 0xfffe
	s_lshl_b64 s[4:5], s[4:5], 2
	s_wait_alu 0xfffe
	s_add_nc_u64 s[4:5], s[14:15], s[4:5]
	s_load_b32 s30, s[4:5], 0x0
.LBB37_4:
	s_and_b32 s4, ttmp7, 0xffff
	v_mbcnt_lo_u32_b32 v47, -1, 0
	s_wait_alu 0xfffe
	s_lshl_b32 s10, s4, 6
	s_wait_kmcnt 0x0
	s_wait_alu 0xfffe
	s_cmp_lt_i32 s10, s30
	s_cbranch_scc1 .LBB37_7
; %bb.5:
	v_mbcnt_lo_u32_b32 v8, -1, 0
	v_mov_b32_e32 v48, 32
	s_delay_alu instid0(VALU_DEP_2)
	v_xor_b32_e32 v55, 16, v8
	v_xor_b32_e32 v52, 8, v8
	;; [unrolled: 1-line block ×5, first 2 shown]
	s_mov_b32 s29, 0
	s_cbranch_execz .LBB37_8
; %bb.6:
	v_dual_mov_b32 v88, 0 :: v_dual_mov_b32 v53, 0
	v_dual_mov_b32 v7, 0xfeffffff :: v_dual_mov_b32 v6, 0xfeffffff
	;; [unrolled: 1-line block ×12, first 2 shown]
	s_branch .LBB37_11
.LBB37_7:
                                        ; implicit-def: $vgpr8
                                        ; implicit-def: $vgpr48
                                        ; implicit-def: $vgpr55
                                        ; implicit-def: $vgpr52
                                        ; implicit-def: $vgpr51
                                        ; implicit-def: $vgpr50
                                        ; implicit-def: $vgpr49
	s_mov_b32 s29, 0
.LBB37_8:
	s_mul_f32 s5, s27, 0x4f7ffffe
	s_clause 0x1
	s_load_b128 s[24:27], s[0:1], 0x98
	s_load_b64 s[40:41], s[0:1], 0x8c
	s_sub_co_i32 s11, 0, s3
	v_add_nc_u32_e32 v11, 1, v45
	s_cvt_u32_f32 s5, s5
	s_abs_i32 s36, s2
	s_mov_b32 s15, s37
	s_load_b64 s[42:43], s[0:1], 0xa8
	s_mul_i32 s11, s11, s5
	s_ashr_i32 s38, s2, 31
	s_wait_alu 0xfffe
	s_mul_hi_u32 s11, s5, s11
	s_ashr_i32 s33, s33, 31
	s_wait_alu 0xfffe
	s_add_co_i32 s14, s5, s11
	s_ashr_i32 s5, s39, 1
	s_mul_u64 s[14:15], s[36:37], s[14:15]
	s_wait_alu 0xfffe
	v_mul_lo_u32 v62, v0, s5
	v_mov_b32_e32 v0, 0xfeffffff
	v_mul_hi_u32 v6, s20, v11
	s_xor_b32 s11, s38, s33
	s_mul_i32 s33, s15, s3
	v_dual_mov_b32 v87, 0 :: v_dual_add_nc_u32 v12, 2, v45
	v_lshrrev_b32_e32 v2, 3, v46
	s_sub_co_i32 s33, s36, s33
	s_add_co_i32 s37, s15, 1
	s_wait_kmcnt 0x0
	s_ashr_i32 s14, s26, 2
	s_ashr_i32 s26, s40, 2
	s_sub_co_i32 s36, s33, s3
	s_cmp_ge_u32 s33, s3
	v_mul_hi_u32 v7, s20, v12
	v_dual_mov_b32 v29, 0 :: v_dual_add_nc_u32 v8, v2, v44
	s_cselect_b32 s15, s37, s15
	v_dual_mov_b32 v30, 0 :: v_dual_add_nc_u32 v15, v11, v6
	s_cselect_b32 s33, s36, s33
	s_add_co_i32 s36, s15, 1
	v_dual_mov_b32 v27, 0 :: v_dual_lshlrev_b32 v54, 2, v46
	s_cmp_ge_u32 s33, s3
	v_dual_mov_b32 v48, 32 :: v_dual_add_nc_u32 v13, 3, v45
	s_cselect_b32 s3, s36, s15
	v_mul_lo_u32 v2, s26, v8
	v_lshrrev_b32_e32 v15, s21, v15
	s_wait_alu 0xfffe
	s_xor_b32 s3, s3, s11
	v_dual_mov_b32 v88, 0 :: v_dual_add_nc_u32 v7, v12, v7
	v_dual_mov_b32 v31, 0 :: v_dual_and_b32 v10, 28, v54
	s_mul_u64 s[24:25], s[24:25], s[28:29]
	s_mul_u64 s[36:37], s[42:43], s[28:29]
	s_wait_alu 0xfffe
	s_sub_co_i32 s3, s3, s11
	v_mul_hi_u32 v14, s20, v13
	v_mul_lo_u32 v18, v15, s22
	s_add_nc_u64 s[6:7], s[6:7], s[24:25]
	s_wait_alu 0xfffe
	s_mul_i32 s24, s3, s41
	s_add_nc_u64 s[8:9], s[8:9], s[36:37]
	s_mul_i32 s36, s3, s27
	s_lshl_b32 s3, s26, 4
	v_lshrrev_b32_e32 v16, s21, v7
	v_dual_mov_b32 v26, 0 :: v_dual_lshlrev_b32 v9, 2, v10
	s_wait_alu 0xfffe
	v_add_nc_u32_e32 v4, s3, v2
	v_ashrrev_i32_e32 v3, 31, v2
	v_dual_mov_b32 v83, 0 :: v_dual_add_nc_u32 v60, 0x3400, v1
	v_dual_mov_b32 v82, 0 :: v_dual_add_nc_u32 v67, 0x2400, v1
	v_lshlrev_b32_e32 v1, 4, v46
	v_add_nc_u32_e32 v14, v13, v14
	v_mul_lo_u32 v19, v16, s22
	v_mul_lo_u32 v16, s14, v8
	v_mad_u32_u24 v56, 0x90, v8, v9
	v_sub_nc_u32_e32 v11, v11, v18
	v_lshl_or_b32 v66, v8, 7, v9
	v_lshlrev_b64_e32 v[8:9], 2, v[2:3]
	v_mov_b32_e32 v2, 0xfeffffff
	v_dual_mov_b32 v1, 0xfeffffff :: v_dual_add_nc_u32 v72, v67, v1
	v_ashrrev_i32_e32 v5, 31, v4
	v_dual_mov_b32 v3, 0xfeffffff :: v_dual_add_nc_u32 v6, s3, v4
	v_lshrrev_b32_e32 v17, s21, v14
	v_mul_lo_u32 v63, v11, s5
	v_lshlrev_b32_e32 v71, 2, v10
	v_lshlrev_b64_e32 v[10:11], 2, v[4:5]
	v_dual_mov_b32 v5, 0xfeffffff :: v_dual_add_nc_u32 v14, s3, v6
	s_lshl_b32 s3, s14, 4
	v_mul_lo_u32 v17, v17, s22
	s_wait_alu 0xfffe
	v_dual_mov_b32 v85, 0 :: v_dual_add_nc_u32 v18, s3, v16
	v_ashrrev_i32_e32 v7, 31, v6
	v_sub_nc_u32_e32 v12, v12, v19
	s_delay_alu instid0(VALU_DEP_3) | instskip(SKIP_2) | instid1(VALU_DEP_4)
	v_dual_mov_b32 v53, 0 :: v_dual_add_nc_u32 v20, s3, v18
	v_ashrrev_i32_e32 v19, 31, v18
	v_sub_nc_u32_e32 v13, v13, v17
	v_mul_lo_u32 v64, v12, s5
	v_ashrrev_i32_e32 v17, 31, v16
	v_add_nc_u32_e32 v22, s3, v20
	v_ashrrev_i32_e32 v21, 31, v20
	v_mul_lo_u32 v65, v13, s5
	v_lshlrev_b64_e32 v[12:13], 2, v[6:7]
	v_mov_b32_e32 v7, 0xfeffffff
	v_ashrrev_i32_e32 v15, 31, v14
	v_ashrrev_i32_e32 v23, 31, v22
	v_lshlrev_b64_e32 v[16:17], 2, v[16:17]
	v_lshlrev_b64_e32 v[18:19], 2, v[18:19]
	v_lshlrev_b64_e32 v[20:21], 2, v[20:21]
	v_lshlrev_b64_e32 v[14:15], 2, v[14:15]
	v_lshlrev_b64_e32 v[22:23], 2, v[22:23]
	v_dual_mov_b32 v28, 0 :: v_dual_add_nc_u32 v57, 0x900, v56
	v_dual_mov_b32 v81, 0 :: v_dual_add_nc_u32 v58, 0x1200, v56
	;; [unrolled: 1-line block ×3, first 2 shown]
	v_mul_u32_u24_e32 v61, 0x90, v46
	v_add_nc_u32_e32 v68, 0x800, v66
	v_dual_mov_b32 v84, 0 :: v_dual_add_nc_u32 v69, 0x1000, v66
	v_add_nc_u32_e32 v70, 0x1800, v66
	v_xor_b32_e32 v55, 16, v47
	v_xor_b32_e32 v52, 8, v47
	;; [unrolled: 1-line block ×5, first 2 shown]
	v_dual_mov_b32 v86, 0 :: v_dual_add_nc_u32 v73, 0x400, v54
	v_add_nc_u32_e32 v74, 0x800, v54
	v_add_nc_u32_e32 v75, 0xc00, v54
	;; [unrolled: 1-line block ×6, first 2 shown]
	v_mov_b32_e32 v4, 0xfeffffff
	v_mov_b32_e32 v6, 0xfeffffff
	s_ashr_i32 s25, s24, 31
	s_ashr_i32 s37, s36, 31
	s_wait_alu 0xfffe
	s_add_nc_u64 s[6:7], s[6:7], s[24:25]
	s_add_nc_u64 s[8:9], s[8:9], s[36:37]
	s_ashr_i32 s27, s26, 31
	s_ashr_i32 s15, s14, 31
	s_add_nc_u64 s[20:21], s[0:1], 0xd0
.LBB37_9:                               ; =>This Inner Loop Header: Depth=1
	s_ashr_i32 s11, s10, 31
	v_mov_b32_e32 v24, v86
	s_wait_alu 0xfffe
	s_mul_u64 s[24:25], s[10:11], s[26:27]
	v_mov_b32_e32 v86, v85
	s_wait_alu 0xfffe
	s_lshl_b64 s[24:25], s[24:25], 2
	v_mov_b32_e32 v85, v84
	s_wait_alu 0xfffe
	s_add_nc_u64 s[24:25], s[6:7], s[24:25]
	v_dual_mov_b32 v84, v83 :: v_dual_mov_b32 v83, v82
	v_dual_mov_b32 v82, v81 :: v_dual_mov_b32 v25, v7
	;; [unrolled: 1-line block ×3, first 2 shown]
	s_wait_alu 0xfffe
	v_add_co_u32 v0, vcc_lo, s24, v8
	v_dual_mov_b32 v93, v2 :: v_dual_mov_b32 v94, v1
	s_wait_alu 0xfffd
	v_add_co_ci_u32_e64 v1, null, s25, v9, vcc_lo
	s_delay_alu instid0(VALU_DEP_3) | instskip(SKIP_2) | instid1(VALU_DEP_3)
	v_add_co_u32 v0, vcc_lo, v0, v71
	v_dual_mov_b32 v91, v4 :: v_dual_mov_b32 v92, v3
	s_wait_alu 0xfffd
	v_add_co_ci_u32_e64 v1, null, 0, v1, vcc_lo
	v_dual_mov_b32 v89, v6 :: v_dual_mov_b32 v90, v5
	v_dual_mov_b32 v4, 0 :: v_dual_mov_b32 v7, 0
	global_load_b128 v[0:3], v[0:1], off
	v_dual_mov_b32 v6, 0 :: v_dual_mov_b32 v101, 0
	v_dual_mov_b32 v102, 0 :: v_dual_mov_b32 v99, 0
	;; [unrolled: 1-line block ×3, first 2 shown]
	s_wait_loadcnt 0x0
	ds_store_b128 v56, v[0:3]
	v_add_co_u32 v0, vcc_lo, s24, v10
	s_wait_alu 0xfffd
	v_add_co_ci_u32_e64 v1, null, s25, v11, vcc_lo
	s_delay_alu instid0(VALU_DEP_2) | instskip(SKIP_1) | instid1(VALU_DEP_2)
	v_add_co_u32 v0, vcc_lo, v0, v71
	s_wait_alu 0xfffd
	v_add_co_ci_u32_e64 v1, null, 0, v1, vcc_lo
	global_load_b128 v[0:3], v[0:1], off
	s_wait_loadcnt 0x0
	ds_store_b128 v57, v[0:3]
	v_add_co_u32 v0, vcc_lo, s24, v12
	s_wait_alu 0xfffd
	v_add_co_ci_u32_e64 v1, null, s25, v13, vcc_lo
	s_delay_alu instid0(VALU_DEP_2) | instskip(SKIP_1) | instid1(VALU_DEP_2)
	v_add_co_u32 v0, vcc_lo, v0, v71
	s_wait_alu 0xfffd
	v_add_co_ci_u32_e64 v1, null, 0, v1, vcc_lo
	global_load_b128 v[0:3], v[0:1], off
	s_wait_loadcnt 0x0
	ds_store_b128 v58, v[0:3]
	v_add_co_u32 v0, vcc_lo, s24, v14
	s_wait_alu 0xfffd
	v_add_co_ci_u32_e64 v1, null, s25, v15, vcc_lo
	s_mul_u64 s[24:25], s[10:11], s[14:15]
	v_add_co_u32 v0, vcc_lo, v0, v71
	s_wait_alu 0xfffd
	v_add_co_ci_u32_e64 v1, null, 0, v1, vcc_lo
	v_cmp_gt_i32_e32 vcc_lo, 32, v55
	s_wait_alu 0xfffe
	s_lshl_b64 s[24:25], s[24:25], 2
	global_load_b128 v[0:3], v[0:1], off
	s_wait_alu 0xfffe
	s_add_nc_u64 s[24:25], s[8:9], s[24:25]
	s_wait_loadcnt 0x0
	ds_store_b128 v59, v[0:3]
	s_wait_dscnt 0x0
	s_barrier_signal -1
	s_barrier_wait -1
	global_inv scope:SCOPE_SE
	ds_load_b128 v[95:98], v61
	ds_load_b128 v[103:106], v61 offset:4608
	ds_load_b128 v[107:110], v60
	ds_load_b128 v[111:114], v60 offset:128
	ds_load_b128 v[115:118], v60 offset:256
	;; [unrolled: 1-line block ×7, first 2 shown]
	v_dual_mov_b32 v0, 0 :: v_dual_mov_b32 v3, 0
	s_wait_dscnt 0x7
	;;#ASMSTART
	v_dot2_f32_f16 v0, v95, v107, v0
	;;#ASMEND
	;;#ASMSTART
	v_dot2_f32_f16 v0, v96, v108, v0
	;;#ASMEND
	;; [unrolled: 3-line block ×3, first 2 shown]
	v_mov_b32_e32 v1, 0
	;;#ASMSTART
	v_dot2_f32_f16 v0, v98, v110, v0
	;;#ASMEND
	s_wait_dscnt 0x6
	;;#ASMSTART
	v_dot2_f32_f16 v1, v95, v111, v1
	;;#ASMEND
	;;#ASMSTART
	v_dot2_f32_f16 v1, v96, v112, v1
	;;#ASMEND
	;; [unrolled: 3-line block ×3, first 2 shown]
	v_mov_b32_e32 v2, 0
	;;#ASMSTART
	v_dot2_f32_f16 v1, v98, v114, v1
	;;#ASMEND
	s_wait_dscnt 0x5
	;;#ASMSTART
	v_dot2_f32_f16 v2, v95, v115, v2
	;;#ASMEND
	;;#ASMSTART
	v_dot2_f32_f16 v2, v96, v116, v2
	;;#ASMEND
	;;#ASMSTART
	v_dot2_f32_f16 v2, v97, v117, v2
	;;#ASMEND
	;;#ASMSTART
	v_dot2_f32_f16 v2, v98, v118, v2
	;;#ASMEND
	s_wait_dscnt 0x4
	;;#ASMSTART
	v_dot2_f32_f16 v3, v95, v119, v3
	;;#ASMEND
	;;#ASMSTART
	v_dot2_f32_f16 v3, v96, v120, v3
	;;#ASMEND
	;;#ASMSTART
	v_dot2_f32_f16 v3, v97, v121, v3
	;;#ASMEND
	;; [unrolled: 13-line block ×6, first 2 shown]
	;;#ASMSTART
	v_dot2_f32_f16 v7, v98, v138, v7
	;;#ASMEND
	;;#ASMSTART
	v_dot2_f32_f16 v102, v103, v107, v102
	;;#ASMEND
	;; [unrolled: 3-line block ×9, first 2 shown]
	v_mov_b32_e32 v97, 0
	;;#ASMSTART
	v_dot2_f32_f16 v100, v103, v115, v100
	;;#ASMEND
	;;#ASMSTART
	v_dot2_f32_f16 v100, v104, v116, v100
	;;#ASMEND
	;; [unrolled: 3-line block ×7, first 2 shown]
	v_dual_mov_b32 v98, 0 :: v_dual_mov_b32 v95, 0
	;;#ASMSTART
	v_dot2_f32_f16 v99, v106, v122, v99
	;;#ASMEND
	;;#ASMSTART
	v_dot2_f32_f16 v98, v103, v123, v98
	;;#ASMEND
	;;#ASMSTART
	v_dot2_f32_f16 v98, v104, v124, v98
	;;#ASMEND
	;;#ASMSTART
	v_dot2_f32_f16 v98, v105, v125, v98
	;;#ASMEND
	;;#ASMSTART
	v_dot2_f32_f16 v98, v106, v126, v98
	;;#ASMEND
	;;#ASMSTART
	v_dot2_f32_f16 v97, v103, v127, v97
	;;#ASMEND
	;;#ASMSTART
	v_dot2_f32_f16 v97, v104, v128, v97
	;;#ASMEND
	;;#ASMSTART
	v_dot2_f32_f16 v97, v105, v129, v97
	;;#ASMEND
	v_mov_b32_e32 v96, 0
	;;#ASMSTART
	v_dot2_f32_f16 v97, v106, v130, v97
	;;#ASMEND
	;;#ASMSTART
	v_dot2_f32_f16 v96, v103, v131, v96
	;;#ASMEND
	;; [unrolled: 3-line block ×9, first 2 shown]
	ds_load_b128 v[103:106], v61 offset:16
	ds_load_b128 v[107:110], v61 offset:4624
	;; [unrolled: 1-line block ×10, first 2 shown]
	s_wait_dscnt 0x7
	;;#ASMSTART
	v_dot2_f32_f16 v0, v103, v111, v0
	;;#ASMEND
	;;#ASMSTART
	v_dot2_f32_f16 v0, v104, v112, v0
	;;#ASMEND
	;;#ASMSTART
	v_dot2_f32_f16 v0, v105, v113, v0
	;;#ASMEND
	;;#ASMSTART
	v_dot2_f32_f16 v0, v106, v114, v0
	;;#ASMEND
	s_wait_dscnt 0x6
	;;#ASMSTART
	v_dot2_f32_f16 v1, v103, v115, v1
	;;#ASMEND
	;;#ASMSTART
	v_dot2_f32_f16 v1, v104, v116, v1
	;;#ASMEND
	;;#ASMSTART
	v_dot2_f32_f16 v1, v105, v117, v1
	;;#ASMEND
	;;#ASMSTART
	v_dot2_f32_f16 v1, v106, v118, v1
	;;#ASMEND
	;; [unrolled: 13-line block ×8, first 2 shown]
	;;#ASMSTART
	v_dot2_f32_f16 v102, v107, v111, v102
	;;#ASMEND
	;;#ASMSTART
	v_dot2_f32_f16 v102, v108, v112, v102
	;;#ASMEND
	;;#ASMSTART
	v_dot2_f32_f16 v102, v109, v113, v102
	;;#ASMEND
	;;#ASMSTART
	v_dot2_f32_f16 v102, v110, v114, v102
	;;#ASMEND
	;;#ASMSTART
	v_dot2_f32_f16 v101, v107, v115, v101
	;;#ASMEND
	;;#ASMSTART
	v_dot2_f32_f16 v101, v108, v116, v101
	;;#ASMEND
	;;#ASMSTART
	v_dot2_f32_f16 v101, v109, v117, v101
	;;#ASMEND
	;;#ASMSTART
	v_dot2_f32_f16 v101, v110, v118, v101
	;;#ASMEND
	;;#ASMSTART
	v_dot2_f32_f16 v100, v107, v119, v100
	;;#ASMEND
	;;#ASMSTART
	v_dot2_f32_f16 v100, v108, v120, v100
	;;#ASMEND
	;;#ASMSTART
	v_dot2_f32_f16 v100, v109, v121, v100
	;;#ASMEND
	;;#ASMSTART
	v_dot2_f32_f16 v100, v110, v122, v100
	;;#ASMEND
	;;#ASMSTART
	v_dot2_f32_f16 v99, v107, v123, v99
	;;#ASMEND
	;;#ASMSTART
	v_dot2_f32_f16 v99, v108, v124, v99
	;;#ASMEND
	;;#ASMSTART
	v_dot2_f32_f16 v99, v109, v125, v99
	;;#ASMEND
	;;#ASMSTART
	v_dot2_f32_f16 v99, v110, v126, v99
	;;#ASMEND
	;;#ASMSTART
	v_dot2_f32_f16 v98, v107, v127, v98
	;;#ASMEND
	;;#ASMSTART
	v_dot2_f32_f16 v98, v108, v128, v98
	;;#ASMEND
	;;#ASMSTART
	v_dot2_f32_f16 v98, v109, v129, v98
	;;#ASMEND
	;;#ASMSTART
	v_dot2_f32_f16 v98, v110, v130, v98
	;;#ASMEND
	;;#ASMSTART
	v_dot2_f32_f16 v97, v107, v131, v97
	;;#ASMEND
	;;#ASMSTART
	v_dot2_f32_f16 v97, v108, v132, v97
	;;#ASMEND
	;;#ASMSTART
	v_dot2_f32_f16 v97, v109, v133, v97
	;;#ASMEND
	;;#ASMSTART
	v_dot2_f32_f16 v97, v110, v134, v97
	;;#ASMEND
	;;#ASMSTART
	v_dot2_f32_f16 v96, v107, v135, v96
	;;#ASMEND
	;;#ASMSTART
	v_dot2_f32_f16 v96, v108, v136, v96
	;;#ASMEND
	;;#ASMSTART
	v_dot2_f32_f16 v96, v109, v137, v96
	;;#ASMEND
	;;#ASMSTART
	v_dot2_f32_f16 v96, v110, v138, v96
	;;#ASMEND
	;;#ASMSTART
	v_dot2_f32_f16 v95, v107, v139, v95
	;;#ASMEND
	;;#ASMSTART
	v_dot2_f32_f16 v95, v108, v140, v95
	;;#ASMEND
	;;#ASMSTART
	v_dot2_f32_f16 v95, v109, v141, v95
	;;#ASMEND
	;;#ASMSTART
	v_dot2_f32_f16 v95, v110, v142, v95
	;;#ASMEND
	ds_load_b128 v[103:106], v61 offset:32
	ds_load_b128 v[107:110], v61 offset:4640
	ds_load_b128 v[111:114], v60 offset:32
	ds_load_b128 v[115:118], v60 offset:160
	ds_load_b128 v[119:122], v60 offset:288
	ds_load_b128 v[123:126], v60 offset:416
	ds_load_b128 v[127:130], v60 offset:544
	ds_load_b128 v[131:134], v60 offset:672
	ds_load_b128 v[135:138], v60 offset:800
	ds_load_b128 v[139:142], v60 offset:928
	s_wait_dscnt 0x7
	;;#ASMSTART
	v_dot2_f32_f16 v0, v103, v111, v0
	;;#ASMEND
	;;#ASMSTART
	v_dot2_f32_f16 v0, v104, v112, v0
	;;#ASMEND
	;;#ASMSTART
	v_dot2_f32_f16 v0, v105, v113, v0
	;;#ASMEND
	;;#ASMSTART
	v_dot2_f32_f16 v0, v106, v114, v0
	;;#ASMEND
	s_wait_dscnt 0x6
	;;#ASMSTART
	v_dot2_f32_f16 v1, v103, v115, v1
	;;#ASMEND
	;;#ASMSTART
	v_dot2_f32_f16 v1, v104, v116, v1
	;;#ASMEND
	;;#ASMSTART
	v_dot2_f32_f16 v1, v105, v117, v1
	;;#ASMEND
	;;#ASMSTART
	v_dot2_f32_f16 v1, v106, v118, v1
	;;#ASMEND
	;; [unrolled: 13-line block ×8, first 2 shown]
	;;#ASMSTART
	v_dot2_f32_f16 v102, v107, v111, v102
	;;#ASMEND
	;;#ASMSTART
	v_dot2_f32_f16 v102, v108, v112, v102
	;;#ASMEND
	;; [unrolled: 3-line block ×32, first 2 shown]
	ds_load_b128 v[103:106], v61 offset:48
	ds_load_b128 v[107:110], v61 offset:4656
	;; [unrolled: 1-line block ×10, first 2 shown]
	s_wait_dscnt 0x7
	;;#ASMSTART
	v_dot2_f32_f16 v0, v103, v111, v0
	;;#ASMEND
	;;#ASMSTART
	v_dot2_f32_f16 v0, v104, v112, v0
	;;#ASMEND
	;;#ASMSTART
	v_dot2_f32_f16 v0, v105, v113, v0
	;;#ASMEND
	;;#ASMSTART
	v_dot2_f32_f16 v0, v106, v114, v0
	;;#ASMEND
	s_wait_dscnt 0x6
	;;#ASMSTART
	v_dot2_f32_f16 v1, v103, v115, v1
	;;#ASMEND
	;;#ASMSTART
	v_dot2_f32_f16 v1, v104, v116, v1
	;;#ASMEND
	;;#ASMSTART
	v_dot2_f32_f16 v1, v105, v117, v1
	;;#ASMEND
	;;#ASMSTART
	v_dot2_f32_f16 v1, v106, v118, v1
	;;#ASMEND
	;; [unrolled: 13-line block ×8, first 2 shown]
	;;#ASMSTART
	v_dot2_f32_f16 v102, v107, v111, v102
	;;#ASMEND
	;;#ASMSTART
	v_dot2_f32_f16 v102, v108, v112, v102
	;;#ASMEND
	;; [unrolled: 3-line block ×32, first 2 shown]
	ds_load_b128 v[103:106], v61 offset:64
	ds_load_b128 v[107:110], v61 offset:4672
	;; [unrolled: 1-line block ×10, first 2 shown]
	s_wait_dscnt 0x7
	;;#ASMSTART
	v_dot2_f32_f16 v0, v103, v111, v0
	;;#ASMEND
	;;#ASMSTART
	v_dot2_f32_f16 v0, v104, v112, v0
	;;#ASMEND
	;;#ASMSTART
	v_dot2_f32_f16 v0, v105, v113, v0
	;;#ASMEND
	;;#ASMSTART
	v_dot2_f32_f16 v0, v106, v114, v0
	;;#ASMEND
	s_wait_dscnt 0x6
	;;#ASMSTART
	v_dot2_f32_f16 v1, v103, v115, v1
	;;#ASMEND
	;;#ASMSTART
	v_dot2_f32_f16 v1, v104, v116, v1
	;;#ASMEND
	;;#ASMSTART
	v_dot2_f32_f16 v1, v105, v117, v1
	;;#ASMEND
	;;#ASMSTART
	v_dot2_f32_f16 v1, v106, v118, v1
	;;#ASMEND
	;; [unrolled: 13-line block ×8, first 2 shown]
	;;#ASMSTART
	v_dot2_f32_f16 v102, v107, v111, v102
	;;#ASMEND
	;;#ASMSTART
	v_dot2_f32_f16 v102, v108, v112, v102
	;;#ASMEND
	;; [unrolled: 3-line block ×32, first 2 shown]
	ds_load_b128 v[103:106], v61 offset:80
	ds_load_b128 v[107:110], v61 offset:4688
	;; [unrolled: 1-line block ×10, first 2 shown]
	s_wait_dscnt 0x7
	;;#ASMSTART
	v_dot2_f32_f16 v0, v103, v111, v0
	;;#ASMEND
	;;#ASMSTART
	v_dot2_f32_f16 v0, v104, v112, v0
	;;#ASMEND
	;;#ASMSTART
	v_dot2_f32_f16 v0, v105, v113, v0
	;;#ASMEND
	;;#ASMSTART
	v_dot2_f32_f16 v0, v106, v114, v0
	;;#ASMEND
	s_wait_dscnt 0x6
	;;#ASMSTART
	v_dot2_f32_f16 v1, v103, v115, v1
	;;#ASMEND
	;;#ASMSTART
	v_dot2_f32_f16 v1, v104, v116, v1
	;;#ASMEND
	;;#ASMSTART
	v_dot2_f32_f16 v1, v105, v117, v1
	;;#ASMEND
	;;#ASMSTART
	v_dot2_f32_f16 v1, v106, v118, v1
	;;#ASMEND
	;; [unrolled: 13-line block ×8, first 2 shown]
	;;#ASMSTART
	v_dot2_f32_f16 v102, v107, v111, v102
	;;#ASMEND
	;;#ASMSTART
	v_dot2_f32_f16 v102, v108, v112, v102
	;;#ASMEND
	;;#ASMSTART
	v_dot2_f32_f16 v102, v109, v113, v102
	;;#ASMEND
	;;#ASMSTART
	v_dot2_f32_f16 v102, v110, v114, v102
	;;#ASMEND
	;;#ASMSTART
	v_dot2_f32_f16 v101, v107, v115, v101
	;;#ASMEND
	;;#ASMSTART
	v_dot2_f32_f16 v101, v108, v116, v101
	;;#ASMEND
	;;#ASMSTART
	v_dot2_f32_f16 v101, v109, v117, v101
	;;#ASMEND
	;;#ASMSTART
	v_dot2_f32_f16 v101, v110, v118, v101
	;;#ASMEND
	;;#ASMSTART
	v_dot2_f32_f16 v100, v107, v119, v100
	;;#ASMEND
	;;#ASMSTART
	v_dot2_f32_f16 v100, v108, v120, v100
	;;#ASMEND
	;;#ASMSTART
	v_dot2_f32_f16 v100, v109, v121, v100
	;;#ASMEND
	;;#ASMSTART
	v_dot2_f32_f16 v100, v110, v122, v100
	;;#ASMEND
	;;#ASMSTART
	v_dot2_f32_f16 v99, v107, v123, v99
	;;#ASMEND
	;;#ASMSTART
	v_dot2_f32_f16 v99, v108, v124, v99
	;;#ASMEND
	;;#ASMSTART
	v_dot2_f32_f16 v99, v109, v125, v99
	;;#ASMEND
	;;#ASMSTART
	v_dot2_f32_f16 v99, v110, v126, v99
	;;#ASMEND
	;;#ASMSTART
	v_dot2_f32_f16 v98, v107, v127, v98
	;;#ASMEND
	;;#ASMSTART
	v_dot2_f32_f16 v98, v108, v128, v98
	;;#ASMEND
	;;#ASMSTART
	v_dot2_f32_f16 v98, v109, v129, v98
	;;#ASMEND
	;;#ASMSTART
	v_dot2_f32_f16 v98, v110, v130, v98
	;;#ASMEND
	;;#ASMSTART
	v_dot2_f32_f16 v97, v107, v131, v97
	;;#ASMEND
	;;#ASMSTART
	v_dot2_f32_f16 v97, v108, v132, v97
	;;#ASMEND
	;;#ASMSTART
	v_dot2_f32_f16 v97, v109, v133, v97
	;;#ASMEND
	;;#ASMSTART
	v_dot2_f32_f16 v97, v110, v134, v97
	;;#ASMEND
	;;#ASMSTART
	v_dot2_f32_f16 v96, v107, v135, v96
	;;#ASMEND
	;;#ASMSTART
	v_dot2_f32_f16 v96, v108, v136, v96
	;;#ASMEND
	;;#ASMSTART
	v_dot2_f32_f16 v96, v109, v137, v96
	;;#ASMEND
	;;#ASMSTART
	v_dot2_f32_f16 v96, v110, v138, v96
	;;#ASMEND
	;;#ASMSTART
	v_dot2_f32_f16 v95, v107, v139, v95
	;;#ASMEND
	;;#ASMSTART
	v_dot2_f32_f16 v95, v108, v140, v95
	;;#ASMEND
	;;#ASMSTART
	v_dot2_f32_f16 v95, v109, v141, v95
	;;#ASMEND
	;;#ASMSTART
	v_dot2_f32_f16 v95, v110, v142, v95
	;;#ASMEND
	ds_load_b128 v[103:106], v61 offset:96
	ds_load_b128 v[107:110], v61 offset:4704
	;; [unrolled: 1-line block ×10, first 2 shown]
	s_wait_dscnt 0x7
	;;#ASMSTART
	v_dot2_f32_f16 v0, v103, v111, v0
	;;#ASMEND
	;;#ASMSTART
	v_dot2_f32_f16 v0, v104, v112, v0
	;;#ASMEND
	;;#ASMSTART
	v_dot2_f32_f16 v0, v105, v113, v0
	;;#ASMEND
	;;#ASMSTART
	v_dot2_f32_f16 v0, v106, v114, v0
	;;#ASMEND
	s_wait_dscnt 0x6
	;;#ASMSTART
	v_dot2_f32_f16 v1, v103, v115, v1
	;;#ASMEND
	;;#ASMSTART
	v_dot2_f32_f16 v1, v104, v116, v1
	;;#ASMEND
	;;#ASMSTART
	v_dot2_f32_f16 v1, v105, v117, v1
	;;#ASMEND
	;;#ASMSTART
	v_dot2_f32_f16 v1, v106, v118, v1
	;;#ASMEND
	;; [unrolled: 13-line block ×8, first 2 shown]
	;;#ASMSTART
	v_dot2_f32_f16 v102, v107, v111, v102
	;;#ASMEND
	;;#ASMSTART
	v_dot2_f32_f16 v102, v108, v112, v102
	;;#ASMEND
	;;#ASMSTART
	v_dot2_f32_f16 v102, v109, v113, v102
	;;#ASMEND
	;;#ASMSTART
	v_dot2_f32_f16 v102, v110, v114, v102
	;;#ASMEND
	;;#ASMSTART
	v_dot2_f32_f16 v101, v107, v115, v101
	;;#ASMEND
	;;#ASMSTART
	v_dot2_f32_f16 v101, v108, v116, v101
	;;#ASMEND
	;;#ASMSTART
	v_dot2_f32_f16 v101, v109, v117, v101
	;;#ASMEND
	;;#ASMSTART
	v_dot2_f32_f16 v101, v110, v118, v101
	;;#ASMEND
	;;#ASMSTART
	v_dot2_f32_f16 v100, v107, v119, v100
	;;#ASMEND
	;;#ASMSTART
	v_dot2_f32_f16 v100, v108, v120, v100
	;;#ASMEND
	;;#ASMSTART
	v_dot2_f32_f16 v100, v109, v121, v100
	;;#ASMEND
	;;#ASMSTART
	v_dot2_f32_f16 v100, v110, v122, v100
	;;#ASMEND
	;;#ASMSTART
	v_dot2_f32_f16 v99, v107, v123, v99
	;;#ASMEND
	;;#ASMSTART
	v_dot2_f32_f16 v99, v108, v124, v99
	;;#ASMEND
	;;#ASMSTART
	v_dot2_f32_f16 v99, v109, v125, v99
	;;#ASMEND
	;;#ASMSTART
	v_dot2_f32_f16 v99, v110, v126, v99
	;;#ASMEND
	;;#ASMSTART
	v_dot2_f32_f16 v98, v107, v127, v98
	;;#ASMEND
	;;#ASMSTART
	v_dot2_f32_f16 v98, v108, v128, v98
	;;#ASMEND
	;;#ASMSTART
	v_dot2_f32_f16 v98, v109, v129, v98
	;;#ASMEND
	;;#ASMSTART
	v_dot2_f32_f16 v98, v110, v130, v98
	;;#ASMEND
	;;#ASMSTART
	v_dot2_f32_f16 v97, v107, v131, v97
	;;#ASMEND
	;;#ASMSTART
	v_dot2_f32_f16 v97, v108, v132, v97
	;;#ASMEND
	;;#ASMSTART
	v_dot2_f32_f16 v97, v109, v133, v97
	;;#ASMEND
	;;#ASMSTART
	v_dot2_f32_f16 v97, v110, v134, v97
	;;#ASMEND
	;;#ASMSTART
	v_dot2_f32_f16 v96, v107, v135, v96
	;;#ASMEND
	;;#ASMSTART
	v_dot2_f32_f16 v96, v108, v136, v96
	;;#ASMEND
	;;#ASMSTART
	v_dot2_f32_f16 v96, v109, v137, v96
	;;#ASMEND
	;;#ASMSTART
	v_dot2_f32_f16 v96, v110, v138, v96
	;;#ASMEND
	;;#ASMSTART
	v_dot2_f32_f16 v95, v107, v139, v95
	;;#ASMEND
	;;#ASMSTART
	v_dot2_f32_f16 v95, v108, v140, v95
	;;#ASMEND
	;;#ASMSTART
	v_dot2_f32_f16 v95, v109, v141, v95
	;;#ASMEND
	;;#ASMSTART
	v_dot2_f32_f16 v95, v110, v142, v95
	;;#ASMEND
	ds_load_b128 v[103:106], v61 offset:112
	ds_load_b128 v[107:110], v61 offset:4720
	;; [unrolled: 1-line block ×10, first 2 shown]
	s_wait_dscnt 0x7
	;;#ASMSTART
	v_dot2_f32_f16 v0, v103, v111, v0
	;;#ASMEND
	;;#ASMSTART
	v_dot2_f32_f16 v0, v104, v112, v0
	;;#ASMEND
	;;#ASMSTART
	v_dot2_f32_f16 v0, v105, v113, v0
	;;#ASMEND
	;;#ASMSTART
	v_dot2_f32_f16 v0, v106, v114, v0
	;;#ASMEND
	s_wait_dscnt 0x6
	;;#ASMSTART
	v_dot2_f32_f16 v1, v103, v115, v1
	;;#ASMEND
	;;#ASMSTART
	v_dot2_f32_f16 v1, v104, v116, v1
	;;#ASMEND
	;;#ASMSTART
	v_dot2_f32_f16 v1, v105, v117, v1
	;;#ASMEND
	;;#ASMSTART
	v_dot2_f32_f16 v1, v106, v118, v1
	;;#ASMEND
	;; [unrolled: 13-line block ×8, first 2 shown]
	;;#ASMSTART
	v_dot2_f32_f16 v102, v107, v111, v102
	;;#ASMEND
	;;#ASMSTART
	v_dot2_f32_f16 v102, v108, v112, v102
	;;#ASMEND
	;; [unrolled: 3-line block ×23, first 2 shown]
	s_wait_alu 0xfffd
	v_cndmask_b32_e32 v103, v47, v55, vcc_lo
	v_cmp_gt_i32_e32 vcc_lo, 32, v52
	;;#ASMSTART
	v_dot2_f32_f16 v97, v110, v134, v97
	;;#ASMEND
	;;#ASMSTART
	v_dot2_f32_f16 v96, v107, v135, v96
	;;#ASMEND
	;; [unrolled: 3-line block ×7, first 2 shown]
	v_add_nc_u32_e32 v108, s10, v46
	s_wait_alu 0xfffd
	v_dual_cndmask_b32 v103, v47, v52 :: v_dual_lshlrev_b32 v112, 2, v103
	v_cmp_gt_i32_e32 vcc_lo, 32, v51
	;;#ASMSTART
	v_dot2_f32_f16 v95, v109, v141, v95
	;;#ASMEND
	;;#ASMSTART
	v_dot2_f32_f16 v95, v110, v142, v95
	;;#ASMEND
	s_delay_alu instid0(VALU_DEP_2) | instskip(SKIP_4) | instid1(VALU_DEP_2)
	v_lshlrev_b32_e32 v113, 2, v103
	s_wait_alu 0xfffd
	v_cndmask_b32_e32 v103, v47, v51, vcc_lo
	v_cmp_gt_i32_e32 vcc_lo, 32, v50
	s_wait_alu 0xfffd
	v_dual_cndmask_b32 v103, v47, v50 :: v_dual_lshlrev_b32 v114, 2, v103
	v_cmp_gt_i32_e32 vcc_lo, 32, v49
	s_delay_alu instid0(VALU_DEP_2) | instskip(SKIP_2) | instid1(VALU_DEP_1)
	v_lshlrev_b32_e32 v115, 2, v103
	s_wait_alu 0xfffd
	v_cndmask_b32_e32 v103, v47, v49, vcc_lo
	v_lshlrev_b32_e32 v116, 2, v103
	v_add_nc_u32_e32 v103, v108, v62
	s_delay_alu instid0(VALU_DEP_1) | instskip(NEXT) | instid1(VALU_DEP_1)
	v_ashrrev_i32_e32 v104, 31, v103
	v_lshlrev_b64_e32 v[103:104], 1, v[103:104]
	s_delay_alu instid0(VALU_DEP_1) | instskip(SKIP_1) | instid1(VALU_DEP_2)
	v_add_co_u32 v103, vcc_lo, s34, v103
	s_wait_alu 0xfffd
	v_add_co_ci_u32_e64 v104, null, s35, v104, vcc_lo
	s_clause 0x1
	global_load_u16 v105, v[103:104], off
	global_load_u16 v103, v[103:104], off offset:64
	s_wait_loadcnt 0x1
	v_cvt_f32_f16_e32 v105, v105
	s_wait_loadcnt 0x0
	v_cvt_f32_f16_e32 v103, v103
	s_delay_alu instid0(VALU_DEP_1) | instskip(SKIP_1) | instid1(VALU_DEP_2)
	v_dual_add_f32 v117, v0, v105 :: v_dual_add_f32 v118, v102, v103
	v_add_f32_e32 v111, v1, v105
	v_dual_add_f32 v103, v101, v103 :: v_dual_add_f32 v0, 0x40051340, v117
	s_delay_alu instid0(VALU_DEP_2) | instskip(NEXT) | instid1(VALU_DEP_2)
	v_dual_add_f32 v102, 0x40051340, v118 :: v_dual_add_f32 v1, 0x40051340, v111
	v_add_f32_e32 v101, 0x40051340, v103
	s_delay_alu instid0(VALU_DEP_2) | instskip(NEXT) | instid1(VALU_DEP_2)
	v_max3_num_f32 v0, v80, v0, v102
	v_max3_num_f32 v1, v94, v1, v101
	ds_bpermute_b32 v102, v112, v0
	ds_bpermute_b32 v101, v112, v1
	s_wait_dscnt 0x0
	v_dual_max_num_f32 v102, v102, v102 :: v_dual_max_num_f32 v101, v101, v101
	s_delay_alu instid0(VALU_DEP_1) | instskip(SKIP_4) | instid1(VALU_DEP_1)
	v_dual_max_num_f32 v0, v0, v102 :: v_dual_max_num_f32 v1, v1, v101
	ds_bpermute_b32 v102, v113, v0
	ds_bpermute_b32 v101, v113, v1
	s_wait_dscnt 0x0
	v_dual_max_num_f32 v102, v102, v102 :: v_dual_max_num_f32 v101, v101, v101
	v_dual_max_num_f32 v0, v0, v102 :: v_dual_max_num_f32 v1, v1, v101
	ds_bpermute_b32 v102, v114, v0
	ds_bpermute_b32 v101, v114, v1
	s_wait_dscnt 0x0
	v_dual_max_num_f32 v102, v102, v102 :: v_dual_max_num_f32 v101, v101, v101
	s_delay_alu instid0(VALU_DEP_1) | instskip(SKIP_4) | instid1(VALU_DEP_1)
	v_dual_max_num_f32 v0, v0, v102 :: v_dual_max_num_f32 v1, v1, v101
	ds_bpermute_b32 v102, v115, v0
	ds_bpermute_b32 v101, v115, v1
	s_wait_dscnt 0x0
	v_dual_max_num_f32 v102, v102, v102 :: v_dual_max_num_f32 v101, v101, v101
	v_dual_max_num_f32 v0, v0, v102 :: v_dual_max_num_f32 v1, v1, v101
	ds_bpermute_b32 v102, v116, v0
	ds_bpermute_b32 v101, v116, v1
	s_wait_dscnt 0x0
	v_dual_max_num_f32 v102, v102, v102 :: v_dual_max_num_f32 v101, v101, v101
	s_delay_alu instid0(VALU_DEP_1) | instskip(SKIP_1) | instid1(VALU_DEP_1)
	v_dual_max_num_f32 v0, v0, v102 :: v_dual_max_num_f32 v1, v1, v101
	v_add_nc_u32_e32 v101, v108, v63
	v_ashrrev_i32_e32 v102, 31, v101
	s_delay_alu instid0(VALU_DEP_1) | instskip(NEXT) | instid1(VALU_DEP_1)
	v_lshlrev_b64_e32 v[101:102], 1, v[101:102]
	v_add_co_u32 v101, vcc_lo, s34, v101
	s_wait_alu 0xfffd
	s_delay_alu instid0(VALU_DEP_2)
	v_add_co_ci_u32_e64 v102, null, s35, v102, vcc_lo
	s_clause 0x1
	global_load_u16 v104, v[101:102], off
	global_load_u16 v101, v[101:102], off offset:64
	s_wait_loadcnt 0x1
	v_cvt_f32_f16_e32 v104, v104
	s_wait_loadcnt 0x0
	v_cvt_f32_f16_e32 v101, v101
	s_delay_alu instid0(VALU_DEP_1) | instskip(SKIP_2) | instid1(VALU_DEP_3)
	v_dual_add_f32 v119, v2, v104 :: v_dual_add_f32 v120, v100, v101
	v_add_f32_e32 v107, v3, v104
	v_add_f32_e32 v110, v99, v101
	;; [unrolled: 1-line block ×3, first 2 shown]
	s_delay_alu instid0(VALU_DEP_3) | instskip(NEXT) | instid1(VALU_DEP_3)
	v_dual_add_f32 v100, 0x40051340, v120 :: v_dual_add_f32 v3, 0x40051340, v107
	v_add_f32_e32 v99, 0x40051340, v110
	s_delay_alu instid0(VALU_DEP_2) | instskip(NEXT) | instid1(VALU_DEP_2)
	v_max3_num_f32 v2, v93, v2, v100
	v_max3_num_f32 v3, v92, v3, v99
	ds_bpermute_b32 v100, v112, v2
	ds_bpermute_b32 v99, v112, v3
	s_wait_dscnt 0x0
	v_dual_max_num_f32 v100, v100, v100 :: v_dual_max_num_f32 v99, v99, v99
	s_delay_alu instid0(VALU_DEP_1)
	v_dual_max_num_f32 v2, v2, v100 :: v_dual_max_num_f32 v3, v3, v99
	ds_bpermute_b32 v100, v113, v2
	ds_bpermute_b32 v99, v113, v3
	s_wait_dscnt 0x1
	v_max_num_f32_e32 v100, v100, v100
	s_wait_dscnt 0x0
	v_dual_sub_f32 v94, v94, v1 :: v_dual_max_num_f32 v99, v99, v99
	s_delay_alu instid0(VALU_DEP_1) | instskip(SKIP_4) | instid1(VALU_DEP_1)
	v_dual_max_num_f32 v2, v2, v100 :: v_dual_max_num_f32 v3, v3, v99
	ds_bpermute_b32 v100, v114, v2
	ds_bpermute_b32 v99, v114, v3
	s_wait_dscnt 0x0
	v_dual_max_num_f32 v100, v100, v100 :: v_dual_max_num_f32 v99, v99, v99
	v_dual_max_num_f32 v2, v2, v100 :: v_dual_max_num_f32 v3, v3, v99
	ds_bpermute_b32 v100, v115, v2
	ds_bpermute_b32 v99, v115, v3
	s_wait_dscnt 0x0
	v_dual_max_num_f32 v100, v100, v100 :: v_dual_max_num_f32 v99, v99, v99
	s_delay_alu instid0(VALU_DEP_1) | instskip(SKIP_4) | instid1(VALU_DEP_1)
	v_dual_max_num_f32 v2, v2, v100 :: v_dual_max_num_f32 v3, v3, v99
	ds_bpermute_b32 v100, v116, v2
	ds_bpermute_b32 v99, v116, v3
	s_wait_dscnt 0x0
	v_dual_max_num_f32 v100, v100, v100 :: v_dual_max_num_f32 v99, v99, v99
	v_dual_max_num_f32 v2, v2, v100 :: v_dual_max_num_f32 v3, v3, v99
	v_add_nc_u32_e32 v99, v108, v64
	s_delay_alu instid0(VALU_DEP_2) | instskip(NEXT) | instid1(VALU_DEP_2)
	v_sub_f32_e32 v93, v93, v2
	v_ashrrev_i32_e32 v100, 31, v99
	s_delay_alu instid0(VALU_DEP_1) | instskip(NEXT) | instid1(VALU_DEP_1)
	v_lshlrev_b64_e32 v[99:100], 1, v[99:100]
	v_add_co_u32 v99, vcc_lo, s34, v99
	s_wait_alu 0xfffd
	s_delay_alu instid0(VALU_DEP_2)
	v_add_co_ci_u32_e64 v100, null, s35, v100, vcc_lo
	s_clause 0x1
	global_load_u16 v101, v[99:100], off
	global_load_u16 v99, v[99:100], off offset:64
	s_wait_loadcnt 0x1
	v_cvt_f32_f16_e32 v101, v101
	s_wait_loadcnt 0x0
	v_cvt_f32_f16_e32 v99, v99
	s_delay_alu instid0(VALU_DEP_1) | instskip(SKIP_2) | instid1(VALU_DEP_3)
	v_dual_add_f32 v106, v4, v101 :: v_dual_add_f32 v105, v98, v99
	v_add_f32_e32 v102, v5, v101
	v_add_f32_e32 v100, v97, v99
	v_add_f32_e32 v4, 0x40051340, v106
	s_delay_alu instid0(VALU_DEP_3) | instskip(NEXT) | instid1(VALU_DEP_3)
	v_dual_add_f32 v98, 0x40051340, v105 :: v_dual_add_f32 v5, 0x40051340, v102
	v_add_f32_e32 v97, 0x40051340, v100
	s_delay_alu instid0(VALU_DEP_2) | instskip(NEXT) | instid1(VALU_DEP_2)
	v_max3_num_f32 v4, v91, v4, v98
	v_max3_num_f32 v5, v90, v5, v97
	ds_bpermute_b32 v98, v112, v4
	ds_bpermute_b32 v97, v112, v5
	s_wait_dscnt 0x0
	v_dual_max_num_f32 v98, v98, v98 :: v_dual_max_num_f32 v97, v97, v97
	s_delay_alu instid0(VALU_DEP_1) | instskip(SKIP_4) | instid1(VALU_DEP_1)
	v_dual_max_num_f32 v4, v4, v98 :: v_dual_max_num_f32 v5, v5, v97
	ds_bpermute_b32 v98, v113, v4
	ds_bpermute_b32 v97, v113, v5
	s_wait_dscnt 0x0
	v_dual_max_num_f32 v98, v98, v98 :: v_dual_max_num_f32 v97, v97, v97
	v_dual_max_num_f32 v4, v4, v98 :: v_dual_max_num_f32 v5, v5, v97
	ds_bpermute_b32 v98, v114, v4
	ds_bpermute_b32 v97, v114, v5
	s_wait_dscnt 0x0
	v_dual_max_num_f32 v98, v98, v98 :: v_dual_max_num_f32 v97, v97, v97
	s_delay_alu instid0(VALU_DEP_1) | instskip(SKIP_4) | instid1(VALU_DEP_1)
	v_dual_max_num_f32 v4, v4, v98 :: v_dual_max_num_f32 v5, v5, v97
	ds_bpermute_b32 v98, v115, v4
	ds_bpermute_b32 v97, v115, v5
	s_wait_dscnt 0x0
	v_dual_max_num_f32 v98, v98, v98 :: v_dual_max_num_f32 v97, v97, v97
	v_dual_max_num_f32 v4, v4, v98 :: v_dual_max_num_f32 v5, v5, v97
	ds_bpermute_b32 v98, v116, v4
	ds_bpermute_b32 v97, v116, v5
	s_wait_dscnt 0x0
	v_dual_max_num_f32 v98, v98, v98 :: v_dual_max_num_f32 v97, v97, v97
	s_delay_alu instid0(VALU_DEP_1) | instskip(SKIP_1) | instid1(VALU_DEP_2)
	v_dual_max_num_f32 v4, v4, v98 :: v_dual_max_num_f32 v5, v5, v97
	v_add_nc_u32_e32 v97, v108, v65
	v_sub_f32_e32 v91, v91, v4
	s_delay_alu instid0(VALU_DEP_2) | instskip(NEXT) | instid1(VALU_DEP_1)
	v_ashrrev_i32_e32 v98, 31, v97
	v_lshlrev_b64_e32 v[97:98], 1, v[97:98]
	s_delay_alu instid0(VALU_DEP_1) | instskip(SKIP_1) | instid1(VALU_DEP_2)
	v_add_co_u32 v97, vcc_lo, s34, v97
	s_wait_alu 0xfffd
	v_add_co_ci_u32_e64 v98, null, s35, v98, vcc_lo
	s_clause 0x1
	global_load_u16 v99, v[97:98], off
	global_load_u16 v97, v[97:98], off offset:64
	s_wait_loadcnt 0x0
	s_barrier_signal -1
	s_barrier_wait -1
	global_inv scope:SCOPE_SE
	v_cvt_f32_f16_e32 v99, v99
	v_cvt_f32_f16_e32 v97, v97
	s_delay_alu instid0(VALU_DEP_2) | instskip(NEXT) | instid1(VALU_DEP_2)
	v_add_f32_e32 v109, v6, v99
	v_add_f32_e32 v101, v95, v97
	s_delay_alu instid0(VALU_DEP_1) | instskip(NEXT) | instid1(VALU_DEP_1)
	v_dual_add_f32 v104, v7, v99 :: v_dual_add_f32 v95, 0x40051340, v101
	v_dual_add_f32 v6, 0x40051340, v109 :: v_dual_add_f32 v7, 0x40051340, v104
	s_delay_alu instid0(VALU_DEP_1) | instskip(SKIP_3) | instid1(VALU_DEP_1)
	v_max3_num_f32 v7, v25, v7, v95
	ds_bpermute_b32 v95, v112, v7
	s_wait_dscnt 0x0
	v_dual_add_f32 v108, v96, v97 :: v_dual_max_num_f32 v95, v95, v95
	v_dual_add_f32 v96, 0x40051340, v108 :: v_dual_max_num_f32 v7, v7, v95
	s_delay_alu instid0(VALU_DEP_1) | instskip(SKIP_4) | instid1(VALU_DEP_1)
	v_max3_num_f32 v6, v89, v6, v96
	ds_bpermute_b32 v95, v113, v7
	ds_bpermute_b32 v96, v112, v6
	s_wait_dscnt 0x0
	v_dual_max_num_f32 v95, v95, v95 :: v_dual_max_num_f32 v96, v96, v96
	v_dual_max_num_f32 v7, v7, v95 :: v_dual_max_num_f32 v6, v6, v96
	ds_bpermute_b32 v95, v114, v7
	ds_bpermute_b32 v96, v113, v6
	s_wait_dscnt 0x0
	v_dual_max_num_f32 v95, v95, v95 :: v_dual_max_num_f32 v96, v96, v96
	s_delay_alu instid0(VALU_DEP_1) | instskip(SKIP_3) | instid1(VALU_DEP_1)
	v_dual_max_num_f32 v7, v7, v95 :: v_dual_max_num_f32 v6, v6, v96
	ds_bpermute_b32 v96, v114, v6
	s_wait_dscnt 0x0
	v_max_num_f32_e32 v96, v96, v96
	v_max_num_f32_e32 v6, v6, v96
	ds_bpermute_b32 v96, v115, v6
	s_wait_dscnt 0x0
	v_max_num_f32_e32 v96, v96, v96
	s_delay_alu instid0(VALU_DEP_1) | instskip(SKIP_3) | instid1(VALU_DEP_1)
	v_max_num_f32_e32 v6, v6, v96
	ds_bpermute_b32 v96, v116, v6
	s_wait_dscnt 0x0
	v_max_num_f32_e32 v96, v96, v96
	v_max_num_f32_e32 v6, v6, v96
	v_sub_f32_e32 v96, v80, v0
	v_sub_f32_e32 v80, v117, v0
	ds_bpermute_b32 v95, v115, v7
	v_sub_f32_e32 v92, v92, v3
	v_cmp_ngt_f32_e32 vcc_lo, 0xc2ce8ed0, v80
	s_wait_dscnt 0x0
	v_max_num_f32_e32 v95, v95, v95
	s_delay_alu instid0(VALU_DEP_1) | instskip(SKIP_3) | instid1(VALU_DEP_1)
	v_max_num_f32_e32 v7, v7, v95
	ds_bpermute_b32 v95, v116, v7
	s_wait_dscnt 0x0
	v_max_num_f32_e32 v95, v95, v95
	v_max_num_f32_e32 v7, v7, v95
	v_mul_f32_e32 v95, 0x3fb8aa3b, v80
	s_delay_alu instid0(VALU_DEP_1) | instskip(SKIP_1) | instid1(VALU_DEP_2)
	v_fma_f32 v97, 0x3fb8aa3b, v80, -v95
	v_rndne_f32_e32 v98, v95
	v_fmac_f32_e32 v97, 0x32a5705f, v80
	s_delay_alu instid0(VALU_DEP_2) | instskip(NEXT) | instid1(VALU_DEP_1)
	v_sub_f32_e32 v95, v95, v98
	v_add_f32_e32 v95, v95, v97
	v_cvt_i32_f32_e32 v97, v98
	s_delay_alu instid0(VALU_DEP_2) | instskip(NEXT) | instid1(TRANS32_DEP_1)
	v_exp_f32_e32 v95, v95
	v_ldexp_f32 v95, v95, v97
	s_wait_alu 0xfffd
	s_delay_alu instid0(VALU_DEP_1) | instskip(SKIP_2) | instid1(VALU_DEP_2)
	v_cndmask_b32_e32 v95, 0, v95, vcc_lo
	v_cmp_nlt_f32_e32 vcc_lo, 0x42b17218, v80
	s_wait_alu 0xfffd
	v_dual_cndmask_b32 v80, 0x7f800000, v95 :: v_dual_sub_f32 v95, v118, v0
	s_delay_alu instid0(VALU_DEP_1) | instskip(NEXT) | instid1(VALU_DEP_2)
	v_cvt_f16_f32_e32 v97, v80
	v_mul_f32_e32 v98, 0x3fb8aa3b, v95
	v_cmp_ngt_f32_e32 vcc_lo, 0xc2ce8ed0, v95
	s_delay_alu instid0(VALU_DEP_2) | instskip(SKIP_1) | instid1(VALU_DEP_1)
	v_fma_f32 v99, 0x3fb8aa3b, v95, -v98
	v_rndne_f32_e32 v112, v98
	v_dual_fmac_f32 v99, 0x32a5705f, v95 :: v_dual_sub_f32 v98, v98, v112
	s_delay_alu instid0(VALU_DEP_1) | instskip(SKIP_1) | instid1(VALU_DEP_2)
	v_add_f32_e32 v98, v98, v99
	v_cvt_i32_f32_e32 v99, v112
	v_exp_f32_e32 v98, v98
	s_delay_alu instid0(TRANS32_DEP_1) | instskip(SKIP_1) | instid1(VALU_DEP_1)
	v_ldexp_f32 v98, v98, v99
	s_wait_alu 0xfffd
	v_cndmask_b32_e32 v98, 0, v98, vcc_lo
	v_cmp_nlt_f32_e32 vcc_lo, 0x42b17218, v95
	s_wait_alu 0xfffd
	s_delay_alu instid0(VALU_DEP_2) | instskip(SKIP_2) | instid1(VALU_DEP_3)
	v_cndmask_b32_e32 v95, 0x7f800000, v98, vcc_lo
	v_mul_f32_e32 v98, 0x3fb8aa3b, v96
	v_cmp_ngt_f32_e32 vcc_lo, 0xc2ce8ed0, v96
	v_add_f32_e32 v80, v80, v95
	s_delay_alu instid0(VALU_DEP_3) | instskip(SKIP_1) | instid1(VALU_DEP_2)
	v_fma_f32 v99, 0x3fb8aa3b, v96, -v98
	v_rndne_f32_e32 v112, v98
	v_fmac_f32_e32 v99, 0x32a5705f, v96
	s_delay_alu instid0(VALU_DEP_2) | instskip(NEXT) | instid1(VALU_DEP_1)
	v_sub_f32_e32 v98, v98, v112
	v_add_f32_e32 v98, v98, v99
	v_cvt_i32_f32_e32 v99, v112
	s_delay_alu instid0(VALU_DEP_2) | instskip(NEXT) | instid1(TRANS32_DEP_1)
	v_exp_f32_e32 v98, v98
	v_ldexp_f32 v98, v98, v99
	s_wait_alu 0xfffd
	s_delay_alu instid0(VALU_DEP_1) | instskip(SKIP_2) | instid1(VALU_DEP_2)
	v_cndmask_b32_e32 v98, 0, v98, vcc_lo
	v_cmp_nlt_f32_e32 vcc_lo, 0x42b17218, v96
	s_wait_alu 0xfffd
	v_cndmask_b32_e32 v96, 0x7f800000, v98, vcc_lo
	s_delay_alu instid0(VALU_DEP_1) | instskip(SKIP_1) | instid1(VALU_DEP_1)
	v_fmac_f32_e32 v80, v81, v96
	v_cvt_f16_f32_e32 v81, v96
	v_and_b32_e32 v81, 0xffff, v81
	s_delay_alu instid0(VALU_DEP_1) | instskip(NEXT) | instid1(VALU_DEP_1)
	v_mul_u32_u24_e32 v81, 0x10001, v81
	v_pk_mul_f16 v88, v88, v81
	v_sub_f32_e32 v81, v111, v1
	s_delay_alu instid0(VALU_DEP_1) | instskip(SKIP_1) | instid1(VALU_DEP_2)
	v_mul_f32_e32 v96, 0x3fb8aa3b, v81
	v_cmp_ngt_f32_e32 vcc_lo, 0xc2ce8ed0, v81
	v_fma_f32 v98, 0x3fb8aa3b, v81, -v96
	v_rndne_f32_e32 v99, v96
	s_delay_alu instid0(VALU_DEP_2) | instskip(NEXT) | instid1(VALU_DEP_2)
	v_fmac_f32_e32 v98, 0x32a5705f, v81
	v_sub_f32_e32 v96, v96, v99
	v_cvt_f16_f32_e32 v95, v95
	s_delay_alu instid0(VALU_DEP_2) | instskip(SKIP_1) | instid1(VALU_DEP_2)
	v_add_f32_e32 v96, v96, v98
	v_cvt_i32_f32_e32 v98, v99
	v_exp_f32_e32 v96, v96
	s_delay_alu instid0(TRANS32_DEP_1) | instskip(SKIP_1) | instid1(VALU_DEP_1)
	v_ldexp_f32 v96, v96, v98
	s_wait_alu 0xfffd
	v_cndmask_b32_e32 v96, 0, v96, vcc_lo
	v_cmp_nlt_f32_e32 vcc_lo, 0x42b17218, v81
	s_wait_alu 0xfffd
	s_delay_alu instid0(VALU_DEP_2) | instskip(NEXT) | instid1(VALU_DEP_1)
	v_dual_cndmask_b32 v81, 0x7f800000, v96 :: v_dual_sub_f32 v96, v103, v1
	v_cvt_f16_f32_e32 v99, v81
	s_delay_alu instid0(VALU_DEP_2) | instskip(SKIP_1) | instid1(VALU_DEP_2)
	v_mul_f32_e32 v98, 0x3fb8aa3b, v96
	v_cmp_ngt_f32_e32 vcc_lo, 0xc2ce8ed0, v96
	v_fma_f32 v103, 0x3fb8aa3b, v96, -v98
	v_rndne_f32_e32 v111, v98
	s_delay_alu instid0(VALU_DEP_1) | instskip(NEXT) | instid1(VALU_DEP_1)
	v_dual_fmac_f32 v103, 0x32a5705f, v96 :: v_dual_sub_f32 v98, v98, v111
	v_add_f32_e32 v98, v98, v103
	v_cvt_i32_f32_e32 v103, v111
	s_delay_alu instid0(VALU_DEP_2) | instskip(NEXT) | instid1(TRANS32_DEP_1)
	v_exp_f32_e32 v98, v98
	v_ldexp_f32 v98, v98, v103
	s_wait_alu 0xfffd
	s_delay_alu instid0(VALU_DEP_1) | instskip(SKIP_2) | instid1(VALU_DEP_2)
	v_cndmask_b32_e32 v98, 0, v98, vcc_lo
	v_cmp_nlt_f32_e32 vcc_lo, 0x42b17218, v96
	s_wait_alu 0xfffd
	v_cndmask_b32_e32 v96, 0x7f800000, v98, vcc_lo
	v_mul_f32_e32 v98, 0x3fb8aa3b, v94
	v_cmp_ngt_f32_e32 vcc_lo, 0xc2ce8ed0, v94
	s_delay_alu instid0(VALU_DEP_3) | instskip(NEXT) | instid1(VALU_DEP_3)
	v_add_f32_e32 v81, v81, v96
	v_fma_f32 v103, 0x3fb8aa3b, v94, -v98
	v_rndne_f32_e32 v111, v98
	s_delay_alu instid0(VALU_DEP_1) | instskip(NEXT) | instid1(VALU_DEP_1)
	v_dual_fmac_f32 v103, 0x32a5705f, v94 :: v_dual_sub_f32 v98, v98, v111
	v_add_f32_e32 v98, v98, v103
	v_cvt_i32_f32_e32 v103, v111
	s_delay_alu instid0(VALU_DEP_2) | instskip(NEXT) | instid1(TRANS32_DEP_1)
	v_exp_f32_e32 v98, v98
	v_ldexp_f32 v98, v98, v103
	s_wait_alu 0xfffd
	s_delay_alu instid0(VALU_DEP_1) | instskip(SKIP_2) | instid1(VALU_DEP_2)
	v_cndmask_b32_e32 v98, 0, v98, vcc_lo
	v_cmp_nlt_f32_e32 vcc_lo, 0x42b17218, v94
	s_wait_alu 0xfffd
	v_cndmask_b32_e32 v94, 0x7f800000, v98, vcc_lo
	s_delay_alu instid0(VALU_DEP_1) | instskip(SKIP_1) | instid1(VALU_DEP_1)
	v_fmac_f32_e32 v81, v82, v94
	v_cvt_f16_f32_e32 v82, v94
	v_and_b32_e32 v82, 0xffff, v82
	s_delay_alu instid0(VALU_DEP_1) | instskip(NEXT) | instid1(VALU_DEP_1)
	v_mul_u32_u24_e32 v82, 0x10001, v82
	v_pk_mul_f16 v87, v87, v82
	v_sub_f32_e32 v82, v119, v2
	s_delay_alu instid0(VALU_DEP_1) | instskip(SKIP_1) | instid1(VALU_DEP_2)
	v_mul_f32_e32 v94, 0x3fb8aa3b, v82
	v_cmp_ngt_f32_e32 vcc_lo, 0xc2ce8ed0, v82
	v_fma_f32 v98, 0x3fb8aa3b, v82, -v94
	v_rndne_f32_e32 v103, v94
	s_delay_alu instid0(VALU_DEP_2) | instskip(NEXT) | instid1(VALU_DEP_2)
	v_fmac_f32_e32 v98, 0x32a5705f, v82
	v_sub_f32_e32 v94, v94, v103
	s_delay_alu instid0(VALU_DEP_1) | instskip(SKIP_1) | instid1(VALU_DEP_2)
	v_add_f32_e32 v94, v94, v98
	v_cvt_i32_f32_e32 v98, v103
	v_exp_f32_e32 v94, v94
	s_delay_alu instid0(TRANS32_DEP_1) | instskip(SKIP_1) | instid1(VALU_DEP_1)
	v_ldexp_f32 v94, v94, v98
	s_wait_alu 0xfffd
	v_cndmask_b32_e32 v94, 0, v94, vcc_lo
	v_cmp_nlt_f32_e32 vcc_lo, 0x42b17218, v82
	s_wait_alu 0xfffd
	s_delay_alu instid0(VALU_DEP_2) | instskip(SKIP_1) | instid1(VALU_DEP_2)
	v_cndmask_b32_e32 v82, 0x7f800000, v94, vcc_lo
	v_sub_f32_e32 v94, v120, v2
	v_cvt_f16_f32_e32 v103, v82
	s_delay_alu instid0(VALU_DEP_2) | instskip(SKIP_1) | instid1(VALU_DEP_2)
	v_mul_f32_e32 v98, 0x3fb8aa3b, v94
	v_cmp_ngt_f32_e32 vcc_lo, 0xc2ce8ed0, v94
	v_fma_f32 v111, 0x3fb8aa3b, v94, -v98
	v_rndne_f32_e32 v112, v98
	s_delay_alu instid0(VALU_DEP_1) | instskip(NEXT) | instid1(VALU_DEP_1)
	v_dual_fmac_f32 v111, 0x32a5705f, v94 :: v_dual_sub_f32 v98, v98, v112
	v_add_f32_e32 v98, v98, v111
	v_cvt_i32_f32_e32 v111, v112
	s_delay_alu instid0(VALU_DEP_2) | instskip(NEXT) | instid1(TRANS32_DEP_1)
	v_exp_f32_e32 v98, v98
	v_ldexp_f32 v98, v98, v111
	s_wait_alu 0xfffd
	s_delay_alu instid0(VALU_DEP_1) | instskip(SKIP_2) | instid1(VALU_DEP_2)
	v_cndmask_b32_e32 v98, 0, v98, vcc_lo
	v_cmp_nlt_f32_e32 vcc_lo, 0x42b17218, v94
	s_wait_alu 0xfffd
	v_cndmask_b32_e32 v94, 0x7f800000, v98, vcc_lo
	v_cmp_ngt_f32_e32 vcc_lo, 0xc2ce8ed0, v93
	s_delay_alu instid0(VALU_DEP_2) | instskip(SKIP_2) | instid1(VALU_DEP_1)
	v_add_f32_e32 v82, v82, v94
	v_cvt_f16_f32_e32 v98, v94
	v_mul_f32_e32 v94, 0x3fb8aa3b, v93
	v_fma_f32 v111, 0x3fb8aa3b, v93, -v94
	v_rndne_f32_e32 v112, v94
	s_delay_alu instid0(VALU_DEP_1) | instskip(NEXT) | instid1(VALU_DEP_1)
	v_dual_fmac_f32 v111, 0x32a5705f, v93 :: v_dual_sub_f32 v94, v94, v112
	v_add_f32_e32 v94, v94, v111
	v_cvt_i32_f32_e32 v111, v112
	s_delay_alu instid0(VALU_DEP_2) | instskip(NEXT) | instid1(TRANS32_DEP_1)
	v_exp_f32_e32 v94, v94
	v_ldexp_f32 v94, v94, v111
	s_wait_alu 0xfffd
	s_delay_alu instid0(VALU_DEP_1) | instskip(SKIP_2) | instid1(VALU_DEP_2)
	v_cndmask_b32_e32 v94, 0, v94, vcc_lo
	v_cmp_nlt_f32_e32 vcc_lo, 0x42b17218, v93
	s_wait_alu 0xfffd
	v_cndmask_b32_e32 v93, 0x7f800000, v94, vcc_lo
	s_delay_alu instid0(VALU_DEP_1) | instskip(SKIP_1) | instid1(VALU_DEP_1)
	v_fmac_f32_e32 v82, v83, v93
	v_cvt_f16_f32_e32 v83, v93
	v_and_b32_e32 v83, 0xffff, v83
	s_delay_alu instid0(VALU_DEP_1) | instskip(NEXT) | instid1(VALU_DEP_1)
	v_mul_u32_u24_e32 v83, 0x10001, v83
	v_pk_mul_f16 v93, v31, v83
	v_sub_f32_e32 v31, v107, v3
	s_delay_alu instid0(VALU_DEP_1) | instskip(SKIP_1) | instid1(VALU_DEP_2)
	v_mul_f32_e32 v83, 0x3fb8aa3b, v31
	v_cmp_ngt_f32_e32 vcc_lo, 0xc2ce8ed0, v31
	v_fma_f32 v94, 0x3fb8aa3b, v31, -v83
	v_rndne_f32_e32 v107, v83
	s_delay_alu instid0(VALU_DEP_2) | instskip(NEXT) | instid1(VALU_DEP_2)
	v_fmac_f32_e32 v94, 0x32a5705f, v31
	v_sub_f32_e32 v83, v83, v107
	v_cvt_f16_f32_e32 v96, v96
	s_delay_alu instid0(VALU_DEP_2) | instskip(SKIP_1) | instid1(VALU_DEP_2)
	v_add_f32_e32 v83, v83, v94
	v_cvt_i32_f32_e32 v94, v107
	v_exp_f32_e32 v83, v83
	s_delay_alu instid0(TRANS32_DEP_1) | instskip(SKIP_1) | instid1(VALU_DEP_1)
	v_ldexp_f32 v83, v83, v94
	s_wait_alu 0xfffd
	v_cndmask_b32_e32 v83, 0, v83, vcc_lo
	v_cmp_nlt_f32_e32 vcc_lo, 0x42b17218, v31
	s_wait_alu 0xfffd
	s_delay_alu instid0(VALU_DEP_2) | instskip(SKIP_1) | instid1(VALU_DEP_2)
	v_cndmask_b32_e32 v31, 0x7f800000, v83, vcc_lo
	v_sub_f32_e32 v83, v110, v3
	v_cvt_f16_f32_e32 v107, v31
	s_delay_alu instid0(VALU_DEP_2) | instskip(SKIP_1) | instid1(VALU_DEP_2)
	v_mul_f32_e32 v94, 0x3fb8aa3b, v83
	v_cmp_ngt_f32_e32 vcc_lo, 0xc2ce8ed0, v83
	v_fma_f32 v110, 0x3fb8aa3b, v83, -v94
	v_rndne_f32_e32 v111, v94
	s_delay_alu instid0(VALU_DEP_2) | instskip(NEXT) | instid1(VALU_DEP_2)
	v_fmac_f32_e32 v110, 0x32a5705f, v83
	v_sub_f32_e32 v94, v94, v111
	s_delay_alu instid0(VALU_DEP_1) | instskip(SKIP_1) | instid1(VALU_DEP_2)
	v_add_f32_e32 v94, v94, v110
	v_cvt_i32_f32_e32 v110, v111
	v_exp_f32_e32 v94, v94
	s_delay_alu instid0(TRANS32_DEP_1) | instskip(SKIP_1) | instid1(VALU_DEP_1)
	v_ldexp_f32 v94, v94, v110
	s_wait_alu 0xfffd
	v_cndmask_b32_e32 v94, 0, v94, vcc_lo
	v_cmp_nlt_f32_e32 vcc_lo, 0x42b17218, v83
	s_wait_alu 0xfffd
	s_delay_alu instid0(VALU_DEP_2) | instskip(SKIP_1) | instid1(VALU_DEP_2)
	v_cndmask_b32_e32 v94, 0x7f800000, v94, vcc_lo
	v_cmp_ngt_f32_e32 vcc_lo, 0xc2ce8ed0, v92
	v_add_f32_e32 v83, v31, v94
	v_cvt_f16_f32_e32 v31, v94
	v_mul_f32_e32 v94, 0x3fb8aa3b, v92
	s_delay_alu instid0(VALU_DEP_1) | instskip(SKIP_1) | instid1(VALU_DEP_2)
	v_fma_f32 v110, 0x3fb8aa3b, v92, -v94
	v_rndne_f32_e32 v111, v94
	v_fmac_f32_e32 v110, 0x32a5705f, v92
	s_delay_alu instid0(VALU_DEP_2) | instskip(NEXT) | instid1(VALU_DEP_1)
	v_sub_f32_e32 v94, v94, v111
	v_add_f32_e32 v94, v94, v110
	v_cvt_i32_f32_e32 v110, v111
	s_delay_alu instid0(VALU_DEP_2) | instskip(NEXT) | instid1(TRANS32_DEP_1)
	v_exp_f32_e32 v94, v94
	v_ldexp_f32 v94, v94, v110
	s_wait_alu 0xfffd
	s_delay_alu instid0(VALU_DEP_1) | instskip(SKIP_2) | instid1(VALU_DEP_2)
	v_cndmask_b32_e32 v94, 0, v94, vcc_lo
	v_cmp_nlt_f32_e32 vcc_lo, 0x42b17218, v92
	s_wait_alu 0xfffd
	v_cndmask_b32_e32 v92, 0x7f800000, v94, vcc_lo
	s_delay_alu instid0(VALU_DEP_1) | instskip(SKIP_1) | instid1(VALU_DEP_1)
	v_fmac_f32_e32 v83, v84, v92
	v_cvt_f16_f32_e32 v84, v92
	v_and_b32_e32 v84, 0xffff, v84
	s_delay_alu instid0(VALU_DEP_1) | instskip(NEXT) | instid1(VALU_DEP_1)
	v_mul_u32_u24_e32 v84, 0x10001, v84
	v_pk_mul_f16 v92, v30, v84
	v_sub_f32_e32 v30, v106, v4
	s_delay_alu instid0(VALU_DEP_1) | instskip(SKIP_1) | instid1(VALU_DEP_2)
	v_mul_f32_e32 v84, 0x3fb8aa3b, v30
	v_cmp_ngt_f32_e32 vcc_lo, 0xc2ce8ed0, v30
	v_fma_f32 v94, 0x3fb8aa3b, v30, -v84
	v_rndne_f32_e32 v106, v84
	s_delay_alu instid0(VALU_DEP_2) | instskip(NEXT) | instid1(VALU_DEP_2)
	v_fmac_f32_e32 v94, 0x32a5705f, v30
	v_sub_f32_e32 v84, v84, v106
	s_delay_alu instid0(VALU_DEP_1) | instskip(SKIP_1) | instid1(VALU_DEP_2)
	v_add_f32_e32 v84, v84, v94
	v_cvt_i32_f32_e32 v94, v106
	v_exp_f32_e32 v84, v84
	s_delay_alu instid0(TRANS32_DEP_1) | instskip(SKIP_1) | instid1(VALU_DEP_1)
	v_ldexp_f32 v84, v84, v94
	s_wait_alu 0xfffd
	v_cndmask_b32_e32 v84, 0, v84, vcc_lo
	v_cmp_nlt_f32_e32 vcc_lo, 0x42b17218, v30
	s_wait_alu 0xfffd
	s_delay_alu instid0(VALU_DEP_2) | instskip(SKIP_1) | instid1(VALU_DEP_2)
	v_cndmask_b32_e32 v30, 0x7f800000, v84, vcc_lo
	v_sub_f32_e32 v84, v105, v4
	v_cvt_f16_f32_e32 v106, v30
	s_delay_alu instid0(VALU_DEP_2) | instskip(SKIP_1) | instid1(VALU_DEP_2)
	v_mul_f32_e32 v94, 0x3fb8aa3b, v84
	v_cmp_ngt_f32_e32 vcc_lo, 0xc2ce8ed0, v84
	v_fma_f32 v105, 0x3fb8aa3b, v84, -v94
	v_rndne_f32_e32 v110, v94
	s_delay_alu instid0(VALU_DEP_1) | instskip(NEXT) | instid1(VALU_DEP_1)
	v_dual_fmac_f32 v105, 0x32a5705f, v84 :: v_dual_sub_f32 v94, v94, v110
	v_add_f32_e32 v94, v94, v105
	v_cvt_i32_f32_e32 v105, v110
	s_delay_alu instid0(VALU_DEP_2) | instskip(NEXT) | instid1(TRANS32_DEP_1)
	v_exp_f32_e32 v94, v94
	v_ldexp_f32 v94, v94, v105
	s_wait_alu 0xfffd
	s_delay_alu instid0(VALU_DEP_1) | instskip(SKIP_2) | instid1(VALU_DEP_2)
	v_cndmask_b32_e32 v94, 0, v94, vcc_lo
	v_cmp_nlt_f32_e32 vcc_lo, 0x42b17218, v84
	s_wait_alu 0xfffd
	v_cndmask_b32_e32 v94, 0x7f800000, v94, vcc_lo
	v_cmp_ngt_f32_e32 vcc_lo, 0xc2ce8ed0, v91
	s_delay_alu instid0(VALU_DEP_2) | instskip(SKIP_2) | instid1(VALU_DEP_1)
	v_add_f32_e32 v84, v30, v94
	v_cvt_f16_f32_e32 v30, v94
	v_mul_f32_e32 v94, 0x3fb8aa3b, v91
	v_fma_f32 v105, 0x3fb8aa3b, v91, -v94
	v_rndne_f32_e32 v110, v94
	s_delay_alu instid0(VALU_DEP_1) | instskip(NEXT) | instid1(VALU_DEP_1)
	v_dual_fmac_f32 v105, 0x32a5705f, v91 :: v_dual_sub_f32 v94, v94, v110
	v_add_f32_e32 v94, v94, v105
	v_cvt_i32_f32_e32 v105, v110
	s_delay_alu instid0(VALU_DEP_2) | instskip(NEXT) | instid1(TRANS32_DEP_1)
	v_exp_f32_e32 v94, v94
	v_ldexp_f32 v94, v94, v105
	s_wait_alu 0xfffd
	s_delay_alu instid0(VALU_DEP_1) | instskip(SKIP_2) | instid1(VALU_DEP_2)
	v_cndmask_b32_e32 v94, 0, v94, vcc_lo
	v_cmp_nlt_f32_e32 vcc_lo, 0x42b17218, v91
	s_wait_alu 0xfffd
	v_cndmask_b32_e32 v91, 0x7f800000, v94, vcc_lo
	s_delay_alu instid0(VALU_DEP_1) | instskip(SKIP_1) | instid1(VALU_DEP_1)
	v_fmac_f32_e32 v84, v85, v91
	v_cvt_f16_f32_e32 v85, v91
	v_and_b32_e32 v85, 0xffff, v85
	s_delay_alu instid0(VALU_DEP_1) | instskip(NEXT) | instid1(VALU_DEP_1)
	v_mul_u32_u24_e32 v85, 0x10001, v85
	v_pk_mul_f16 v91, v29, v85
	v_sub_f32_e32 v85, v102, v5
	v_sub_f32_e32 v29, v90, v5
	s_delay_alu instid0(VALU_DEP_2) | instskip(SKIP_1) | instid1(VALU_DEP_2)
	v_mul_f32_e32 v90, 0x3fb8aa3b, v85
	v_cmp_ngt_f32_e32 vcc_lo, 0xc2ce8ed0, v85
	v_fma_f32 v94, 0x3fb8aa3b, v85, -v90
	v_rndne_f32_e32 v102, v90
	s_delay_alu instid0(VALU_DEP_2) | instskip(NEXT) | instid1(VALU_DEP_2)
	v_fmac_f32_e32 v94, 0x32a5705f, v85
	v_sub_f32_e32 v90, v90, v102
	s_delay_alu instid0(VALU_DEP_1) | instskip(SKIP_1) | instid1(VALU_DEP_2)
	v_add_f32_e32 v90, v90, v94
	v_cvt_i32_f32_e32 v94, v102
	v_exp_f32_e32 v90, v90
	s_delay_alu instid0(TRANS32_DEP_1) | instskip(SKIP_1) | instid1(VALU_DEP_1)
	v_ldexp_f32 v90, v90, v94
	s_wait_alu 0xfffd
	v_cndmask_b32_e32 v90, 0, v90, vcc_lo
	v_cmp_nlt_f32_e32 vcc_lo, 0x42b17218, v85
	s_wait_alu 0xfffd
	s_delay_alu instid0(VALU_DEP_2) | instskip(NEXT) | instid1(VALU_DEP_1)
	v_dual_cndmask_b32 v85, 0x7f800000, v90 :: v_dual_sub_f32 v90, v100, v5
	v_cvt_f16_f32_e32 v102, v85
	s_delay_alu instid0(VALU_DEP_2) | instskip(SKIP_1) | instid1(VALU_DEP_2)
	v_mul_f32_e32 v94, 0x3fb8aa3b, v90
	v_cmp_ngt_f32_e32 vcc_lo, 0xc2ce8ed0, v90
	v_fma_f32 v100, 0x3fb8aa3b, v90, -v94
	v_rndne_f32_e32 v105, v94
	s_delay_alu instid0(VALU_DEP_2) | instskip(NEXT) | instid1(VALU_DEP_2)
	v_fmac_f32_e32 v100, 0x32a5705f, v90
	v_sub_f32_e32 v94, v94, v105
	s_delay_alu instid0(VALU_DEP_1) | instskip(SKIP_1) | instid1(VALU_DEP_2)
	v_add_f32_e32 v94, v94, v100
	v_cvt_i32_f32_e32 v100, v105
	v_exp_f32_e32 v94, v94
	s_delay_alu instid0(TRANS32_DEP_1) | instskip(SKIP_1) | instid1(VALU_DEP_1)
	v_ldexp_f32 v94, v94, v100
	s_wait_alu 0xfffd
	v_cndmask_b32_e32 v94, 0, v94, vcc_lo
	v_cmp_nlt_f32_e32 vcc_lo, 0x42b17218, v90
	s_wait_alu 0xfffd
	s_delay_alu instid0(VALU_DEP_2) | instskip(SKIP_1) | instid1(VALU_DEP_2)
	v_cndmask_b32_e32 v90, 0x7f800000, v94, vcc_lo
	v_cmp_ngt_f32_e32 vcc_lo, 0xc2ce8ed0, v29
	v_add_f32_e32 v85, v85, v90
	v_cvt_f16_f32_e32 v100, v90
	v_mul_f32_e32 v90, 0x3fb8aa3b, v29
	s_delay_alu instid0(VALU_DEP_1) | instskip(SKIP_1) | instid1(VALU_DEP_2)
	v_fma_f32 v94, 0x3fb8aa3b, v29, -v90
	v_rndne_f32_e32 v105, v90
	v_fmac_f32_e32 v94, 0x32a5705f, v29
	s_delay_alu instid0(VALU_DEP_2) | instskip(NEXT) | instid1(VALU_DEP_1)
	v_sub_f32_e32 v90, v90, v105
	v_add_f32_e32 v90, v90, v94
	v_cvt_i32_f32_e32 v94, v105
	s_delay_alu instid0(VALU_DEP_2) | instskip(NEXT) | instid1(TRANS32_DEP_1)
	v_exp_f32_e32 v90, v90
	v_ldexp_f32 v90, v90, v94
	s_wait_alu 0xfffd
	s_delay_alu instid0(VALU_DEP_1) | instskip(SKIP_2) | instid1(VALU_DEP_2)
	v_cndmask_b32_e32 v90, 0, v90, vcc_lo
	v_cmp_nlt_f32_e32 vcc_lo, 0x42b17218, v29
	s_wait_alu 0xfffd
	v_cndmask_b32_e32 v29, 0x7f800000, v90, vcc_lo
	s_delay_alu instid0(VALU_DEP_1) | instskip(SKIP_1) | instid1(VALU_DEP_1)
	v_fmac_f32_e32 v85, v86, v29
	v_cvt_f16_f32_e32 v29, v29
	v_and_b32_e32 v29, 0xffff, v29
	s_delay_alu instid0(VALU_DEP_1) | instskip(NEXT) | instid1(VALU_DEP_1)
	v_mul_u32_u24_e32 v29, 0x10001, v29
	v_pk_mul_f16 v90, v28, v29
	v_sub_f32_e32 v29, v109, v6
	v_sub_f32_e32 v28, v89, v6
	s_delay_alu instid0(VALU_DEP_2) | instskip(SKIP_1) | instid1(VALU_DEP_2)
	v_mul_f32_e32 v86, 0x3fb8aa3b, v29
	v_cmp_ngt_f32_e32 vcc_lo, 0xc2ce8ed0, v29
	v_fma_f32 v89, 0x3fb8aa3b, v29, -v86
	v_rndne_f32_e32 v94, v86
	s_delay_alu instid0(VALU_DEP_1) | instskip(NEXT) | instid1(VALU_DEP_1)
	v_dual_fmac_f32 v89, 0x32a5705f, v29 :: v_dual_sub_f32 v86, v86, v94
	v_add_f32_e32 v86, v86, v89
	v_cvt_i32_f32_e32 v89, v94
	s_delay_alu instid0(VALU_DEP_2) | instskip(NEXT) | instid1(TRANS32_DEP_1)
	v_exp_f32_e32 v86, v86
	v_ldexp_f32 v86, v86, v89
	s_wait_alu 0xfffd
	s_delay_alu instid0(VALU_DEP_1) | instskip(SKIP_2) | instid1(VALU_DEP_2)
	v_cndmask_b32_e32 v86, 0, v86, vcc_lo
	v_cmp_nlt_f32_e32 vcc_lo, 0x42b17218, v29
	s_wait_alu 0xfffd
	v_cndmask_b32_e32 v29, 0x7f800000, v86, vcc_lo
	v_sub_f32_e32 v86, v108, v6
	s_delay_alu instid0(VALU_DEP_2) | instskip(NEXT) | instid1(VALU_DEP_2)
	v_cvt_f16_f32_e32 v105, v29
	v_mul_f32_e32 v89, 0x3fb8aa3b, v86
	v_cmp_ngt_f32_e32 vcc_lo, 0xc2ce8ed0, v86
	s_delay_alu instid0(VALU_DEP_2) | instskip(SKIP_1) | instid1(VALU_DEP_1)
	v_fma_f32 v94, 0x3fb8aa3b, v86, -v89
	v_rndne_f32_e32 v108, v89
	v_dual_fmac_f32 v94, 0x32a5705f, v86 :: v_dual_sub_f32 v89, v89, v108
	s_delay_alu instid0(VALU_DEP_1) | instskip(SKIP_1) | instid1(VALU_DEP_2)
	v_add_f32_e32 v89, v89, v94
	v_cvt_i32_f32_e32 v94, v108
	v_exp_f32_e32 v89, v89
	s_delay_alu instid0(TRANS32_DEP_1) | instskip(SKIP_1) | instid1(VALU_DEP_1)
	v_ldexp_f32 v89, v89, v94
	s_wait_alu 0xfffd
	v_cndmask_b32_e32 v89, 0, v89, vcc_lo
	v_cmp_nlt_f32_e32 vcc_lo, 0x42b17218, v86
	s_wait_alu 0xfffd
	s_delay_alu instid0(VALU_DEP_2) | instskip(SKIP_1) | instid1(VALU_DEP_2)
	v_cndmask_b32_e32 v89, 0x7f800000, v89, vcc_lo
	v_cmp_ngt_f32_e32 vcc_lo, 0xc2ce8ed0, v28
	v_add_f32_e32 v86, v29, v89
	v_cvt_f16_f32_e32 v29, v89
	v_mul_f32_e32 v89, 0x3fb8aa3b, v28
	s_delay_alu instid0(VALU_DEP_1) | instskip(SKIP_1) | instid1(VALU_DEP_2)
	v_fma_f32 v94, 0x3fb8aa3b, v28, -v89
	v_rndne_f32_e32 v108, v89
	v_fmac_f32_e32 v94, 0x32a5705f, v28
	s_delay_alu instid0(VALU_DEP_2) | instskip(NEXT) | instid1(VALU_DEP_1)
	v_sub_f32_e32 v89, v89, v108
	v_add_f32_e32 v89, v89, v94
	v_cvt_i32_f32_e32 v94, v108
	s_delay_alu instid0(VALU_DEP_2) | instskip(NEXT) | instid1(TRANS32_DEP_1)
	v_exp_f32_e32 v89, v89
	v_ldexp_f32 v89, v89, v94
	s_wait_alu 0xfffd
	s_delay_alu instid0(VALU_DEP_1) | instskip(SKIP_2) | instid1(VALU_DEP_2)
	v_cndmask_b32_e32 v89, 0, v89, vcc_lo
	v_cmp_nlt_f32_e32 vcc_lo, 0x42b17218, v28
	s_wait_alu 0xfffd
	v_cndmask_b32_e32 v28, 0x7f800000, v89, vcc_lo
	s_delay_alu instid0(VALU_DEP_1) | instskip(SKIP_1) | instid1(VALU_DEP_1)
	v_fmac_f32_e32 v86, v24, v28
	v_cvt_f16_f32_e32 v24, v28
	v_and_b32_e32 v24, 0xffff, v24
	s_delay_alu instid0(VALU_DEP_1) | instskip(NEXT) | instid1(VALU_DEP_1)
	v_mul_u32_u24_e32 v24, 0x10001, v24
	v_pk_mul_f16 v89, v27, v24
	v_sub_f32_e32 v24, v25, v7
	v_sub_f32_e32 v25, v104, v7
	s_delay_alu instid0(VALU_DEP_1) | instskip(SKIP_1) | instid1(VALU_DEP_2)
	v_mul_f32_e32 v27, 0x3fb8aa3b, v25
	v_cmp_ngt_f32_e32 vcc_lo, 0xc2ce8ed0, v25
	v_fma_f32 v28, 0x3fb8aa3b, v25, -v27
	v_rndne_f32_e32 v94, v27
	s_delay_alu instid0(VALU_DEP_1) | instskip(NEXT) | instid1(VALU_DEP_1)
	v_dual_fmac_f32 v28, 0x32a5705f, v25 :: v_dual_sub_f32 v27, v27, v94
	v_add_f32_e32 v27, v27, v28
	v_cvt_i32_f32_e32 v28, v94
	s_delay_alu instid0(VALU_DEP_2) | instskip(NEXT) | instid1(TRANS32_DEP_1)
	v_exp_f32_e32 v27, v27
	v_ldexp_f32 v27, v27, v28
	v_sub_f32_e32 v28, v101, v7
	s_wait_alu 0xfffd
	s_delay_alu instid0(VALU_DEP_1) | instskip(SKIP_1) | instid1(VALU_DEP_2)
	v_dual_cndmask_b32 v27, 0, v27 :: v_dual_mul_f32 v94, 0x3fb8aa3b, v28
	v_cmp_nlt_f32_e32 vcc_lo, 0x42b17218, v25
	v_fma_f32 v101, 0x3fb8aa3b, v28, -v94
	v_rndne_f32_e32 v104, v94
	s_wait_alu 0xfffd
	v_cndmask_b32_e32 v25, 0x7f800000, v27, vcc_lo
	v_cmp_ngt_f32_e32 vcc_lo, 0xc2ce8ed0, v28
	v_fmac_f32_e32 v101, 0x32a5705f, v28
	v_sub_f32_e32 v94, v94, v104
	s_delay_alu instid0(VALU_DEP_4) | instskip(NEXT) | instid1(VALU_DEP_2)
	v_cvt_f16_f32_e32 v27, v25
	v_add_f32_e32 v94, v94, v101
	v_cvt_i32_f32_e32 v101, v104
	s_delay_alu instid0(VALU_DEP_3) | instskip(NEXT) | instid1(VALU_DEP_3)
	v_pack_b32_f16 v27, v105, v27
	v_exp_f32_e32 v94, v94
	s_delay_alu instid0(TRANS32_DEP_1) | instskip(SKIP_1) | instid1(VALU_DEP_1)
	v_ldexp_f32 v94, v94, v101
	s_wait_alu 0xfffd
	v_cndmask_b32_e32 v94, 0, v94, vcc_lo
	v_cmp_nlt_f32_e32 vcc_lo, 0x42b17218, v28
	s_wait_alu 0xfffd
	s_delay_alu instid0(VALU_DEP_2) | instskip(SKIP_2) | instid1(VALU_DEP_3)
	v_cndmask_b32_e32 v28, 0x7f800000, v94, vcc_lo
	v_mul_f32_e32 v94, 0x3fb8aa3b, v24
	v_cmp_ngt_f32_e32 vcc_lo, 0xc2ce8ed0, v24
	v_add_f32_e32 v25, v25, v28
	s_delay_alu instid0(VALU_DEP_3) | instskip(SKIP_2) | instid1(VALU_DEP_3)
	v_fma_f32 v101, 0x3fb8aa3b, v24, -v94
	v_rndne_f32_e32 v104, v94
	v_cvt_f16_f32_e32 v28, v28
	v_fmac_f32_e32 v101, 0x32a5705f, v24
	s_delay_alu instid0(VALU_DEP_3) | instskip(NEXT) | instid1(VALU_DEP_1)
	v_sub_f32_e32 v94, v94, v104
	v_add_f32_e32 v94, v94, v101
	v_cvt_i32_f32_e32 v101, v104
	s_delay_alu instid0(VALU_DEP_2) | instskip(NEXT) | instid1(TRANS32_DEP_1)
	v_exp_f32_e32 v94, v94
	v_ldexp_f32 v94, v94, v101
	s_wait_alu 0xfffd
	s_delay_alu instid0(VALU_DEP_1) | instskip(SKIP_2) | instid1(VALU_DEP_2)
	v_cndmask_b32_e32 v94, 0, v94, vcc_lo
	v_cmp_nlt_f32_e32 vcc_lo, 0x42b17218, v24
	s_wait_alu 0xfffd
	v_cndmask_b32_e32 v24, 0x7f800000, v94, vcc_lo
	v_dual_mov_b32 v94, v53 :: v_dual_mov_b32 v53, v25
	v_pack_b32_f16 v25, v103, v107
	s_delay_alu instid0(VALU_DEP_2) | instskip(SKIP_1) | instid1(VALU_DEP_1)
	v_fmac_f32_e32 v53, v94, v24
	v_cvt_f16_f32_e32 v24, v24
	v_and_b32_e32 v24, 0xffff, v24
	s_delay_alu instid0(VALU_DEP_1) | instskip(NEXT) | instid1(VALU_DEP_1)
	v_mul_u32_u24_e32 v24, 0x10001, v24
	v_pk_mul_f16 v94, v26, v24
	v_pack_b32_f16 v26, v106, v102
	v_pack_b32_f16 v24, v97, v99
	ds_store_b128 v72, v[24:27]
	v_pack_b32_f16 v27, v29, v28
	v_pack_b32_f16 v26, v30, v100
	;; [unrolled: 1-line block ×4, first 2 shown]
	ds_store_b128 v72, v[24:27] offset:512
	s_wait_alu 0xfffe
	v_add_co_u32 v24, vcc_lo, s24, v16
	s_wait_alu 0xfffd
	v_add_co_ci_u32_e64 v25, null, s25, v17, vcc_lo
	s_delay_alu instid0(VALU_DEP_2) | instskip(SKIP_1) | instid1(VALU_DEP_2)
	v_add_co_u32 v30, vcc_lo, v24, v71
	s_wait_alu 0xfffd
	v_add_co_ci_u32_e64 v31, null, 0, v25, vcc_lo
	v_add_co_u32 v24, vcc_lo, s24, v18
	s_wait_alu 0xfffd
	v_add_co_ci_u32_e64 v25, null, s25, v19, vcc_lo
	global_load_b128 v[95:98], v[30:31], off
	v_add_co_u32 v28, vcc_lo, v24, v71
	s_wait_alu 0xfffd
	v_add_co_ci_u32_e64 v29, null, 0, v25, vcc_lo
	v_add_co_u32 v24, vcc_lo, s24, v20
	s_wait_alu 0xfffd
	v_add_co_ci_u32_e64 v25, null, s25, v21, vcc_lo
	global_load_b128 v[28:31], v[28:29], off
	v_add_co_u32 v26, vcc_lo, v24, v71
	s_wait_alu 0xfffd
	v_add_co_ci_u32_e64 v27, null, 0, v25, vcc_lo
	v_add_co_u32 v24, vcc_lo, s24, v22
	s_wait_alu 0xfffd
	v_add_co_ci_u32_e64 v25, null, s25, v23, vcc_lo
	s_delay_alu instid0(VALU_DEP_2) | instskip(SKIP_1) | instid1(VALU_DEP_2)
	v_add_co_u32 v24, vcc_lo, v24, v71
	s_wait_alu 0xfffd
	v_add_co_ci_u32_e64 v25, null, 0, v25, vcc_lo
	s_wait_loadcnt 0x1
	ds_store_b128 v66, v[95:98]
	s_wait_loadcnt 0x0
	ds_store_b128 v68, v[28:31]
	global_load_b128 v[26:29], v[26:27], off
	s_wait_loadcnt 0x0
	ds_store_b128 v69, v[26:29]
	global_load_b128 v[24:27], v[24:25], off
	s_wait_loadcnt 0x0
	ds_store_b128 v70, v[24:27]
	s_wait_dscnt 0x0
	s_barrier_signal -1
	s_barrier_wait -1
	global_inv scope:SCOPE_SE
	ds_load_2addr_b32 v[103:104], v54 offset1:32
	ds_load_b128 v[24:27], v67
	ds_load_b128 v[28:31], v67 offset:16
	ds_load_b128 v[95:98], v67 offset:32
	;; [unrolled: 1-line block ×3, first 2 shown]
	s_wait_dscnt 0x3
	v_lshrrev_b32_e32 v105, 16, v24
	v_lshrrev_b32_e32 v106, 16, v25
	;; [unrolled: 1-line block ×3, first 2 shown]
	v_and_b32_e32 v24, 0xffff, v24
	v_and_b32_e32 v26, 0xffff, v26
	;; [unrolled: 1-line block ×3, first 2 shown]
	v_lshrrev_b32_e32 v108, 16, v27
	v_and_b32_e32 v27, 0xffff, v27
	v_mul_u32_u24_e32 v24, 0x10001, v24
	v_mul_u32_u24_e32 v106, 0x10001, v106
	;; [unrolled: 1-line block ×8, first 2 shown]
	v_pk_fma_f16 v24, v103, v24, v88
	v_pk_fma_f16 v88, v103, v106, v92
	;; [unrolled: 1-line block ×3, first 2 shown]
	s_wait_dscnt 0x2
	v_lshrrev_b32_e32 v91, 16, v28
	v_lshrrev_b32_e32 v92, 16, v29
	v_and_b32_e32 v28, 0xffff, v28
	v_and_b32_e32 v29, 0xffff, v29
	v_pk_fma_f16 v25, v103, v25, v93
	v_pk_fma_f16 v27, v103, v27, v89
	;; [unrolled: 1-line block ×3, first 2 shown]
	v_lshrrev_b32_e32 v93, 16, v30
	v_lshrrev_b32_e32 v94, 16, v31
	v_mul_u32_u24_e32 v28, 0x10001, v28
	v_mul_u32_u24_e32 v29, 0x10001, v29
	v_and_b32_e32 v30, 0xffff, v30
	v_and_b32_e32 v31, 0xffff, v31
	v_pk_fma_f16 v87, v103, v105, v87
	v_pk_fma_f16 v28, v104, v28, v24
	;; [unrolled: 1-line block ×3, first 2 shown]
	ds_load_2addr_b32 v[24:25], v54 offset0:64 offset1:96
	v_pk_fma_f16 v90, v103, v107, v90
	v_mul_u32_u24_e32 v91, 0x10001, v91
	v_mul_u32_u24_e32 v92, 0x10001, v92
	;; [unrolled: 1-line block ×6, first 2 shown]
	v_pk_fma_f16 v87, v104, v91, v87
	v_pk_fma_f16 v88, v104, v92, v88
	;; [unrolled: 1-line block ×6, first 2 shown]
	s_wait_dscnt 0x2
	v_lshrrev_b32_e32 v89, 16, v95
	v_lshrrev_b32_e32 v90, 16, v96
	;; [unrolled: 1-line block ×4, first 2 shown]
	v_and_b32_e32 v93, 0xffff, v95
	v_and_b32_e32 v94, 0xffff, v96
	;; [unrolled: 1-line block ×4, first 2 shown]
	v_mul_u32_u24_e32 v89, 0x10001, v89
	v_mul_u32_u24_e32 v93, 0x10001, v93
	;; [unrolled: 1-line block ×8, first 2 shown]
	s_wait_dscnt 0x0
	v_pk_fma_f16 v28, v24, v93, v28
	v_pk_fma_f16 v87, v24, v89, v87
	;; [unrolled: 1-line block ×8, first 2 shown]
	v_lshrrev_b32_e32 v31, 16, v99
	v_lshrrev_b32_e32 v89, 16, v100
	;; [unrolled: 1-line block ×4, first 2 shown]
	v_and_b32_e32 v92, 0xffff, v99
	v_and_b32_e32 v93, 0xffff, v100
	;; [unrolled: 1-line block ×4, first 2 shown]
	v_mul_u32_u24_e32 v31, 0x10001, v31
	v_mul_u32_u24_e32 v92, 0x10001, v92
	;; [unrolled: 1-line block ×8, first 2 shown]
	v_pk_fma_f16 v92, v25, v92, v28
	v_pk_fma_f16 v31, v25, v31, v87
	;; [unrolled: 1-line block ×8, first 2 shown]
	ds_load_2addr_b32 v[28:29], v54 offset0:128 offset1:160
	ds_load_b128 v[24:27], v67 offset:64
	s_wait_dscnt 0x0
	v_lshrrev_b32_e32 v93, 16, v24
	v_lshrrev_b32_e32 v94, 16, v25
	;; [unrolled: 1-line block ×4, first 2 shown]
	v_and_b32_e32 v24, 0xffff, v24
	v_and_b32_e32 v25, 0xffff, v25
	;; [unrolled: 1-line block ×4, first 2 shown]
	v_mul_u32_u24_e32 v93, 0x10001, v93
	v_mul_u32_u24_e32 v24, 0x10001, v24
	;; [unrolled: 1-line block ×6, first 2 shown]
	v_pk_fma_f16 v92, v28, v24, v92
	v_pk_fma_f16 v87, v28, v25, v87
	;; [unrolled: 1-line block ×4, first 2 shown]
	ds_load_b128 v[24:27], v67 offset:80
	v_mul_u32_u24_e32 v95, 0x10001, v95
	v_mul_u32_u24_e32 v96, 0x10001, v96
	v_pk_fma_f16 v31, v28, v93, v31
	v_pk_fma_f16 v88, v28, v94, v88
	s_delay_alu instid0(VALU_DEP_4) | instskip(NEXT) | instid1(VALU_DEP_4)
	v_pk_fma_f16 v30, v28, v95, v30
	v_pk_fma_f16 v28, v28, v96, v91
	s_wait_dscnt 0x0
	v_lshrrev_b32_e32 v91, 16, v24
	v_lshrrev_b32_e32 v93, 16, v25
	;; [unrolled: 1-line block ×4, first 2 shown]
	v_and_b32_e32 v24, 0xffff, v24
	v_and_b32_e32 v25, 0xffff, v25
	;; [unrolled: 1-line block ×4, first 2 shown]
	v_mul_u32_u24_e32 v91, 0x10001, v91
	v_mul_u32_u24_e32 v24, 0x10001, v24
	;; [unrolled: 1-line block ×8, first 2 shown]
	v_pk_fma_f16 v92, v29, v24, v92
	v_pk_fma_f16 v31, v29, v91, v31
	;; [unrolled: 1-line block ×8, first 2 shown]
	ds_load_2addr_b32 v[28:29], v54 offset0:192 offset1:224
	ds_load_b128 v[24:27], v67 offset:96
	s_wait_dscnt 0x0
	v_lshrrev_b32_e32 v93, 16, v24
	v_lshrrev_b32_e32 v94, 16, v25
	;; [unrolled: 1-line block ×4, first 2 shown]
	v_and_b32_e32 v24, 0xffff, v24
	v_and_b32_e32 v25, 0xffff, v25
	;; [unrolled: 1-line block ×4, first 2 shown]
	v_mul_u32_u24_e32 v93, 0x10001, v93
	v_mul_u32_u24_e32 v24, 0x10001, v24
	;; [unrolled: 1-line block ×6, first 2 shown]
	v_pk_fma_f16 v92, v28, v24, v92
	v_pk_fma_f16 v87, v28, v25, v87
	;; [unrolled: 1-line block ×4, first 2 shown]
	ds_load_b128 v[24:27], v67 offset:112
	v_mul_u32_u24_e32 v95, 0x10001, v95
	v_mul_u32_u24_e32 v96, 0x10001, v96
	v_pk_fma_f16 v31, v28, v93, v31
	v_pk_fma_f16 v88, v28, v94, v88
	s_delay_alu instid0(VALU_DEP_4) | instskip(NEXT) | instid1(VALU_DEP_4)
	v_pk_fma_f16 v30, v28, v95, v30
	v_pk_fma_f16 v28, v28, v96, v91
	s_wait_dscnt 0x0
	v_lshrrev_b32_e32 v91, 16, v24
	v_lshrrev_b32_e32 v93, 16, v25
	v_lshrrev_b32_e32 v94, 16, v26
	v_lshrrev_b32_e32 v95, 16, v27
	v_and_b32_e32 v24, 0xffff, v24
	v_and_b32_e32 v25, 0xffff, v25
	;; [unrolled: 1-line block ×4, first 2 shown]
	v_mul_u32_u24_e32 v91, 0x10001, v91
	v_mul_u32_u24_e32 v24, 0x10001, v24
	;; [unrolled: 1-line block ×8, first 2 shown]
	v_pk_fma_f16 v92, v29, v24, v92
	v_pk_fma_f16 v31, v29, v91, v31
	;; [unrolled: 1-line block ×8, first 2 shown]
	ds_load_2addr_b32 v[28:29], v73 offset1:32
	ds_load_b128 v[24:27], v67 offset:128
	s_wait_dscnt 0x0
	v_lshrrev_b32_e32 v93, 16, v24
	v_lshrrev_b32_e32 v94, 16, v25
	v_lshrrev_b32_e32 v95, 16, v26
	v_lshrrev_b32_e32 v96, 16, v27
	v_and_b32_e32 v24, 0xffff, v24
	v_and_b32_e32 v25, 0xffff, v25
	v_and_b32_e32 v26, 0xffff, v26
	v_and_b32_e32 v27, 0xffff, v27
	v_mul_u32_u24_e32 v93, 0x10001, v93
	v_mul_u32_u24_e32 v24, 0x10001, v24
	v_mul_u32_u24_e32 v25, 0x10001, v25
	v_mul_u32_u24_e32 v26, 0x10001, v26
	v_mul_u32_u24_e32 v27, 0x10001, v27
	v_mul_u32_u24_e32 v94, 0x10001, v94
	v_pk_fma_f16 v92, v28, v24, v92
	v_pk_fma_f16 v87, v28, v25, v87
	v_pk_fma_f16 v89, v28, v26, v89
	v_pk_fma_f16 v90, v28, v27, v90
	ds_load_b128 v[24:27], v67 offset:144
	v_mul_u32_u24_e32 v95, 0x10001, v95
	v_mul_u32_u24_e32 v96, 0x10001, v96
	v_pk_fma_f16 v31, v28, v93, v31
	v_pk_fma_f16 v88, v28, v94, v88
	s_delay_alu instid0(VALU_DEP_4) | instskip(NEXT) | instid1(VALU_DEP_4)
	v_pk_fma_f16 v30, v28, v95, v30
	v_pk_fma_f16 v28, v28, v96, v91
	s_wait_dscnt 0x0
	v_lshrrev_b32_e32 v91, 16, v24
	v_lshrrev_b32_e32 v93, 16, v25
	v_lshrrev_b32_e32 v94, 16, v26
	v_lshrrev_b32_e32 v95, 16, v27
	v_and_b32_e32 v24, 0xffff, v24
	v_and_b32_e32 v25, 0xffff, v25
	v_and_b32_e32 v26, 0xffff, v26
	v_and_b32_e32 v27, 0xffff, v27
	v_mul_u32_u24_e32 v91, 0x10001, v91
	v_mul_u32_u24_e32 v24, 0x10001, v24
	v_mul_u32_u24_e32 v25, 0x10001, v25
	v_mul_u32_u24_e32 v93, 0x10001, v93
	v_mul_u32_u24_e32 v26, 0x10001, v26
	v_mul_u32_u24_e32 v94, 0x10001, v94
	v_mul_u32_u24_e32 v27, 0x10001, v27
	v_mul_u32_u24_e32 v95, 0x10001, v95
	v_pk_fma_f16 v92, v29, v24, v92
	v_pk_fma_f16 v31, v29, v91, v31
	v_pk_fma_f16 v87, v29, v25, v87
	v_pk_fma_f16 v88, v29, v93, v88
	v_pk_fma_f16 v89, v29, v26, v89
	v_pk_fma_f16 v30, v29, v94, v30
	v_pk_fma_f16 v90, v29, v27, v90
	v_pk_fma_f16 v91, v29, v95, v28
	ds_load_2addr_b32 v[28:29], v73 offset0:64 offset1:96
	ds_load_b128 v[24:27], v67 offset:160
	s_wait_dscnt 0x0
	v_lshrrev_b32_e32 v93, 16, v24
	v_lshrrev_b32_e32 v94, 16, v25
	v_lshrrev_b32_e32 v95, 16, v26
	v_lshrrev_b32_e32 v96, 16, v27
	v_and_b32_e32 v24, 0xffff, v24
	v_and_b32_e32 v25, 0xffff, v25
	v_and_b32_e32 v26, 0xffff, v26
	v_and_b32_e32 v27, 0xffff, v27
	v_mul_u32_u24_e32 v93, 0x10001, v93
	v_mul_u32_u24_e32 v24, 0x10001, v24
	v_mul_u32_u24_e32 v25, 0x10001, v25
	v_mul_u32_u24_e32 v26, 0x10001, v26
	v_mul_u32_u24_e32 v27, 0x10001, v27
	v_mul_u32_u24_e32 v94, 0x10001, v94
	v_pk_fma_f16 v92, v28, v24, v92
	v_pk_fma_f16 v87, v28, v25, v87
	v_pk_fma_f16 v89, v28, v26, v89
	v_pk_fma_f16 v90, v28, v27, v90
	ds_load_b128 v[24:27], v67 offset:176
	v_mul_u32_u24_e32 v95, 0x10001, v95
	v_mul_u32_u24_e32 v96, 0x10001, v96
	v_pk_fma_f16 v31, v28, v93, v31
	v_pk_fma_f16 v88, v28, v94, v88
	s_delay_alu instid0(VALU_DEP_4) | instskip(NEXT) | instid1(VALU_DEP_4)
	v_pk_fma_f16 v30, v28, v95, v30
	v_pk_fma_f16 v28, v28, v96, v91
	s_wait_dscnt 0x0
	v_lshrrev_b32_e32 v91, 16, v24
	v_lshrrev_b32_e32 v93, 16, v25
	v_lshrrev_b32_e32 v94, 16, v26
	v_lshrrev_b32_e32 v95, 16, v27
	v_and_b32_e32 v24, 0xffff, v24
	v_and_b32_e32 v25, 0xffff, v25
	v_and_b32_e32 v26, 0xffff, v26
	v_and_b32_e32 v27, 0xffff, v27
	v_mul_u32_u24_e32 v91, 0x10001, v91
	v_mul_u32_u24_e32 v24, 0x10001, v24
	v_mul_u32_u24_e32 v25, 0x10001, v25
	v_mul_u32_u24_e32 v93, 0x10001, v93
	v_mul_u32_u24_e32 v26, 0x10001, v26
	v_mul_u32_u24_e32 v94, 0x10001, v94
	v_mul_u32_u24_e32 v27, 0x10001, v27
	v_mul_u32_u24_e32 v95, 0x10001, v95
	v_pk_fma_f16 v92, v29, v24, v92
	v_pk_fma_f16 v31, v29, v91, v31
	v_pk_fma_f16 v87, v29, v25, v87
	v_pk_fma_f16 v88, v29, v93, v88
	v_pk_fma_f16 v89, v29, v26, v89
	v_pk_fma_f16 v30, v29, v94, v30
	v_pk_fma_f16 v90, v29, v27, v90
	v_pk_fma_f16 v91, v29, v95, v28
	ds_load_2addr_b32 v[28:29], v73 offset0:128 offset1:160
	;; [unrolled: 54-line block ×3, first 2 shown]
	ds_load_b128 v[24:27], v67 offset:224
	s_wait_dscnt 0x0
	v_lshrrev_b32_e32 v93, 16, v24
	v_lshrrev_b32_e32 v94, 16, v25
	;; [unrolled: 1-line block ×4, first 2 shown]
	v_and_b32_e32 v24, 0xffff, v24
	v_and_b32_e32 v25, 0xffff, v25
	;; [unrolled: 1-line block ×4, first 2 shown]
	v_mul_u32_u24_e32 v93, 0x10001, v93
	v_mul_u32_u24_e32 v24, 0x10001, v24
	v_mul_u32_u24_e32 v25, 0x10001, v25
	v_mul_u32_u24_e32 v26, 0x10001, v26
	v_mul_u32_u24_e32 v27, 0x10001, v27
	v_mul_u32_u24_e32 v94, 0x10001, v94
	v_pk_fma_f16 v92, v28, v24, v92
	v_pk_fma_f16 v87, v28, v25, v87
	;; [unrolled: 1-line block ×4, first 2 shown]
	ds_load_b128 v[24:27], v67 offset:240
	v_mul_u32_u24_e32 v95, 0x10001, v95
	v_mul_u32_u24_e32 v96, 0x10001, v96
	v_pk_fma_f16 v31, v28, v93, v31
	v_pk_fma_f16 v88, v28, v94, v88
	s_delay_alu instid0(VALU_DEP_4) | instskip(NEXT) | instid1(VALU_DEP_4)
	v_pk_fma_f16 v30, v28, v95, v30
	v_pk_fma_f16 v28, v28, v96, v91
	s_wait_dscnt 0x0
	v_lshrrev_b32_e32 v91, 16, v24
	v_lshrrev_b32_e32 v93, 16, v25
	;; [unrolled: 1-line block ×4, first 2 shown]
	v_and_b32_e32 v24, 0xffff, v24
	v_and_b32_e32 v25, 0xffff, v25
	;; [unrolled: 1-line block ×4, first 2 shown]
	v_mul_u32_u24_e32 v91, 0x10001, v91
	v_mul_u32_u24_e32 v24, 0x10001, v24
	;; [unrolled: 1-line block ×8, first 2 shown]
	v_pk_fma_f16 v92, v29, v24, v92
	v_pk_fma_f16 v31, v29, v91, v31
	;; [unrolled: 1-line block ×8, first 2 shown]
	ds_load_2addr_b32 v[28:29], v74 offset1:32
	ds_load_b128 v[24:27], v67 offset:256
	s_wait_dscnt 0x0
	v_lshrrev_b32_e32 v93, 16, v24
	v_lshrrev_b32_e32 v94, 16, v25
	v_lshrrev_b32_e32 v95, 16, v26
	v_lshrrev_b32_e32 v96, 16, v27
	v_and_b32_e32 v24, 0xffff, v24
	v_and_b32_e32 v25, 0xffff, v25
	v_and_b32_e32 v26, 0xffff, v26
	v_and_b32_e32 v27, 0xffff, v27
	v_mul_u32_u24_e32 v93, 0x10001, v93
	v_mul_u32_u24_e32 v24, 0x10001, v24
	v_mul_u32_u24_e32 v25, 0x10001, v25
	v_mul_u32_u24_e32 v26, 0x10001, v26
	v_mul_u32_u24_e32 v27, 0x10001, v27
	v_mul_u32_u24_e32 v94, 0x10001, v94
	v_pk_fma_f16 v92, v28, v24, v92
	v_pk_fma_f16 v87, v28, v25, v87
	v_pk_fma_f16 v89, v28, v26, v89
	v_pk_fma_f16 v90, v28, v27, v90
	ds_load_b128 v[24:27], v67 offset:272
	v_mul_u32_u24_e32 v95, 0x10001, v95
	v_mul_u32_u24_e32 v96, 0x10001, v96
	v_pk_fma_f16 v31, v28, v93, v31
	v_pk_fma_f16 v88, v28, v94, v88
	s_delay_alu instid0(VALU_DEP_4) | instskip(NEXT) | instid1(VALU_DEP_4)
	v_pk_fma_f16 v30, v28, v95, v30
	v_pk_fma_f16 v28, v28, v96, v91
	s_wait_dscnt 0x0
	v_lshrrev_b32_e32 v91, 16, v24
	v_lshrrev_b32_e32 v93, 16, v25
	v_lshrrev_b32_e32 v94, 16, v26
	v_lshrrev_b32_e32 v95, 16, v27
	v_and_b32_e32 v24, 0xffff, v24
	v_and_b32_e32 v25, 0xffff, v25
	v_and_b32_e32 v26, 0xffff, v26
	v_and_b32_e32 v27, 0xffff, v27
	v_mul_u32_u24_e32 v91, 0x10001, v91
	v_mul_u32_u24_e32 v24, 0x10001, v24
	v_mul_u32_u24_e32 v25, 0x10001, v25
	v_mul_u32_u24_e32 v93, 0x10001, v93
	v_mul_u32_u24_e32 v26, 0x10001, v26
	v_mul_u32_u24_e32 v94, 0x10001, v94
	v_mul_u32_u24_e32 v27, 0x10001, v27
	v_mul_u32_u24_e32 v95, 0x10001, v95
	v_pk_fma_f16 v92, v29, v24, v92
	v_pk_fma_f16 v31, v29, v91, v31
	v_pk_fma_f16 v87, v29, v25, v87
	v_pk_fma_f16 v88, v29, v93, v88
	v_pk_fma_f16 v89, v29, v26, v89
	v_pk_fma_f16 v30, v29, v94, v30
	v_pk_fma_f16 v90, v29, v27, v90
	v_pk_fma_f16 v91, v29, v95, v28
	ds_load_2addr_b32 v[28:29], v74 offset0:64 offset1:96
	ds_load_b128 v[24:27], v67 offset:288
	s_wait_dscnt 0x0
	v_lshrrev_b32_e32 v93, 16, v24
	v_lshrrev_b32_e32 v94, 16, v25
	v_lshrrev_b32_e32 v95, 16, v26
	v_lshrrev_b32_e32 v96, 16, v27
	v_and_b32_e32 v24, 0xffff, v24
	v_and_b32_e32 v25, 0xffff, v25
	v_and_b32_e32 v26, 0xffff, v26
	v_and_b32_e32 v27, 0xffff, v27
	v_mul_u32_u24_e32 v93, 0x10001, v93
	v_mul_u32_u24_e32 v24, 0x10001, v24
	v_mul_u32_u24_e32 v25, 0x10001, v25
	v_mul_u32_u24_e32 v26, 0x10001, v26
	v_mul_u32_u24_e32 v27, 0x10001, v27
	v_mul_u32_u24_e32 v94, 0x10001, v94
	v_pk_fma_f16 v92, v28, v24, v92
	v_pk_fma_f16 v87, v28, v25, v87
	v_pk_fma_f16 v89, v28, v26, v89
	v_pk_fma_f16 v90, v28, v27, v90
	ds_load_b128 v[24:27], v67 offset:304
	v_mul_u32_u24_e32 v95, 0x10001, v95
	v_mul_u32_u24_e32 v96, 0x10001, v96
	v_pk_fma_f16 v31, v28, v93, v31
	v_pk_fma_f16 v88, v28, v94, v88
	s_delay_alu instid0(VALU_DEP_4) | instskip(NEXT) | instid1(VALU_DEP_4)
	v_pk_fma_f16 v30, v28, v95, v30
	v_pk_fma_f16 v28, v28, v96, v91
	s_wait_dscnt 0x0
	v_lshrrev_b32_e32 v91, 16, v24
	v_lshrrev_b32_e32 v93, 16, v25
	v_lshrrev_b32_e32 v94, 16, v26
	v_lshrrev_b32_e32 v95, 16, v27
	v_and_b32_e32 v24, 0xffff, v24
	v_and_b32_e32 v25, 0xffff, v25
	v_and_b32_e32 v26, 0xffff, v26
	v_and_b32_e32 v27, 0xffff, v27
	v_mul_u32_u24_e32 v91, 0x10001, v91
	v_mul_u32_u24_e32 v24, 0x10001, v24
	v_mul_u32_u24_e32 v25, 0x10001, v25
	v_mul_u32_u24_e32 v93, 0x10001, v93
	v_mul_u32_u24_e32 v26, 0x10001, v26
	v_mul_u32_u24_e32 v94, 0x10001, v94
	v_mul_u32_u24_e32 v27, 0x10001, v27
	v_mul_u32_u24_e32 v95, 0x10001, v95
	v_pk_fma_f16 v92, v29, v24, v92
	v_pk_fma_f16 v31, v29, v91, v31
	v_pk_fma_f16 v87, v29, v25, v87
	v_pk_fma_f16 v88, v29, v93, v88
	v_pk_fma_f16 v89, v29, v26, v89
	v_pk_fma_f16 v30, v29, v94, v30
	v_pk_fma_f16 v90, v29, v27, v90
	v_pk_fma_f16 v91, v29, v95, v28
	ds_load_2addr_b32 v[28:29], v74 offset0:128 offset1:160
	;; [unrolled: 54-line block ×3, first 2 shown]
	ds_load_b128 v[24:27], v67 offset:352
	s_wait_dscnt 0x0
	v_lshrrev_b32_e32 v93, 16, v24
	v_lshrrev_b32_e32 v94, 16, v25
	;; [unrolled: 1-line block ×4, first 2 shown]
	v_and_b32_e32 v24, 0xffff, v24
	v_and_b32_e32 v25, 0xffff, v25
	;; [unrolled: 1-line block ×4, first 2 shown]
	v_mul_u32_u24_e32 v93, 0x10001, v93
	v_mul_u32_u24_e32 v24, 0x10001, v24
	;; [unrolled: 1-line block ×6, first 2 shown]
	v_pk_fma_f16 v92, v28, v24, v92
	v_pk_fma_f16 v87, v28, v25, v87
	;; [unrolled: 1-line block ×4, first 2 shown]
	ds_load_b128 v[24:27], v67 offset:368
	v_mul_u32_u24_e32 v95, 0x10001, v95
	v_mul_u32_u24_e32 v96, 0x10001, v96
	v_pk_fma_f16 v31, v28, v93, v31
	v_pk_fma_f16 v88, v28, v94, v88
	s_delay_alu instid0(VALU_DEP_4) | instskip(NEXT) | instid1(VALU_DEP_4)
	v_pk_fma_f16 v30, v28, v95, v30
	v_pk_fma_f16 v28, v28, v96, v91
	s_wait_dscnt 0x0
	v_lshrrev_b32_e32 v91, 16, v24
	v_lshrrev_b32_e32 v93, 16, v25
	;; [unrolled: 1-line block ×4, first 2 shown]
	v_and_b32_e32 v24, 0xffff, v24
	v_and_b32_e32 v25, 0xffff, v25
	;; [unrolled: 1-line block ×4, first 2 shown]
	v_mul_u32_u24_e32 v91, 0x10001, v91
	v_mul_u32_u24_e32 v24, 0x10001, v24
	;; [unrolled: 1-line block ×8, first 2 shown]
	v_pk_fma_f16 v92, v29, v24, v92
	v_pk_fma_f16 v31, v29, v91, v31
	;; [unrolled: 1-line block ×8, first 2 shown]
	ds_load_2addr_b32 v[28:29], v75 offset1:32
	ds_load_b128 v[24:27], v67 offset:384
	s_wait_dscnt 0x0
	v_lshrrev_b32_e32 v93, 16, v24
	v_lshrrev_b32_e32 v94, 16, v25
	v_lshrrev_b32_e32 v95, 16, v26
	v_lshrrev_b32_e32 v96, 16, v27
	v_and_b32_e32 v24, 0xffff, v24
	v_and_b32_e32 v25, 0xffff, v25
	v_and_b32_e32 v26, 0xffff, v26
	v_and_b32_e32 v27, 0xffff, v27
	v_mul_u32_u24_e32 v93, 0x10001, v93
	v_mul_u32_u24_e32 v24, 0x10001, v24
	v_mul_u32_u24_e32 v25, 0x10001, v25
	v_mul_u32_u24_e32 v26, 0x10001, v26
	v_mul_u32_u24_e32 v27, 0x10001, v27
	v_mul_u32_u24_e32 v94, 0x10001, v94
	v_pk_fma_f16 v92, v28, v24, v92
	v_pk_fma_f16 v87, v28, v25, v87
	v_pk_fma_f16 v89, v28, v26, v89
	v_pk_fma_f16 v90, v28, v27, v90
	ds_load_b128 v[24:27], v67 offset:400
	v_mul_u32_u24_e32 v95, 0x10001, v95
	v_mul_u32_u24_e32 v96, 0x10001, v96
	v_pk_fma_f16 v31, v28, v93, v31
	v_pk_fma_f16 v88, v28, v94, v88
	s_delay_alu instid0(VALU_DEP_4) | instskip(NEXT) | instid1(VALU_DEP_4)
	v_pk_fma_f16 v30, v28, v95, v30
	v_pk_fma_f16 v28, v28, v96, v91
	s_wait_dscnt 0x0
	v_lshrrev_b32_e32 v91, 16, v24
	v_lshrrev_b32_e32 v93, 16, v25
	v_lshrrev_b32_e32 v94, 16, v26
	v_lshrrev_b32_e32 v95, 16, v27
	v_and_b32_e32 v24, 0xffff, v24
	v_and_b32_e32 v25, 0xffff, v25
	v_and_b32_e32 v26, 0xffff, v26
	v_and_b32_e32 v27, 0xffff, v27
	v_mul_u32_u24_e32 v91, 0x10001, v91
	v_mul_u32_u24_e32 v24, 0x10001, v24
	v_mul_u32_u24_e32 v25, 0x10001, v25
	v_mul_u32_u24_e32 v93, 0x10001, v93
	v_mul_u32_u24_e32 v26, 0x10001, v26
	v_mul_u32_u24_e32 v94, 0x10001, v94
	v_mul_u32_u24_e32 v27, 0x10001, v27
	v_mul_u32_u24_e32 v95, 0x10001, v95
	v_pk_fma_f16 v92, v29, v24, v92
	v_pk_fma_f16 v31, v29, v91, v31
	v_pk_fma_f16 v87, v29, v25, v87
	v_pk_fma_f16 v88, v29, v93, v88
	v_pk_fma_f16 v89, v29, v26, v89
	v_pk_fma_f16 v30, v29, v94, v30
	v_pk_fma_f16 v90, v29, v27, v90
	v_pk_fma_f16 v91, v29, v95, v28
	ds_load_2addr_b32 v[28:29], v75 offset0:64 offset1:96
	ds_load_b128 v[24:27], v67 offset:416
	s_wait_dscnt 0x0
	v_lshrrev_b32_e32 v93, 16, v24
	v_lshrrev_b32_e32 v94, 16, v25
	v_lshrrev_b32_e32 v95, 16, v26
	v_lshrrev_b32_e32 v96, 16, v27
	v_and_b32_e32 v24, 0xffff, v24
	v_and_b32_e32 v25, 0xffff, v25
	v_and_b32_e32 v26, 0xffff, v26
	v_and_b32_e32 v27, 0xffff, v27
	v_mul_u32_u24_e32 v93, 0x10001, v93
	v_mul_u32_u24_e32 v24, 0x10001, v24
	v_mul_u32_u24_e32 v25, 0x10001, v25
	v_mul_u32_u24_e32 v26, 0x10001, v26
	v_mul_u32_u24_e32 v27, 0x10001, v27
	v_mul_u32_u24_e32 v94, 0x10001, v94
	v_pk_fma_f16 v92, v28, v24, v92
	v_pk_fma_f16 v87, v28, v25, v87
	v_pk_fma_f16 v89, v28, v26, v89
	v_pk_fma_f16 v90, v28, v27, v90
	ds_load_b128 v[24:27], v67 offset:432
	v_mul_u32_u24_e32 v95, 0x10001, v95
	v_mul_u32_u24_e32 v96, 0x10001, v96
	v_pk_fma_f16 v31, v28, v93, v31
	v_pk_fma_f16 v88, v28, v94, v88
	s_delay_alu instid0(VALU_DEP_4) | instskip(NEXT) | instid1(VALU_DEP_4)
	v_pk_fma_f16 v30, v28, v95, v30
	v_pk_fma_f16 v28, v28, v96, v91
	s_wait_dscnt 0x0
	v_lshrrev_b32_e32 v91, 16, v24
	v_lshrrev_b32_e32 v93, 16, v25
	v_lshrrev_b32_e32 v94, 16, v26
	v_lshrrev_b32_e32 v95, 16, v27
	v_and_b32_e32 v24, 0xffff, v24
	v_and_b32_e32 v25, 0xffff, v25
	v_and_b32_e32 v26, 0xffff, v26
	v_and_b32_e32 v27, 0xffff, v27
	v_mul_u32_u24_e32 v91, 0x10001, v91
	v_mul_u32_u24_e32 v24, 0x10001, v24
	v_mul_u32_u24_e32 v25, 0x10001, v25
	v_mul_u32_u24_e32 v93, 0x10001, v93
	v_mul_u32_u24_e32 v26, 0x10001, v26
	v_mul_u32_u24_e32 v94, 0x10001, v94
	v_mul_u32_u24_e32 v27, 0x10001, v27
	v_mul_u32_u24_e32 v95, 0x10001, v95
	v_pk_fma_f16 v92, v29, v24, v92
	v_pk_fma_f16 v31, v29, v91, v31
	v_pk_fma_f16 v87, v29, v25, v87
	v_pk_fma_f16 v88, v29, v93, v88
	v_pk_fma_f16 v89, v29, v26, v89
	v_pk_fma_f16 v30, v29, v94, v30
	v_pk_fma_f16 v90, v29, v27, v90
	v_pk_fma_f16 v91, v29, v95, v28
	ds_load_2addr_b32 v[28:29], v75 offset0:128 offset1:160
	;; [unrolled: 54-line block ×3, first 2 shown]
	ds_load_b128 v[24:27], v67 offset:480
	s_wait_dscnt 0x0
	v_lshrrev_b32_e32 v93, 16, v24
	v_lshrrev_b32_e32 v94, 16, v25
	;; [unrolled: 1-line block ×4, first 2 shown]
	v_and_b32_e32 v24, 0xffff, v24
	v_and_b32_e32 v25, 0xffff, v25
	;; [unrolled: 1-line block ×4, first 2 shown]
	v_mul_u32_u24_e32 v93, 0x10001, v93
	v_mul_u32_u24_e32 v24, 0x10001, v24
	;; [unrolled: 1-line block ×6, first 2 shown]
	v_pk_fma_f16 v92, v28, v24, v92
	v_pk_fma_f16 v87, v28, v25, v87
	v_pk_fma_f16 v89, v28, v26, v89
	v_pk_fma_f16 v90, v28, v27, v90
	ds_load_b128 v[24:27], v67 offset:496
	v_mul_u32_u24_e32 v95, 0x10001, v95
	v_mul_u32_u24_e32 v96, 0x10001, v96
	v_pk_fma_f16 v31, v28, v93, v31
	v_pk_fma_f16 v88, v28, v94, v88
	s_delay_alu instid0(VALU_DEP_4) | instskip(NEXT) | instid1(VALU_DEP_4)
	v_pk_fma_f16 v30, v28, v95, v30
	v_pk_fma_f16 v28, v28, v96, v91
	s_wait_dscnt 0x0
	v_lshrrev_b32_e32 v91, 16, v24
	v_lshrrev_b32_e32 v93, 16, v25
	v_lshrrev_b32_e32 v94, 16, v26
	v_lshrrev_b32_e32 v95, 16, v27
	v_and_b32_e32 v24, 0xffff, v24
	v_and_b32_e32 v25, 0xffff, v25
	v_and_b32_e32 v26, 0xffff, v26
	v_and_b32_e32 v27, 0xffff, v27
	v_mul_u32_u24_e32 v91, 0x10001, v91
	v_mul_u32_u24_e32 v24, 0x10001, v24
	;; [unrolled: 1-line block ×8, first 2 shown]
	v_pk_fma_f16 v92, v29, v24, v92
	v_pk_fma_f16 v31, v29, v91, v31
	;; [unrolled: 1-line block ×8, first 2 shown]
	ds_load_2addr_b32 v[28:29], v76 offset1:32
	ds_load_b128 v[24:27], v67 offset:512
	s_wait_dscnt 0x0
	v_lshrrev_b32_e32 v93, 16, v24
	v_lshrrev_b32_e32 v94, 16, v25
	v_lshrrev_b32_e32 v95, 16, v26
	v_lshrrev_b32_e32 v96, 16, v27
	v_and_b32_e32 v24, 0xffff, v24
	v_and_b32_e32 v25, 0xffff, v25
	v_and_b32_e32 v26, 0xffff, v26
	v_and_b32_e32 v27, 0xffff, v27
	v_mul_u32_u24_e32 v93, 0x10001, v93
	v_mul_u32_u24_e32 v24, 0x10001, v24
	v_mul_u32_u24_e32 v25, 0x10001, v25
	v_mul_u32_u24_e32 v26, 0x10001, v26
	v_mul_u32_u24_e32 v27, 0x10001, v27
	v_mul_u32_u24_e32 v94, 0x10001, v94
	v_pk_fma_f16 v92, v28, v24, v92
	v_pk_fma_f16 v87, v28, v25, v87
	v_pk_fma_f16 v89, v28, v26, v89
	v_pk_fma_f16 v90, v28, v27, v90
	ds_load_b128 v[24:27], v67 offset:528
	v_mul_u32_u24_e32 v95, 0x10001, v95
	v_mul_u32_u24_e32 v96, 0x10001, v96
	v_pk_fma_f16 v31, v28, v93, v31
	v_pk_fma_f16 v88, v28, v94, v88
	s_delay_alu instid0(VALU_DEP_4) | instskip(NEXT) | instid1(VALU_DEP_4)
	v_pk_fma_f16 v30, v28, v95, v30
	v_pk_fma_f16 v28, v28, v96, v91
	s_wait_dscnt 0x0
	v_lshrrev_b32_e32 v91, 16, v24
	v_lshrrev_b32_e32 v93, 16, v25
	v_lshrrev_b32_e32 v94, 16, v26
	v_lshrrev_b32_e32 v95, 16, v27
	v_and_b32_e32 v24, 0xffff, v24
	v_and_b32_e32 v25, 0xffff, v25
	v_and_b32_e32 v26, 0xffff, v26
	v_and_b32_e32 v27, 0xffff, v27
	v_mul_u32_u24_e32 v91, 0x10001, v91
	v_mul_u32_u24_e32 v24, 0x10001, v24
	v_mul_u32_u24_e32 v25, 0x10001, v25
	v_mul_u32_u24_e32 v93, 0x10001, v93
	v_mul_u32_u24_e32 v26, 0x10001, v26
	v_mul_u32_u24_e32 v94, 0x10001, v94
	v_mul_u32_u24_e32 v27, 0x10001, v27
	v_mul_u32_u24_e32 v95, 0x10001, v95
	v_pk_fma_f16 v92, v29, v24, v92
	v_pk_fma_f16 v31, v29, v91, v31
	v_pk_fma_f16 v87, v29, v25, v87
	v_pk_fma_f16 v88, v29, v93, v88
	v_pk_fma_f16 v89, v29, v26, v89
	v_pk_fma_f16 v30, v29, v94, v30
	v_pk_fma_f16 v90, v29, v27, v90
	v_pk_fma_f16 v91, v29, v95, v28
	ds_load_2addr_b32 v[28:29], v76 offset0:64 offset1:96
	ds_load_b128 v[24:27], v67 offset:544
	s_wait_dscnt 0x0
	v_lshrrev_b32_e32 v93, 16, v24
	v_lshrrev_b32_e32 v94, 16, v25
	v_lshrrev_b32_e32 v95, 16, v26
	v_lshrrev_b32_e32 v96, 16, v27
	v_and_b32_e32 v24, 0xffff, v24
	v_and_b32_e32 v25, 0xffff, v25
	v_and_b32_e32 v26, 0xffff, v26
	v_and_b32_e32 v27, 0xffff, v27
	v_mul_u32_u24_e32 v93, 0x10001, v93
	v_mul_u32_u24_e32 v24, 0x10001, v24
	v_mul_u32_u24_e32 v25, 0x10001, v25
	v_mul_u32_u24_e32 v26, 0x10001, v26
	v_mul_u32_u24_e32 v27, 0x10001, v27
	v_mul_u32_u24_e32 v94, 0x10001, v94
	v_pk_fma_f16 v92, v28, v24, v92
	v_pk_fma_f16 v87, v28, v25, v87
	v_pk_fma_f16 v89, v28, v26, v89
	v_pk_fma_f16 v90, v28, v27, v90
	ds_load_b128 v[24:27], v67 offset:560
	v_mul_u32_u24_e32 v95, 0x10001, v95
	v_mul_u32_u24_e32 v96, 0x10001, v96
	v_pk_fma_f16 v31, v28, v93, v31
	v_pk_fma_f16 v88, v28, v94, v88
	s_delay_alu instid0(VALU_DEP_4) | instskip(NEXT) | instid1(VALU_DEP_4)
	v_pk_fma_f16 v30, v28, v95, v30
	v_pk_fma_f16 v28, v28, v96, v91
	s_wait_dscnt 0x0
	v_lshrrev_b32_e32 v91, 16, v24
	v_lshrrev_b32_e32 v93, 16, v25
	v_lshrrev_b32_e32 v94, 16, v26
	v_lshrrev_b32_e32 v95, 16, v27
	v_and_b32_e32 v24, 0xffff, v24
	v_and_b32_e32 v25, 0xffff, v25
	v_and_b32_e32 v26, 0xffff, v26
	v_and_b32_e32 v27, 0xffff, v27
	v_mul_u32_u24_e32 v91, 0x10001, v91
	v_mul_u32_u24_e32 v24, 0x10001, v24
	v_mul_u32_u24_e32 v25, 0x10001, v25
	v_mul_u32_u24_e32 v93, 0x10001, v93
	v_mul_u32_u24_e32 v26, 0x10001, v26
	v_mul_u32_u24_e32 v94, 0x10001, v94
	v_mul_u32_u24_e32 v27, 0x10001, v27
	v_mul_u32_u24_e32 v95, 0x10001, v95
	v_pk_fma_f16 v92, v29, v24, v92
	v_pk_fma_f16 v31, v29, v91, v31
	v_pk_fma_f16 v87, v29, v25, v87
	v_pk_fma_f16 v88, v29, v93, v88
	v_pk_fma_f16 v89, v29, v26, v89
	v_pk_fma_f16 v30, v29, v94, v30
	v_pk_fma_f16 v90, v29, v27, v90
	v_pk_fma_f16 v91, v29, v95, v28
	ds_load_2addr_b32 v[28:29], v76 offset0:128 offset1:160
	;; [unrolled: 54-line block ×3, first 2 shown]
	ds_load_b128 v[24:27], v67 offset:608
	s_wait_dscnt 0x0
	v_lshrrev_b32_e32 v93, 16, v24
	v_lshrrev_b32_e32 v94, 16, v25
	;; [unrolled: 1-line block ×4, first 2 shown]
	v_and_b32_e32 v24, 0xffff, v24
	v_and_b32_e32 v25, 0xffff, v25
	;; [unrolled: 1-line block ×4, first 2 shown]
	v_mul_u32_u24_e32 v93, 0x10001, v93
	v_mul_u32_u24_e32 v24, 0x10001, v24
	;; [unrolled: 1-line block ×6, first 2 shown]
	v_pk_fma_f16 v92, v28, v24, v92
	v_pk_fma_f16 v87, v28, v25, v87
	;; [unrolled: 1-line block ×4, first 2 shown]
	ds_load_b128 v[24:27], v67 offset:624
	v_mul_u32_u24_e32 v95, 0x10001, v95
	v_mul_u32_u24_e32 v96, 0x10001, v96
	v_pk_fma_f16 v31, v28, v93, v31
	v_pk_fma_f16 v88, v28, v94, v88
	s_delay_alu instid0(VALU_DEP_4) | instskip(NEXT) | instid1(VALU_DEP_4)
	v_pk_fma_f16 v30, v28, v95, v30
	v_pk_fma_f16 v28, v28, v96, v91
	s_wait_dscnt 0x0
	v_lshrrev_b32_e32 v91, 16, v24
	v_lshrrev_b32_e32 v93, 16, v25
	;; [unrolled: 1-line block ×4, first 2 shown]
	v_and_b32_e32 v24, 0xffff, v24
	v_and_b32_e32 v25, 0xffff, v25
	v_and_b32_e32 v26, 0xffff, v26
	v_and_b32_e32 v27, 0xffff, v27
	v_mul_u32_u24_e32 v91, 0x10001, v91
	v_mul_u32_u24_e32 v24, 0x10001, v24
	;; [unrolled: 1-line block ×8, first 2 shown]
	v_pk_fma_f16 v92, v29, v24, v92
	v_pk_fma_f16 v31, v29, v91, v31
	;; [unrolled: 1-line block ×8, first 2 shown]
	ds_load_2addr_b32 v[28:29], v77 offset1:32
	ds_load_b128 v[24:27], v67 offset:640
	s_wait_dscnt 0x0
	v_lshrrev_b32_e32 v93, 16, v24
	v_lshrrev_b32_e32 v94, 16, v25
	v_lshrrev_b32_e32 v95, 16, v26
	v_lshrrev_b32_e32 v96, 16, v27
	v_and_b32_e32 v24, 0xffff, v24
	v_and_b32_e32 v25, 0xffff, v25
	v_and_b32_e32 v26, 0xffff, v26
	v_and_b32_e32 v27, 0xffff, v27
	v_mul_u32_u24_e32 v93, 0x10001, v93
	v_mul_u32_u24_e32 v24, 0x10001, v24
	v_mul_u32_u24_e32 v25, 0x10001, v25
	v_mul_u32_u24_e32 v26, 0x10001, v26
	v_mul_u32_u24_e32 v27, 0x10001, v27
	v_mul_u32_u24_e32 v94, 0x10001, v94
	v_pk_fma_f16 v92, v28, v24, v92
	v_pk_fma_f16 v87, v28, v25, v87
	v_pk_fma_f16 v89, v28, v26, v89
	v_pk_fma_f16 v90, v28, v27, v90
	ds_load_b128 v[24:27], v67 offset:656
	v_mul_u32_u24_e32 v95, 0x10001, v95
	v_mul_u32_u24_e32 v96, 0x10001, v96
	v_pk_fma_f16 v31, v28, v93, v31
	v_pk_fma_f16 v88, v28, v94, v88
	s_delay_alu instid0(VALU_DEP_4) | instskip(NEXT) | instid1(VALU_DEP_4)
	v_pk_fma_f16 v30, v28, v95, v30
	v_pk_fma_f16 v28, v28, v96, v91
	s_wait_dscnt 0x0
	v_lshrrev_b32_e32 v91, 16, v24
	v_lshrrev_b32_e32 v93, 16, v25
	v_lshrrev_b32_e32 v94, 16, v26
	v_lshrrev_b32_e32 v95, 16, v27
	v_and_b32_e32 v24, 0xffff, v24
	v_and_b32_e32 v25, 0xffff, v25
	v_and_b32_e32 v26, 0xffff, v26
	v_and_b32_e32 v27, 0xffff, v27
	v_mul_u32_u24_e32 v91, 0x10001, v91
	v_mul_u32_u24_e32 v24, 0x10001, v24
	v_mul_u32_u24_e32 v25, 0x10001, v25
	v_mul_u32_u24_e32 v93, 0x10001, v93
	v_mul_u32_u24_e32 v26, 0x10001, v26
	v_mul_u32_u24_e32 v94, 0x10001, v94
	v_mul_u32_u24_e32 v27, 0x10001, v27
	v_mul_u32_u24_e32 v95, 0x10001, v95
	v_pk_fma_f16 v92, v29, v24, v92
	v_pk_fma_f16 v31, v29, v91, v31
	v_pk_fma_f16 v87, v29, v25, v87
	v_pk_fma_f16 v88, v29, v93, v88
	v_pk_fma_f16 v89, v29, v26, v89
	v_pk_fma_f16 v30, v29, v94, v30
	v_pk_fma_f16 v90, v29, v27, v90
	v_pk_fma_f16 v91, v29, v95, v28
	ds_load_2addr_b32 v[28:29], v77 offset0:64 offset1:96
	ds_load_b128 v[24:27], v67 offset:672
	s_wait_dscnt 0x0
	v_lshrrev_b32_e32 v93, 16, v24
	v_lshrrev_b32_e32 v94, 16, v25
	v_lshrrev_b32_e32 v95, 16, v26
	v_lshrrev_b32_e32 v96, 16, v27
	v_and_b32_e32 v24, 0xffff, v24
	v_and_b32_e32 v25, 0xffff, v25
	v_and_b32_e32 v26, 0xffff, v26
	v_and_b32_e32 v27, 0xffff, v27
	v_mul_u32_u24_e32 v93, 0x10001, v93
	v_mul_u32_u24_e32 v24, 0x10001, v24
	v_mul_u32_u24_e32 v25, 0x10001, v25
	v_mul_u32_u24_e32 v26, 0x10001, v26
	v_mul_u32_u24_e32 v27, 0x10001, v27
	v_mul_u32_u24_e32 v94, 0x10001, v94
	v_pk_fma_f16 v92, v28, v24, v92
	v_pk_fma_f16 v87, v28, v25, v87
	v_pk_fma_f16 v89, v28, v26, v89
	v_pk_fma_f16 v90, v28, v27, v90
	ds_load_b128 v[24:27], v67 offset:688
	v_mul_u32_u24_e32 v95, 0x10001, v95
	v_mul_u32_u24_e32 v96, 0x10001, v96
	v_pk_fma_f16 v31, v28, v93, v31
	v_pk_fma_f16 v88, v28, v94, v88
	s_delay_alu instid0(VALU_DEP_4) | instskip(NEXT) | instid1(VALU_DEP_4)
	v_pk_fma_f16 v30, v28, v95, v30
	v_pk_fma_f16 v28, v28, v96, v91
	s_wait_dscnt 0x0
	v_lshrrev_b32_e32 v91, 16, v24
	v_lshrrev_b32_e32 v93, 16, v25
	v_lshrrev_b32_e32 v94, 16, v26
	v_lshrrev_b32_e32 v95, 16, v27
	v_and_b32_e32 v24, 0xffff, v24
	v_and_b32_e32 v25, 0xffff, v25
	v_and_b32_e32 v26, 0xffff, v26
	v_and_b32_e32 v27, 0xffff, v27
	v_mul_u32_u24_e32 v91, 0x10001, v91
	v_mul_u32_u24_e32 v24, 0x10001, v24
	v_mul_u32_u24_e32 v25, 0x10001, v25
	v_mul_u32_u24_e32 v93, 0x10001, v93
	v_mul_u32_u24_e32 v26, 0x10001, v26
	v_mul_u32_u24_e32 v94, 0x10001, v94
	v_mul_u32_u24_e32 v27, 0x10001, v27
	v_mul_u32_u24_e32 v95, 0x10001, v95
	v_pk_fma_f16 v92, v29, v24, v92
	v_pk_fma_f16 v31, v29, v91, v31
	v_pk_fma_f16 v87, v29, v25, v87
	v_pk_fma_f16 v88, v29, v93, v88
	v_pk_fma_f16 v89, v29, v26, v89
	v_pk_fma_f16 v30, v29, v94, v30
	v_pk_fma_f16 v90, v29, v27, v90
	v_pk_fma_f16 v91, v29, v95, v28
	ds_load_2addr_b32 v[28:29], v77 offset0:128 offset1:160
	;; [unrolled: 54-line block ×3, first 2 shown]
	ds_load_b128 v[24:27], v67 offset:736
	s_wait_dscnt 0x0
	v_lshrrev_b32_e32 v93, 16, v24
	v_lshrrev_b32_e32 v94, 16, v25
	;; [unrolled: 1-line block ×4, first 2 shown]
	v_and_b32_e32 v24, 0xffff, v24
	v_and_b32_e32 v25, 0xffff, v25
	;; [unrolled: 1-line block ×4, first 2 shown]
	v_mul_u32_u24_e32 v93, 0x10001, v93
	v_mul_u32_u24_e32 v24, 0x10001, v24
	;; [unrolled: 1-line block ×6, first 2 shown]
	v_pk_fma_f16 v92, v28, v24, v92
	v_pk_fma_f16 v87, v28, v25, v87
	;; [unrolled: 1-line block ×4, first 2 shown]
	ds_load_b128 v[24:27], v67 offset:752
	v_mul_u32_u24_e32 v95, 0x10001, v95
	v_mul_u32_u24_e32 v96, 0x10001, v96
	v_pk_fma_f16 v31, v28, v93, v31
	v_pk_fma_f16 v88, v28, v94, v88
	s_delay_alu instid0(VALU_DEP_4) | instskip(NEXT) | instid1(VALU_DEP_4)
	v_pk_fma_f16 v30, v28, v95, v30
	v_pk_fma_f16 v28, v28, v96, v91
	s_wait_dscnt 0x0
	v_lshrrev_b32_e32 v91, 16, v24
	v_lshrrev_b32_e32 v93, 16, v25
	;; [unrolled: 1-line block ×4, first 2 shown]
	v_and_b32_e32 v24, 0xffff, v24
	v_and_b32_e32 v25, 0xffff, v25
	;; [unrolled: 1-line block ×4, first 2 shown]
	v_mul_u32_u24_e32 v91, 0x10001, v91
	v_mul_u32_u24_e32 v24, 0x10001, v24
	;; [unrolled: 1-line block ×8, first 2 shown]
	v_pk_fma_f16 v92, v29, v24, v92
	v_pk_fma_f16 v31, v29, v91, v31
	;; [unrolled: 1-line block ×8, first 2 shown]
	ds_load_2addr_b32 v[28:29], v78 offset1:32
	ds_load_b128 v[24:27], v67 offset:768
	s_wait_dscnt 0x0
	v_lshrrev_b32_e32 v93, 16, v24
	v_lshrrev_b32_e32 v94, 16, v25
	v_lshrrev_b32_e32 v95, 16, v26
	v_lshrrev_b32_e32 v96, 16, v27
	v_and_b32_e32 v24, 0xffff, v24
	v_and_b32_e32 v25, 0xffff, v25
	v_and_b32_e32 v26, 0xffff, v26
	v_and_b32_e32 v27, 0xffff, v27
	v_mul_u32_u24_e32 v93, 0x10001, v93
	v_mul_u32_u24_e32 v24, 0x10001, v24
	v_mul_u32_u24_e32 v25, 0x10001, v25
	v_mul_u32_u24_e32 v26, 0x10001, v26
	v_mul_u32_u24_e32 v27, 0x10001, v27
	v_mul_u32_u24_e32 v94, 0x10001, v94
	v_pk_fma_f16 v92, v28, v24, v92
	v_pk_fma_f16 v87, v28, v25, v87
	v_pk_fma_f16 v89, v28, v26, v89
	v_pk_fma_f16 v90, v28, v27, v90
	ds_load_b128 v[24:27], v67 offset:784
	v_mul_u32_u24_e32 v95, 0x10001, v95
	v_mul_u32_u24_e32 v96, 0x10001, v96
	v_pk_fma_f16 v31, v28, v93, v31
	v_pk_fma_f16 v88, v28, v94, v88
	s_delay_alu instid0(VALU_DEP_4) | instskip(NEXT) | instid1(VALU_DEP_4)
	v_pk_fma_f16 v30, v28, v95, v30
	v_pk_fma_f16 v28, v28, v96, v91
	s_wait_dscnt 0x0
	v_lshrrev_b32_e32 v91, 16, v24
	v_lshrrev_b32_e32 v93, 16, v25
	v_lshrrev_b32_e32 v94, 16, v26
	v_lshrrev_b32_e32 v95, 16, v27
	v_and_b32_e32 v24, 0xffff, v24
	v_and_b32_e32 v25, 0xffff, v25
	v_and_b32_e32 v26, 0xffff, v26
	v_and_b32_e32 v27, 0xffff, v27
	v_mul_u32_u24_e32 v91, 0x10001, v91
	v_mul_u32_u24_e32 v24, 0x10001, v24
	v_mul_u32_u24_e32 v25, 0x10001, v25
	v_mul_u32_u24_e32 v93, 0x10001, v93
	v_mul_u32_u24_e32 v26, 0x10001, v26
	v_mul_u32_u24_e32 v94, 0x10001, v94
	v_mul_u32_u24_e32 v27, 0x10001, v27
	v_mul_u32_u24_e32 v95, 0x10001, v95
	v_pk_fma_f16 v92, v29, v24, v92
	v_pk_fma_f16 v31, v29, v91, v31
	v_pk_fma_f16 v87, v29, v25, v87
	v_pk_fma_f16 v88, v29, v93, v88
	v_pk_fma_f16 v89, v29, v26, v89
	v_pk_fma_f16 v30, v29, v94, v30
	v_pk_fma_f16 v90, v29, v27, v90
	v_pk_fma_f16 v91, v29, v95, v28
	ds_load_2addr_b32 v[28:29], v78 offset0:64 offset1:96
	ds_load_b128 v[24:27], v67 offset:800
	s_wait_dscnt 0x0
	v_lshrrev_b32_e32 v93, 16, v24
	v_lshrrev_b32_e32 v94, 16, v25
	v_lshrrev_b32_e32 v95, 16, v26
	v_lshrrev_b32_e32 v96, 16, v27
	v_and_b32_e32 v24, 0xffff, v24
	v_and_b32_e32 v25, 0xffff, v25
	v_and_b32_e32 v26, 0xffff, v26
	v_and_b32_e32 v27, 0xffff, v27
	v_mul_u32_u24_e32 v93, 0x10001, v93
	v_mul_u32_u24_e32 v24, 0x10001, v24
	v_mul_u32_u24_e32 v25, 0x10001, v25
	v_mul_u32_u24_e32 v26, 0x10001, v26
	v_mul_u32_u24_e32 v27, 0x10001, v27
	v_mul_u32_u24_e32 v94, 0x10001, v94
	v_pk_fma_f16 v92, v28, v24, v92
	v_pk_fma_f16 v87, v28, v25, v87
	v_pk_fma_f16 v89, v28, v26, v89
	v_pk_fma_f16 v90, v28, v27, v90
	ds_load_b128 v[24:27], v67 offset:816
	v_mul_u32_u24_e32 v95, 0x10001, v95
	v_mul_u32_u24_e32 v96, 0x10001, v96
	v_pk_fma_f16 v31, v28, v93, v31
	v_pk_fma_f16 v88, v28, v94, v88
	s_delay_alu instid0(VALU_DEP_4) | instskip(NEXT) | instid1(VALU_DEP_4)
	v_pk_fma_f16 v30, v28, v95, v30
	v_pk_fma_f16 v28, v28, v96, v91
	s_wait_dscnt 0x0
	v_lshrrev_b32_e32 v91, 16, v24
	v_lshrrev_b32_e32 v93, 16, v25
	v_lshrrev_b32_e32 v94, 16, v26
	v_lshrrev_b32_e32 v95, 16, v27
	v_and_b32_e32 v24, 0xffff, v24
	v_and_b32_e32 v25, 0xffff, v25
	v_and_b32_e32 v26, 0xffff, v26
	v_and_b32_e32 v27, 0xffff, v27
	v_mul_u32_u24_e32 v91, 0x10001, v91
	v_mul_u32_u24_e32 v24, 0x10001, v24
	v_mul_u32_u24_e32 v25, 0x10001, v25
	v_mul_u32_u24_e32 v93, 0x10001, v93
	v_mul_u32_u24_e32 v26, 0x10001, v26
	v_mul_u32_u24_e32 v94, 0x10001, v94
	v_mul_u32_u24_e32 v27, 0x10001, v27
	v_mul_u32_u24_e32 v95, 0x10001, v95
	v_pk_fma_f16 v92, v29, v24, v92
	v_pk_fma_f16 v31, v29, v91, v31
	v_pk_fma_f16 v87, v29, v25, v87
	v_pk_fma_f16 v88, v29, v93, v88
	v_pk_fma_f16 v89, v29, v26, v89
	v_pk_fma_f16 v30, v29, v94, v30
	v_pk_fma_f16 v90, v29, v27, v90
	v_pk_fma_f16 v91, v29, v95, v28
	ds_load_2addr_b32 v[28:29], v78 offset0:128 offset1:160
	;; [unrolled: 54-line block ×3, first 2 shown]
	ds_load_b128 v[24:27], v67 offset:864
	s_wait_dscnt 0x0
	v_lshrrev_b32_e32 v93, 16, v24
	v_lshrrev_b32_e32 v94, 16, v25
	;; [unrolled: 1-line block ×4, first 2 shown]
	v_and_b32_e32 v24, 0xffff, v24
	v_and_b32_e32 v25, 0xffff, v25
	;; [unrolled: 1-line block ×4, first 2 shown]
	v_mul_u32_u24_e32 v93, 0x10001, v93
	v_mul_u32_u24_e32 v24, 0x10001, v24
	;; [unrolled: 1-line block ×6, first 2 shown]
	v_pk_fma_f16 v92, v28, v24, v92
	v_pk_fma_f16 v87, v28, v25, v87
	;; [unrolled: 1-line block ×4, first 2 shown]
	ds_load_b128 v[24:27], v67 offset:880
	v_mul_u32_u24_e32 v95, 0x10001, v95
	v_mul_u32_u24_e32 v96, 0x10001, v96
	v_pk_fma_f16 v31, v28, v93, v31
	v_pk_fma_f16 v88, v28, v94, v88
	s_delay_alu instid0(VALU_DEP_4) | instskip(NEXT) | instid1(VALU_DEP_4)
	v_pk_fma_f16 v30, v28, v95, v30
	v_pk_fma_f16 v28, v28, v96, v91
	s_wait_dscnt 0x0
	v_lshrrev_b32_e32 v91, 16, v24
	v_lshrrev_b32_e32 v93, 16, v25
	v_lshrrev_b32_e32 v94, 16, v26
	v_lshrrev_b32_e32 v95, 16, v27
	v_and_b32_e32 v24, 0xffff, v24
	v_and_b32_e32 v25, 0xffff, v25
	;; [unrolled: 1-line block ×4, first 2 shown]
	v_mul_u32_u24_e32 v91, 0x10001, v91
	v_mul_u32_u24_e32 v24, 0x10001, v24
	;; [unrolled: 1-line block ×8, first 2 shown]
	v_pk_fma_f16 v92, v29, v24, v92
	v_pk_fma_f16 v31, v29, v91, v31
	;; [unrolled: 1-line block ×8, first 2 shown]
	ds_load_2addr_b32 v[28:29], v79 offset1:32
	ds_load_b128 v[24:27], v67 offset:896
	s_wait_dscnt 0x0
	v_lshrrev_b32_e32 v93, 16, v24
	v_lshrrev_b32_e32 v94, 16, v25
	v_lshrrev_b32_e32 v95, 16, v26
	v_lshrrev_b32_e32 v96, 16, v27
	v_and_b32_e32 v24, 0xffff, v24
	v_and_b32_e32 v25, 0xffff, v25
	v_and_b32_e32 v26, 0xffff, v26
	v_and_b32_e32 v27, 0xffff, v27
	v_mul_u32_u24_e32 v93, 0x10001, v93
	v_mul_u32_u24_e32 v24, 0x10001, v24
	v_mul_u32_u24_e32 v25, 0x10001, v25
	v_mul_u32_u24_e32 v26, 0x10001, v26
	v_mul_u32_u24_e32 v27, 0x10001, v27
	v_mul_u32_u24_e32 v94, 0x10001, v94
	v_pk_fma_f16 v92, v28, v24, v92
	v_pk_fma_f16 v87, v28, v25, v87
	v_pk_fma_f16 v89, v28, v26, v89
	v_pk_fma_f16 v90, v28, v27, v90
	ds_load_b128 v[24:27], v67 offset:912
	v_mul_u32_u24_e32 v95, 0x10001, v95
	v_mul_u32_u24_e32 v96, 0x10001, v96
	v_pk_fma_f16 v31, v28, v93, v31
	v_pk_fma_f16 v88, v28, v94, v88
	s_delay_alu instid0(VALU_DEP_4) | instskip(NEXT) | instid1(VALU_DEP_4)
	v_pk_fma_f16 v30, v28, v95, v30
	v_pk_fma_f16 v28, v28, v96, v91
	s_wait_dscnt 0x0
	v_lshrrev_b32_e32 v91, 16, v24
	v_lshrrev_b32_e32 v93, 16, v25
	v_lshrrev_b32_e32 v94, 16, v26
	v_lshrrev_b32_e32 v95, 16, v27
	v_and_b32_e32 v24, 0xffff, v24
	v_and_b32_e32 v25, 0xffff, v25
	v_and_b32_e32 v26, 0xffff, v26
	v_and_b32_e32 v27, 0xffff, v27
	v_mul_u32_u24_e32 v91, 0x10001, v91
	v_mul_u32_u24_e32 v24, 0x10001, v24
	v_mul_u32_u24_e32 v25, 0x10001, v25
	v_mul_u32_u24_e32 v93, 0x10001, v93
	v_mul_u32_u24_e32 v26, 0x10001, v26
	v_mul_u32_u24_e32 v94, 0x10001, v94
	v_mul_u32_u24_e32 v27, 0x10001, v27
	v_mul_u32_u24_e32 v95, 0x10001, v95
	v_pk_fma_f16 v92, v29, v24, v92
	v_pk_fma_f16 v31, v29, v91, v31
	v_pk_fma_f16 v87, v29, v25, v87
	v_pk_fma_f16 v88, v29, v93, v88
	v_pk_fma_f16 v89, v29, v26, v89
	v_pk_fma_f16 v30, v29, v94, v30
	v_pk_fma_f16 v90, v29, v27, v90
	v_pk_fma_f16 v91, v29, v95, v28
	ds_load_2addr_b32 v[28:29], v79 offset0:64 offset1:96
	ds_load_b128 v[24:27], v67 offset:928
	s_wait_dscnt 0x0
	v_lshrrev_b32_e32 v93, 16, v24
	v_lshrrev_b32_e32 v94, 16, v25
	v_lshrrev_b32_e32 v95, 16, v26
	v_lshrrev_b32_e32 v96, 16, v27
	v_and_b32_e32 v24, 0xffff, v24
	v_and_b32_e32 v25, 0xffff, v25
	v_and_b32_e32 v26, 0xffff, v26
	v_and_b32_e32 v27, 0xffff, v27
	v_mul_u32_u24_e32 v93, 0x10001, v93
	v_mul_u32_u24_e32 v24, 0x10001, v24
	v_mul_u32_u24_e32 v25, 0x10001, v25
	v_mul_u32_u24_e32 v26, 0x10001, v26
	v_mul_u32_u24_e32 v27, 0x10001, v27
	v_mul_u32_u24_e32 v94, 0x10001, v94
	v_pk_fma_f16 v92, v28, v24, v92
	v_pk_fma_f16 v87, v28, v25, v87
	v_pk_fma_f16 v89, v28, v26, v89
	v_pk_fma_f16 v90, v28, v27, v90
	ds_load_b128 v[24:27], v67 offset:944
	v_mul_u32_u24_e32 v95, 0x10001, v95
	v_mul_u32_u24_e32 v96, 0x10001, v96
	v_pk_fma_f16 v31, v28, v93, v31
	v_pk_fma_f16 v88, v28, v94, v88
	s_delay_alu instid0(VALU_DEP_4) | instskip(NEXT) | instid1(VALU_DEP_4)
	v_pk_fma_f16 v30, v28, v95, v30
	v_pk_fma_f16 v28, v28, v96, v91
	s_wait_dscnt 0x0
	v_lshrrev_b32_e32 v91, 16, v24
	v_lshrrev_b32_e32 v93, 16, v25
	v_lshrrev_b32_e32 v94, 16, v26
	v_lshrrev_b32_e32 v95, 16, v27
	v_and_b32_e32 v24, 0xffff, v24
	v_and_b32_e32 v25, 0xffff, v25
	v_and_b32_e32 v26, 0xffff, v26
	v_and_b32_e32 v27, 0xffff, v27
	v_mul_u32_u24_e32 v91, 0x10001, v91
	v_mul_u32_u24_e32 v24, 0x10001, v24
	v_mul_u32_u24_e32 v25, 0x10001, v25
	v_mul_u32_u24_e32 v93, 0x10001, v93
	v_mul_u32_u24_e32 v26, 0x10001, v26
	v_mul_u32_u24_e32 v94, 0x10001, v94
	v_mul_u32_u24_e32 v27, 0x10001, v27
	v_mul_u32_u24_e32 v95, 0x10001, v95
	v_pk_fma_f16 v92, v29, v24, v92
	v_pk_fma_f16 v31, v29, v91, v31
	v_pk_fma_f16 v87, v29, v25, v87
	v_pk_fma_f16 v88, v29, v93, v88
	v_pk_fma_f16 v89, v29, v26, v89
	v_pk_fma_f16 v30, v29, v94, v30
	v_pk_fma_f16 v90, v29, v27, v90
	v_pk_fma_f16 v91, v29, v95, v28
	ds_load_2addr_b32 v[28:29], v79 offset0:128 offset1:160
	;; [unrolled: 54-line block ×3, first 2 shown]
	ds_load_b128 v[26:29], v67 offset:992
	s_wait_dscnt 0x0
	v_lshrrev_b32_e32 v30, 16, v26
	v_lshrrev_b32_e32 v87, 16, v27
	;; [unrolled: 1-line block ×4, first 2 shown]
	v_and_b32_e32 v26, 0xffff, v26
	v_and_b32_e32 v27, 0xffff, v27
	;; [unrolled: 1-line block ×4, first 2 shown]
	v_mul_u32_u24_e32 v30, 0x10001, v30
	v_mul_u32_u24_e32 v26, 0x10001, v26
	;; [unrolled: 1-line block ×8, first 2 shown]
	v_pk_fma_f16 v87, v24, v26, v92
	v_pk_fma_f16 v31, v24, v30, v31
	;; [unrolled: 1-line block ×8, first 2 shown]
	ds_load_b128 v[91:94], v67 offset:1008
	s_wait_loadcnt_dscnt 0x0
	s_barrier_signal -1
	s_barrier_wait -1
	global_inv scope:SCOPE_SE
	s_load_b32 s3, s[20:21], 0x4
	v_lshrrev_b32_e32 v89, 16, v91
	v_lshrrev_b32_e32 v90, 16, v92
	;; [unrolled: 1-line block ×4, first 2 shown]
	v_and_b32_e32 v88, 0xffff, v91
	v_and_b32_e32 v91, 0xffff, v92
	;; [unrolled: 1-line block ×4, first 2 shown]
	v_mul_u32_u24_e32 v89, 0x10001, v89
	v_mul_u32_u24_e32 v88, 0x10001, v88
	;; [unrolled: 1-line block ×8, first 2 shown]
	s_wait_kmcnt 0x0
	s_lshl_b32 s3, s3, 6
	v_pk_fma_f16 v88, v25, v88, v87
	v_pk_fma_f16 v87, v25, v89, v31
	;; [unrolled: 1-line block ×8, first 2 shown]
	s_wait_alu 0xfffe
	s_add_co_i32 s10, s3, s10
	s_wait_alu 0xfffe
	s_cmp_ge_i32 s10, s30
	s_cbranch_scc0 .LBB37_9
; %bb.10:
	v_mov_b32_e32 v8, v47
.LBB37_11:
	v_lshlrev_b32_e32 v47, 1, v46
	v_cmp_lt_i32_e32 vcc_lo, v55, v48
	s_cmp_lg_u64 s[12:13], 0
	s_cselect_b32 s3, -1, 0
	s_cmp_eq_u32 s4, 0
	s_wait_alu 0xfffd
	v_cndmask_b32_e32 v9, v8, v55, vcc_lo
	v_cmp_lt_i32_e32 vcc_lo, v52, v48
	s_cselect_b32 s5, -1, 0
	s_wait_alu 0xfffe
	s_and_b32 s3, s5, s3
	v_lshlrev_b32_e32 v9, 2, v9
	ds_bpermute_b32 v10, v9, v80
	s_wait_dscnt 0x0
	v_add_f32_e32 v10, v80, v10
	ds_bpermute_b32 v12, v9, v82
	ds_bpermute_b32 v14, v9, v84
	;; [unrolled: 1-line block ×4, first 2 shown]
	s_wait_alu 0xfffd
	v_cndmask_b32_e32 v17, v8, v52, vcc_lo
	ds_bpermute_b32 v13, v9, v83
	ds_bpermute_b32 v15, v9, v85
	;; [unrolled: 1-line block ×3, first 2 shown]
	v_cmp_lt_i32_e32 vcc_lo, v51, v48
	s_wait_dscnt 0x6
	v_dual_add_f32 v12, v82, v12 :: v_dual_lshlrev_b32 v17, 2, v17
	s_wait_dscnt 0x5
	v_add_f32_e32 v14, v84, v14
	ds_bpermute_b32 v18, v17, v10
	s_wait_dscnt 0x4
	v_dual_add_f32 v11, v81, v11 :: v_dual_add_f32 v16, v86, v16
	ds_bpermute_b32 v20, v17, v12
	ds_bpermute_b32 v22, v17, v14
	s_wait_dscnt 0x5
	v_add_f32_e32 v13, v83, v13
	ds_bpermute_b32 v19, v17, v11
	ds_bpermute_b32 v24, v17, v16
	s_wait_dscnt 0x6
	v_add_f32_e32 v15, v85, v15
	s_wait_dscnt 0x4
	v_dual_add_f32 v9, v53, v9 :: v_dual_add_f32 v10, v10, v18
	s_wait_alu 0xfffd
	v_cndmask_b32_e32 v25, v8, v51, vcc_lo
	v_cmp_lt_i32_e32 vcc_lo, v50, v48
	s_wait_dscnt 0x3
	v_add_f32_e32 v12, v12, v20
	ds_bpermute_b32 v21, v17, v13
	s_wait_dscnt 0x3
	v_dual_add_f32 v14, v14, v22 :: v_dual_lshlrev_b32 v25, 2, v25
	ds_bpermute_b32 v23, v17, v15
	s_wait_dscnt 0x2
	v_dual_add_f32 v11, v11, v19 :: v_dual_add_f32 v16, v16, v24
	ds_bpermute_b32 v17, v17, v9
	ds_bpermute_b32 v19, v25, v12
	s_wait_dscnt 0x2
	v_add_f32_e32 v15, v15, v23
	s_wait_dscnt 0x0
	v_dual_add_f32 v9, v9, v17 :: v_dual_add_f32 v12, v12, v19
	ds_bpermute_b32 v17, v25, v10
	ds_bpermute_b32 v23, v25, v16
	v_add_f32_e32 v13, v13, v21
	ds_bpermute_b32 v21, v25, v14
	ds_bpermute_b32 v22, v25, v15
	;; [unrolled: 1-line block ×3, first 2 shown]
	s_wait_dscnt 0x4
	v_add_f32_e32 v10, v10, v17
	s_wait_dscnt 0x3
	v_add_f32_e32 v16, v16, v23
	ds_bpermute_b32 v20, v25, v13
	s_wait_dscnt 0x3
	v_add_f32_e32 v14, v14, v21
	ds_bpermute_b32 v18, v25, v11
	s_wait_alu 0xfffd
	v_cndmask_b32_e32 v25, v8, v50, vcc_lo
	v_cmp_lt_i32_e32 vcc_lo, v49, v48
	s_delay_alu instid0(VALU_DEP_2)
	v_lshlrev_b32_e32 v25, 2, v25
	s_wait_alu 0xfffd
	v_cndmask_b32_e32 v8, v8, v49, vcc_lo
	s_wait_alu 0xfffe
	s_and_b32 vcc_lo, exec_lo, s3
	ds_bpermute_b32 v19, v25, v12
	v_lshlrev_b32_e32 v8, 2, v8
	s_wait_dscnt 0x0
	v_add_f32_e32 v12, v12, v19
	ds_bpermute_b32 v17, v25, v10
	ds_bpermute_b32 v21, v25, v14
	;; [unrolled: 1-line block ×3, first 2 shown]
	v_add_f32_e32 v11, v11, v18
	ds_bpermute_b32 v19, v8, v12
	v_add_f32_e32 v9, v9, v24
	v_add_f32_e32 v13, v13, v20
	ds_bpermute_b32 v24, v25, v9
	s_wait_dscnt 0x4
	v_add_f32_e32 v10, v10, v17
	s_wait_dscnt 0x3
	v_add_f32_e32 v14, v14, v21
	ds_bpermute_b32 v18, v25, v11
	s_wait_dscnt 0x3
	v_add_f32_e32 v16, v16, v23
	ds_bpermute_b32 v20, v25, v13
	ds_bpermute_b32 v21, v8, v14
	;; [unrolled: 1-line block ×3, first 2 shown]
	s_wait_dscnt 0x4
	v_add_f32_e32 v17, v9, v24
	ds_bpermute_b32 v9, v8, v10
	v_add_f32_e32 v15, v15, v22
	ds_bpermute_b32 v24, v8, v17
	ds_bpermute_b32 v22, v25, v15
	s_wait_dscnt 0x6
	v_add_f32_e32 v11, v11, v18
	s_wait_dscnt 0x5
	v_add_f32_e32 v13, v13, v20
	ds_bpermute_b32 v18, v8, v11
	ds_bpermute_b32 v20, v8, v13
	s_wait_dscnt 0x2
	v_add_f32_e32 v15, v15, v22
	ds_bpermute_b32 v22, v8, v15
	v_add_f32_e32 v8, v10, v9
	v_add_f32_e32 v10, v12, v19
	;; [unrolled: 1-line block ×3, first 2 shown]
	s_wait_dscnt 0x2
	v_dual_add_f32 v14, v16, v23 :: v_dual_add_f32 v9, v11, v18
	s_wait_dscnt 0x1
	v_add_f32_e32 v11, v13, v20
	s_wait_dscnt 0x0
	v_add_f32_e32 v13, v15, v22
	v_add_f32_e32 v15, v17, v24
	s_wait_alu 0xfffe
	s_cbranch_vccz .LBB37_13
; %bb.12:
	s_ashr_i32 s3, s2, 31
	v_dual_mov_b32 v16, 0 :: v_dual_max_num_f32 v17, v1, v1
	s_wait_alu 0xfffe
	s_lshl_b64 s[6:7], s[2:3], 2
	v_dual_max_num_f32 v20, v4, v4 :: v_dual_max_num_f32 v21, v5, v5
	s_add_nc_u64 s[6:7], s[12:13], s[6:7]
	v_max_num_f32_e32 v19, v3, v3
	global_load_b64 v[24:25], v16, s[6:7]
	v_max_num_f32_e32 v16, v0, v0
	v_dual_max_num_f32 v18, v2, v2 :: v_dual_max_num_f32 v49, v7, v7
	s_wait_loadcnt 0x0
	v_dual_max_num_f32 v22, v24, v24 :: v_dual_max_num_f32 v23, v25, v25
	v_max_num_f32_e32 v48, v6, v6
	s_delay_alu instid0(VALU_DEP_2) | instskip(SKIP_2) | instid1(VALU_DEP_4)
	v_dual_max_num_f32 v16, v16, v22 :: v_dual_max_num_f32 v19, v19, v23
	v_dual_max_num_f32 v17, v17, v23 :: v_dual_max_num_f32 v18, v18, v22
	v_dual_max_num_f32 v21, v21, v23 :: v_dual_max_num_f32 v20, v20, v22
	v_dual_max_num_f32 v23, v49, v23 :: v_dual_max_num_f32 v22, v48, v22
	s_delay_alu instid0(VALU_DEP_3)
	v_dual_sub_f32 v51, v25, v17 :: v_dual_sub_f32 v48, v0, v16
	v_sub_f32_e32 v55, v25, v19
	v_dual_sub_f32 v49, v24, v16 :: v_dual_sub_f32 v50, v1, v17
	v_dual_sub_f32 v53, v24, v18 :: v_dual_sub_f32 v54, v3, v19
	;; [unrolled: 1-line block ×6, first 2 shown]
	v_dual_mov_b32 v0, v16 :: v_dual_mov_b32 v3, v19
	v_dual_sub_f32 v24, v24, v22 :: v_dual_mov_b32 v1, v17
	v_dual_mov_b32 v2, v18 :: v_dual_mov_b32 v5, v21
	v_dual_mov_b32 v4, v20 :: v_dual_mov_b32 v7, v23
	v_dual_mov_b32 v6, v22 :: v_dual_mul_f32 v17, 0x3fb8aa3b, v49
	v_dual_mul_f32 v18, 0x3fb8aa3b, v50 :: v_dual_mul_f32 v21, 0x3fb8aa3b, v53
	v_dual_mul_f32 v66, 0x3fb8aa3b, v60 :: v_dual_mul_f32 v69, 0x3fb8aa3b, v25
	;; [unrolled: 1-line block ×3, first 2 shown]
	s_delay_alu instid0(VALU_DEP_3) | instskip(SKIP_1) | instid1(VALU_DEP_4)
	v_fma_f32 v80, 0x3fb8aa3b, v53, -v21
	v_dual_mul_f32 v16, 0x3fb8aa3b, v48 :: v_dual_mul_f32 v19, 0x3fb8aa3b, v51
	v_fma_f32 v102, 0x3fb8aa3b, v25, -v69
	v_rndne_f32_e32 v103, v69
	v_fma_f32 v90, 0x3fb8aa3b, v57, -v63
	v_fmac_f32_e32 v80, 0x32a5705f, v53
	v_fma_f32 v70, 0x3fb8aa3b, v48, -v16
	s_delay_alu instid0(VALU_DEP_4) | instskip(NEXT) | instid1(VALU_DEP_4)
	v_dual_fmac_f32 v102, 0x32a5705f, v25 :: v_dual_sub_f32 v69, v69, v103
	v_fmac_f32_e32 v90, 0x32a5705f, v57
	v_rndne_f32_e32 v71, v16
	v_dual_mul_f32 v62, 0x3fb8aa3b, v56 :: v_dual_mul_f32 v65, 0x3fb8aa3b, v59
	s_delay_alu instid0(VALU_DEP_4)
	v_add_f32_e32 v69, v69, v102
	v_fma_f32 v72, 0x3fb8aa3b, v49, -v17
	v_rndne_f32_e32 v73, v17
	v_rndne_f32_e32 v77, v19
	v_fmac_f32_e32 v70, 0x32a5705f, v48
	v_exp_f32_e32 v69, v69
	v_sub_f32_e32 v16, v16, v71
	v_cvt_i32_f32_e32 v103, v103
	v_dual_mul_f32 v20, 0x3fb8aa3b, v52 :: v_dual_mul_f32 v23, 0x3fb8aa3b, v55
	v_fma_f32 v74, 0x3fb8aa3b, v50, -v18
	v_rndne_f32_e32 v75, v18
	v_fma_f32 v76, 0x3fb8aa3b, v51, -v19
	v_rndne_f32_e32 v95, v65
	v_fmac_f32_e32 v72, 0x32a5705f, v49
	v_sub_f32_e32 v17, v17, v73
	v_sub_f32_e32 v19, v19, v77
	v_ldexp_f32 v69, v69, v103
	v_add_f32_e32 v16, v16, v70
	v_rndne_f32_e32 v81, v21
	v_rndne_f32_e32 v85, v23
	v_fma_f32 v94, 0x3fb8aa3b, v59, -v65
	v_fmac_f32_e32 v74, 0x32a5705f, v50
	v_sub_f32_e32 v18, v18, v75
	v_sub_f32_e32 v65, v65, v95
	v_dual_fmac_f32 v76, 0x32a5705f, v51 :: v_dual_add_f32 v17, v17, v72
	v_exp_f32_e32 v16, v16
	v_dual_mul_f32 v64, 0x3fb8aa3b, v58 :: v_dual_mul_f32 v67, 0x3fb8aa3b, v24
	v_fma_f32 v78, 0x3fb8aa3b, v52, -v20
	v_rndne_f32_e32 v79, v20
	v_fma_f32 v84, 0x3fb8aa3b, v55, -v23
	v_cvt_i32_f32_e32 v71, v71
	v_sub_f32_e32 v21, v21, v81
	v_dual_sub_f32 v23, v23, v85 :: v_dual_add_f32 v18, v18, v74
	v_exp_f32_e32 v17, v17
	v_rndne_f32_e32 v99, v67
	v_cvt_i32_f32_e32 v73, v73
	v_fmac_f32_e32 v78, 0x32a5705f, v52
	v_dual_sub_f32 v20, v20, v79 :: v_dual_add_f32 v19, v19, v76
	v_exp_f32_e32 v18, v18
	v_ldexp_f32 v16, v16, v71
	v_cmp_ngt_f32_e32 vcc_lo, 0xc2ce8ed0, v48
	v_fma_f32 v82, 0x3fb8aa3b, v54, -v22
	v_fma_f32 v92, 0x3fb8aa3b, v58, -v64
	;; [unrolled: 1-line block ×3, first 2 shown]
	v_cvt_i32_f32_e32 v75, v75
	v_dual_sub_f32 v67, v67, v99 :: v_dual_add_f32 v20, v20, v78
	v_exp_f32_e32 v19, v19
	v_ldexp_f32 v17, v17, v73
	s_wait_alu 0xfffd
	v_cndmask_b32_e32 v16, 0, v16, vcc_lo
	v_cmp_ngt_f32_e32 vcc_lo, 0xc2ce8ed0, v49
	v_cvt_i32_f32_e32 v77, v77
	v_dual_fmac_f32 v82, 0x32a5705f, v54 :: v_dual_add_f32 v21, v21, v80
	s_wait_alu 0xfffd
	v_dual_fmac_f32 v92, 0x32a5705f, v58 :: v_dual_cndmask_b32 v17, 0, v17
	v_exp_f32_e32 v20, v20
	v_ldexp_f32 v18, v18, v75
	v_cmp_ngt_f32_e32 vcc_lo, 0xc2ce8ed0, v50
	v_rndne_f32_e32 v93, v64
	v_cvt_i32_f32_e32 v79, v79
	v_exp_f32_e32 v21, v21
	v_ldexp_f32 v19, v19, v77
	s_wait_alu 0xfffd
	v_cndmask_b32_e32 v18, 0, v18, vcc_lo
	v_cmp_ngt_f32_e32 vcc_lo, 0xc2ce8ed0, v51
	v_cvt_i32_f32_e32 v81, v81
	v_sub_f32_e32 v64, v64, v93
	v_ldexp_f32 v20, v20, v79
	v_fma_f32 v86, 0x3fb8aa3b, v56, -v62
	s_wait_alu 0xfffd
	v_cndmask_b32_e32 v19, 0, v19, vcc_lo
	v_cmp_ngt_f32_e32 vcc_lo, 0xc2ce8ed0, v52
	v_rndne_f32_e32 v91, v63
	v_ldexp_f32 v21, v21, v81
	v_mul_f32_e32 v68, 0x3fb8aa3b, v61
	v_rndne_f32_e32 v83, v22
	s_wait_alu 0xfffd
	v_cndmask_b32_e32 v20, 0, v20, vcc_lo
	v_cmp_ngt_f32_e32 vcc_lo, 0xc2ce8ed0, v53
	v_fmac_f32_e32 v94, 0x32a5705f, v59
	v_sub_f32_e32 v63, v63, v91
	v_fmac_f32_e32 v84, 0x32a5705f, v55
	v_rndne_f32_e32 v89, v62
	s_wait_alu 0xfffd
	v_dual_cndmask_b32 v21, 0, v21 :: v_dual_fmac_f32 v86, 0x32a5705f, v56
	v_add_f32_e32 v65, v65, v94
	v_dual_add_f32 v63, v63, v90 :: v_dual_sub_f32 v22, v22, v83
	v_add_f32_e32 v23, v23, v84
	v_cvt_i32_f32_e32 v95, v95
	s_delay_alu instid0(VALU_DEP_4)
	v_exp_f32_e32 v65, v65
	v_cvt_i32_f32_e32 v83, v83
	v_add_f32_e32 v22, v22, v82
	v_exp_f32_e32 v23, v23
	v_cvt_i32_f32_e32 v85, v85
	v_cmp_ngt_f32_e32 vcc_lo, 0xc2ce8ed0, v54
	v_fma_f32 v96, 0x3fb8aa3b, v60, -v66
	v_exp_f32_e32 v22, v22
	v_exp_f32_e32 v63, v63
	v_rndne_f32_e32 v97, v66
	v_ldexp_f32 v65, v65, v95
	v_fmac_f32_e32 v98, 0x32a5705f, v24
	v_sub_f32_e32 v62, v62, v89
	v_cvt_i32_f32_e32 v89, v89
	v_ldexp_f32 v23, v23, v85
	v_cvt_i32_f32_e32 v91, v91
	v_add_f32_e32 v67, v67, v98
	v_add_f32_e32 v62, v62, v86
	v_ldexp_f32 v22, v22, v83
	v_cvt_i32_f32_e32 v93, v93
	v_ldexp_f32 v63, v63, v91
	v_exp_f32_e32 v67, v67
	v_exp_f32_e32 v62, v62
	s_wait_alu 0xfffd
	v_cndmask_b32_e32 v22, 0, v22, vcc_lo
	v_cmp_ngt_f32_e32 vcc_lo, 0xc2ce8ed0, v55
	v_fmac_f32_e32 v96, 0x32a5705f, v60
	v_add_f32_e32 v64, v64, v92
	v_fma_f32 v100, 0x3fb8aa3b, v61, -v68
	v_rndne_f32_e32 v101, v68
	s_wait_alu 0xfffd
	v_cndmask_b32_e32 v23, 0, v23, vcc_lo
	v_cmp_ngt_f32_e32 vcc_lo, 0xc2ce8ed0, v56
	v_exp_f32_e32 v64, v64
	v_ldexp_f32 v62, v62, v89
	v_cvt_i32_f32_e32 v99, v99
	v_sub_f32_e32 v68, v68, v101
	v_cvt_i32_f32_e32 v101, v101
	s_wait_alu 0xfffd
	v_cndmask_b32_e32 v62, 0, v62, vcc_lo
	v_cmp_ngt_f32_e32 vcc_lo, 0xc2ce8ed0, v57
	v_sub_f32_e32 v66, v66, v97
	v_cvt_i32_f32_e32 v97, v97
	v_ldexp_f32 v64, v64, v93
	v_ldexp_f32 v67, v67, v99
	s_wait_alu 0xfffd
	v_dual_cndmask_b32 v63, 0, v63 :: v_dual_add_f32 v66, v66, v96
	v_cmp_ngt_f32_e32 vcc_lo, 0xc2ce8ed0, v58
	s_delay_alu instid0(VALU_DEP_2)
	v_exp_f32_e32 v66, v66
	s_wait_alu 0xfffd
	v_cndmask_b32_e32 v64, 0, v64, vcc_lo
	v_cmp_ngt_f32_e32 vcc_lo, 0xc2ce8ed0, v59
	s_wait_alu 0xfffd
	v_cndmask_b32_e32 v65, 0, v65, vcc_lo
	v_cmp_ngt_f32_e32 vcc_lo, 0xc2ce8ed0, v60
	s_delay_alu instid0(TRANS32_DEP_1) | instskip(SKIP_1) | instid1(VALU_DEP_1)
	v_ldexp_f32 v66, v66, v97
	s_wait_alu 0xfffd
	v_cndmask_b32_e32 v66, 0, v66, vcc_lo
	v_cmp_ngt_f32_e32 vcc_lo, 0xc2ce8ed0, v24
	s_wait_alu 0xfffd
	v_dual_fmac_f32 v100, 0x32a5705f, v61 :: v_dual_cndmask_b32 v67, 0, v67
	s_delay_alu instid0(VALU_DEP_1) | instskip(SKIP_1) | instid1(VALU_DEP_2)
	v_add_f32_e32 v68, v68, v100
	v_cmp_ngt_f32_e32 vcc_lo, 0xc2ce8ed0, v61
	v_exp_f32_e32 v68, v68
	s_delay_alu instid0(TRANS32_DEP_1) | instskip(SKIP_1) | instid1(VALU_DEP_1)
	v_ldexp_f32 v68, v68, v101
	s_wait_alu 0xfffd
	v_cndmask_b32_e32 v68, 0, v68, vcc_lo
	v_cmp_ngt_f32_e32 vcc_lo, 0xc2ce8ed0, v25
	s_wait_alu 0xfffd
	v_cndmask_b32_e32 v69, 0, v69, vcc_lo
	v_cmp_nlt_f32_e32 vcc_lo, 0x42b17218, v48
	s_wait_alu 0xfffd
	v_cndmask_b32_e32 v48, 0x7f800000, v16, vcc_lo
	v_cmp_nlt_f32_e32 vcc_lo, 0x42b17218, v49
	;; [unrolled: 3-line block ×5, first 2 shown]
	s_wait_alu 0xfffd
	s_delay_alu instid0(VALU_DEP_2)
	v_dual_fmac_f32 v17, v9, v49 :: v_dual_cndmask_b32 v50, 0x7f800000, v20
	v_cmp_nlt_f32_e32 vcc_lo, 0x42b17218, v53
	v_cvt_f16_f32_e32 v9, v49
	s_wait_alu 0xfffd
	v_cndmask_b32_e32 v18, 0x7f800000, v21, vcc_lo
	v_cmp_nlt_f32_e32 vcc_lo, 0x42b17218, v54
	s_delay_alu instid0(VALU_DEP_2)
	v_fmac_f32_e32 v18, v10, v50
	s_wait_alu 0xfffd
	v_cndmask_b32_e32 v51, 0x7f800000, v22, vcc_lo
	v_cmp_nlt_f32_e32 vcc_lo, 0x42b17218, v55
	v_cvt_f16_f32_e32 v10, v50
	s_wait_alu 0xfffd
	v_cndmask_b32_e32 v19, 0x7f800000, v23, vcc_lo
	v_cmp_nlt_f32_e32 vcc_lo, 0x42b17218, v56
	s_wait_alu 0xfffd
	s_delay_alu instid0(VALU_DEP_2)
	v_dual_fmac_f32 v19, v11, v51 :: v_dual_cndmask_b32 v52, 0x7f800000, v62
	v_cmp_nlt_f32_e32 vcc_lo, 0x42b17218, v57
	v_cvt_f16_f32_e32 v11, v51
	s_wait_alu 0xfffd
	v_cndmask_b32_e32 v20, 0x7f800000, v63, vcc_lo
	v_cmp_nlt_f32_e32 vcc_lo, 0x42b17218, v58
	s_delay_alu instid0(VALU_DEP_3) | instskip(NEXT) | instid1(VALU_DEP_3)
	v_and_b32_e32 v49, 0xffff, v11
	v_dual_mov_b32 v11, v19 :: v_dual_fmac_f32 v20, v12, v52
	s_wait_alu 0xfffd
	v_cndmask_b32_e32 v53, 0x7f800000, v64, vcc_lo
	v_cmp_nlt_f32_e32 vcc_lo, 0x42b17218, v59
	v_cvt_f16_f32_e32 v12, v52
	v_mul_u32_u24_e32 v49, 0x10001, v49
	s_wait_alu 0xfffd
	v_cndmask_b32_e32 v21, 0x7f800000, v65, vcc_lo
	v_cmp_nlt_f32_e32 vcc_lo, 0x42b17218, v60
	v_and_b32_e32 v50, 0xffff, v12
	v_mov_b32_e32 v12, v20
	v_pk_mul_f16 v30, v30, v49
	s_wait_alu 0xfffd
	v_dual_fmac_f32 v21, v13, v53 :: v_dual_cndmask_b32 v54, 0x7f800000, v66
	v_cmp_nlt_f32_e32 vcc_lo, 0x42b17218, v24
	v_cvt_f16_f32_e32 v13, v53
	v_mul_u32_u24_e32 v50, 0x10001, v50
	s_wait_alu 0xfffd
	v_cndmask_b32_e32 v22, 0x7f800000, v67, vcc_lo
	v_cmp_nlt_f32_e32 vcc_lo, 0x42b17218, v61
	v_and_b32_e32 v51, 0xffff, v13
	v_mov_b32_e32 v13, v21
	v_pk_mul_f16 v29, v29, v50
	v_fmac_f32_e32 v22, v14, v54
	s_wait_alu 0xfffd
	v_cndmask_b32_e32 v24, 0x7f800000, v68, vcc_lo
	v_cmp_nlt_f32_e32 vcc_lo, 0x42b17218, v25
	v_cvt_f16_f32_e32 v14, v54
	v_and_b32_e32 v25, 0xffff, v9
	v_mul_u32_u24_e32 v51, 0x10001, v51
	v_mov_b32_e32 v9, v17
	s_wait_alu 0xfffd
	v_cndmask_b32_e32 v23, 0x7f800000, v69, vcc_lo
	v_and_b32_e32 v52, 0xffff, v14
	v_mul_u32_u24_e32 v25, 0x10001, v25
	v_mov_b32_e32 v14, v22
	v_pk_mul_f16 v28, v28, v51
	v_fmac_f32_e32 v23, v15, v24
	v_cvt_f16_f32_e32 v15, v24
	v_mul_u32_u24_e32 v52, 0x10001, v52
	v_pk_mul_f16 v87, v87, v25
	s_delay_alu instid0(VALU_DEP_3) | instskip(NEXT) | instid1(VALU_DEP_3)
	v_and_b32_e32 v15, 0xffff, v15
	v_pk_mul_f16 v27, v27, v52
	s_delay_alu instid0(VALU_DEP_2) | instskip(NEXT) | instid1(VALU_DEP_1)
	v_mul_u32_u24_e32 v15, 0x10001, v15
	v_pk_mul_f16 v26, v26, v15
	v_dual_mov_b32 v15, v23 :: v_dual_fmac_f32 v16, v8, v48
	v_cvt_f16_f32_e32 v8, v48
	v_and_b32_e32 v48, 0xffff, v10
	v_mov_b32_e32 v10, v18
	s_delay_alu instid0(VALU_DEP_3) | instskip(NEXT) | instid1(VALU_DEP_3)
	v_and_b32_e32 v24, 0xffff, v8
	v_mul_u32_u24_e32 v48, 0x10001, v48
	v_mov_b32_e32 v8, v16
	s_delay_alu instid0(VALU_DEP_3) | instskip(NEXT) | instid1(VALU_DEP_3)
	v_mul_u32_u24_e32 v24, 0x10001, v24
	v_pk_mul_f16 v31, v31, v48
	s_delay_alu instid0(VALU_DEP_2)
	v_pk_mul_f16 v88, v88, v24
	s_mov_b32 s3, exec_lo
	v_cmpx_gt_i32_e64 s22, v45
	s_cbranch_execnz .LBB37_14
	s_branch .LBB37_52
.LBB37_13:
	s_delay_alu instid0(VALU_DEP_1)
	v_dual_mov_b32 v23, v15 :: v_dual_mov_b32 v22, v14
	v_dual_mov_b32 v21, v13 :: v_dual_mov_b32 v20, v12
	;; [unrolled: 1-line block ×4, first 2 shown]
	s_mov_b32 s3, exec_lo
	v_cmpx_gt_i32_e64 s22, v45
	s_cbranch_execz .LBB37_52
.LBB37_14:
	s_load_b32 s1, s[0:1], 0xd4
	v_mov_b32_e32 v45, 1.0
	s_wait_kmcnt 0x0
	s_cmp_lg_u32 s1, 1
	s_cselect_b32 s5, -1, 0
	s_cmp_eq_u32 s1, 1
	s_cselect_b32 s6, -1, 0
	s_wait_alu 0xfffe
	s_and_b32 vcc_lo, exec_lo, s5
	s_wait_alu 0xfffe
	s_cbranch_vccnz .LBB37_16
; %bb.15:
	v_div_scale_f32 v24, null, v8, v8, 1.0
	s_delay_alu instid0(VALU_DEP_1) | instskip(NEXT) | instid1(TRANS32_DEP_1)
	v_rcp_f32_e32 v25, v24
	v_fma_f32 v45, -v24, v25, 1.0
	s_delay_alu instid0(VALU_DEP_1) | instskip(SKIP_1) | instid1(VALU_DEP_1)
	v_fmac_f32_e32 v25, v45, v25
	v_div_scale_f32 v45, vcc_lo, 1.0, v8, 1.0
	v_mul_f32_e32 v48, v45, v25
	s_delay_alu instid0(VALU_DEP_1) | instskip(NEXT) | instid1(VALU_DEP_1)
	v_fma_f32 v49, -v24, v48, v45
	v_fmac_f32_e32 v48, v49, v25
	s_delay_alu instid0(VALU_DEP_1) | instskip(SKIP_1) | instid1(VALU_DEP_1)
	v_fma_f32 v24, -v24, v48, v45
	s_wait_alu 0xfffd
	v_div_fmas_f32 v24, v24, v25, v48
	s_delay_alu instid0(VALU_DEP_1)
	v_div_fixup_f32 v45, v24, v8, 1.0
.LBB37_16:
	s_mul_i32 s3, s28, s22
	v_cmp_eq_u32_e32 vcc_lo, 0, v46
	s_wait_alu 0xfffe
	s_add_co_i32 s3, s3, s31
	s_wait_alu 0xfffe
	v_dual_mov_b32 v49, 0 :: v_dual_add_nc_u32 v8, s3, v44
	v_cvt_f32_f16_e32 v44, v88
	s_delay_alu instid0(VALU_DEP_2) | instskip(NEXT) | instid1(VALU_DEP_2)
	v_mul_lo_u32 v8, v8, s23
	v_mul_f32_e32 v44, v45, v44
	s_delay_alu instid0(VALU_DEP_2) | instskip(NEXT) | instid1(VALU_DEP_1)
	v_add_nc_u32_e32 v24, s2, v8
	v_mad_co_u64_u32 v[24:25], null, s1, v24, s[4:5]
	v_lshrrev_b32_e32 v25, 16, v88
	s_and_b32 s5, vcc_lo, s5
	s_delay_alu instid0(VALU_DEP_1) | instskip(NEXT) | instid1(VALU_DEP_3)
	v_cvt_f32_f16_e32 v25, v25
	v_lshl_add_u32 v48, v24, 6, v47
	s_delay_alu instid0(VALU_DEP_2) | instskip(NEXT) | instid1(VALU_DEP_2)
	v_mul_f32_e32 v45, v45, v25
	v_lshlrev_b64_e32 v[48:49], 2, v[48:49]
	s_delay_alu instid0(VALU_DEP_1) | instskip(SKIP_1) | instid1(VALU_DEP_2)
	v_add_co_u32 v48, s0, s16, v48
	s_wait_alu 0xf1ff
	v_add_co_ci_u32_e64 v49, null, s17, v49, s0
	global_store_b64 v[48:49], v[44:45], off
	s_wait_alu 0xfffe
	s_and_saveexec_b32 s0, s5
	s_cbranch_execz .LBB37_18
; %bb.17:
	v_ashrrev_i32_e32 v25, 31, v24
	v_dual_mov_b32 v44, v0 :: v_dual_mov_b32 v45, v16
	s_delay_alu instid0(VALU_DEP_2) | instskip(NEXT) | instid1(VALU_DEP_1)
	v_lshlrev_b64_e32 v[24:25], 3, v[24:25]
	v_add_co_u32 v24, vcc_lo, s18, v24
	s_wait_alu 0xfffd
	s_delay_alu instid0(VALU_DEP_2)
	v_add_co_ci_u32_e64 v25, null, s19, v25, vcc_lo
	global_store_b64 v[24:25], v[44:45], off
.LBB37_18:
	s_wait_alu 0xfffe
	s_or_b32 exec_lo, exec_lo, s0
	v_cndmask_b32_e64 v24, 0, 1, s6
	v_mov_b32_e32 v0, 1.0
	s_and_not1_b32 vcc_lo, exec_lo, s6
	s_wait_alu 0xfffe
	s_cbranch_vccnz .LBB37_20
; %bb.19:
	v_div_scale_f32 v0, null, v9, v9, 1.0
	s_delay_alu instid0(VALU_DEP_1) | instskip(NEXT) | instid1(TRANS32_DEP_1)
	v_rcp_f32_e32 v16, v0
	v_fma_f32 v25, -v0, v16, 1.0
	s_delay_alu instid0(VALU_DEP_1) | instskip(SKIP_1) | instid1(VALU_DEP_1)
	v_fmac_f32_e32 v16, v25, v16
	v_div_scale_f32 v25, vcc_lo, 1.0, v9, 1.0
	v_mul_f32_e32 v44, v25, v16
	s_delay_alu instid0(VALU_DEP_1) | instskip(NEXT) | instid1(VALU_DEP_1)
	v_fma_f32 v45, -v0, v44, v25
	v_fmac_f32_e32 v44, v45, v16
	s_delay_alu instid0(VALU_DEP_1) | instskip(SKIP_1) | instid1(VALU_DEP_1)
	v_fma_f32 v0, -v0, v44, v25
	s_wait_alu 0xfffd
	v_div_fmas_f32 v0, v0, v16, v44
	s_delay_alu instid0(VALU_DEP_1)
	v_div_fixup_f32 v0, v0, v9, 1.0
.LBB37_20:
	s_add_co_i32 s0, s2, 1
	v_cvt_f32_f16_e32 v16, v87
	s_wait_alu 0xfffe
	v_dual_mov_b32 v45, 0 :: v_dual_add_nc_u32 v8, s0, v8
	s_delay_alu instid0(VALU_DEP_2) | instskip(NEXT) | instid1(VALU_DEP_2)
	v_mul_f32_e32 v48, v0, v16
	v_mad_co_u64_u32 v[8:9], null, s1, v8, s[4:5]
	v_lshrrev_b32_e32 v9, 16, v87
	s_delay_alu instid0(VALU_DEP_1) | instskip(NEXT) | instid1(VALU_DEP_3)
	v_cvt_f32_f16_e32 v9, v9
	v_lshl_add_u32 v44, v8, 6, v47
	s_delay_alu instid0(VALU_DEP_2) | instskip(NEXT) | instid1(VALU_DEP_2)
	v_mul_f32_e32 v49, v0, v9
	v_lshlrev_b64_e32 v[44:45], 2, v[44:45]
	s_delay_alu instid0(VALU_DEP_1) | instskip(SKIP_1) | instid1(VALU_DEP_2)
	v_add_co_u32 v44, vcc_lo, s16, v44
	s_wait_alu 0xfffd
	v_add_co_ci_u32_e64 v45, null, s17, v45, vcc_lo
	global_store_b64 v[44:45], v[48:49], off
	s_and_saveexec_b32 s6, s5
	s_cbranch_execz .LBB37_22
; %bb.21:
	v_ashrrev_i32_e32 v9, 31, v8
	v_mov_b32_e32 v16, v1
	s_delay_alu instid0(VALU_DEP_2) | instskip(NEXT) | instid1(VALU_DEP_1)
	v_lshlrev_b64_e32 v[8:9], 3, v[8:9]
	v_add_co_u32 v8, vcc_lo, s18, v8
	s_wait_alu 0xfffd
	s_delay_alu instid0(VALU_DEP_2)
	v_add_co_ci_u32_e64 v9, null, s19, v9, vcc_lo
	global_store_b64 v[8:9], v[16:17], off
.LBB37_22:
	s_wait_alu 0xfffe
	s_or_b32 exec_lo, exec_lo, s6
	v_cmp_gt_i32_e32 vcc_lo, s22, v43
	s_and_b32 exec_lo, exec_lo, vcc_lo
	s_cbranch_execz .LBB37_52
; %bb.23:
	v_cmp_ne_u32_e32 vcc_lo, 1, v24
	v_mov_b32_e32 v8, 1.0
	s_cbranch_vccnz .LBB37_25
; %bb.24:
	v_div_scale_f32 v0, null, v10, v10, 1.0
	s_delay_alu instid0(VALU_DEP_1) | instskip(NEXT) | instid1(TRANS32_DEP_1)
	v_rcp_f32_e32 v1, v0
	v_fma_f32 v8, -v0, v1, 1.0
	s_delay_alu instid0(VALU_DEP_1) | instskip(SKIP_1) | instid1(VALU_DEP_1)
	v_fmac_f32_e32 v1, v8, v1
	v_div_scale_f32 v8, vcc_lo, 1.0, v10, 1.0
	v_mul_f32_e32 v9, v8, v1
	s_delay_alu instid0(VALU_DEP_1) | instskip(NEXT) | instid1(VALU_DEP_1)
	v_fma_f32 v16, -v0, v9, v8
	v_fmac_f32_e32 v9, v16, v1
	s_delay_alu instid0(VALU_DEP_1) | instskip(SKIP_1) | instid1(VALU_DEP_1)
	v_fma_f32 v0, -v0, v9, v8
	s_wait_alu 0xfffd
	v_div_fmas_f32 v0, v0, v1, v9
	s_delay_alu instid0(VALU_DEP_1)
	v_div_fixup_f32 v8, v0, v10, 1.0
.LBB37_25:
	v_add_nc_u32_e32 v0, s3, v41
	v_cvt_f32_f16_e32 v16, v31
	s_delay_alu instid0(VALU_DEP_2) | instskip(NEXT) | instid1(VALU_DEP_2)
	v_mad_co_u64_u32 v[0:1], null, v0, s23, s[2:3]
	v_mul_f32_e32 v16, v8, v16
	s_delay_alu instid0(VALU_DEP_2) | instskip(SKIP_1) | instid1(VALU_DEP_1)
	v_mad_co_u64_u32 v[0:1], null, s1, v0, s[4:5]
	v_lshrrev_b32_e32 v1, 16, v31
	v_cvt_f32_f16_e32 v1, v1
	v_mov_b32_e32 v10, 0
	s_delay_alu instid0(VALU_DEP_4) | instskip(NEXT) | instid1(VALU_DEP_3)
	v_lshl_add_u32 v9, v0, 6, v47
	v_mul_f32_e32 v17, v8, v1
	s_delay_alu instid0(VALU_DEP_2) | instskip(NEXT) | instid1(VALU_DEP_1)
	v_lshlrev_b64_e32 v[9:10], 2, v[9:10]
	v_add_co_u32 v8, vcc_lo, s16, v9
	s_wait_alu 0xfffd
	s_delay_alu instid0(VALU_DEP_2)
	v_add_co_ci_u32_e64 v9, null, s17, v10, vcc_lo
	global_store_b64 v[8:9], v[16:17], off
	s_and_saveexec_b32 s6, s5
	s_cbranch_execz .LBB37_27
; %bb.26:
	v_ashrrev_i32_e32 v1, 31, v0
	v_mov_b32_e32 v17, v2
	s_delay_alu instid0(VALU_DEP_2) | instskip(NEXT) | instid1(VALU_DEP_1)
	v_lshlrev_b64_e32 v[0:1], 3, v[0:1]
	v_add_co_u32 v0, vcc_lo, s18, v0
	s_wait_alu 0xfffd
	s_delay_alu instid0(VALU_DEP_2)
	v_add_co_ci_u32_e64 v1, null, s19, v1, vcc_lo
	global_store_b64 v[0:1], v[17:18], off
.LBB37_27:
	s_wait_alu 0xfffe
	s_or_b32 exec_lo, exec_lo, s6
	v_cmp_gt_i32_e32 vcc_lo, s22, v42
	s_and_b32 exec_lo, exec_lo, vcc_lo
	s_cbranch_execz .LBB37_52
; %bb.28:
	v_cmp_ne_u32_e32 vcc_lo, 1, v24
	v_mov_b32_e32 v2, 1.0
	s_cbranch_vccnz .LBB37_30
; %bb.29:
	v_div_scale_f32 v0, null, v11, v11, 1.0
	s_delay_alu instid0(VALU_DEP_1) | instskip(NEXT) | instid1(TRANS32_DEP_1)
	v_rcp_f32_e32 v1, v0
	v_fma_f32 v2, -v0, v1, 1.0
	s_delay_alu instid0(VALU_DEP_1) | instskip(SKIP_1) | instid1(VALU_DEP_1)
	v_fmac_f32_e32 v1, v2, v1
	v_div_scale_f32 v2, vcc_lo, 1.0, v11, 1.0
	v_mul_f32_e32 v8, v2, v1
	s_delay_alu instid0(VALU_DEP_1) | instskip(NEXT) | instid1(VALU_DEP_1)
	v_fma_f32 v9, -v0, v8, v2
	v_fmac_f32_e32 v8, v9, v1
	s_delay_alu instid0(VALU_DEP_1) | instskip(SKIP_1) | instid1(VALU_DEP_1)
	v_fma_f32 v0, -v0, v8, v2
	s_wait_alu 0xfffd
	v_div_fmas_f32 v0, v0, v1, v8
	s_delay_alu instid0(VALU_DEP_1)
	v_div_fixup_f32 v2, v0, v11, 1.0
.LBB37_30:
	v_dual_mov_b32 v9, 0 :: v_dual_add_nc_u32 v0, s3, v39
	v_cvt_f32_f16_e32 v10, v30
	s_delay_alu instid0(VALU_DEP_2) | instskip(NEXT) | instid1(VALU_DEP_1)
	v_mad_co_u64_u32 v[0:1], null, v0, s23, s[0:1]
	v_mad_co_u64_u32 v[0:1], null, s1, v0, s[4:5]
	v_lshrrev_b32_e32 v1, 16, v30
	s_delay_alu instid0(VALU_DEP_1) | instskip(NEXT) | instid1(VALU_DEP_3)
	v_cvt_f32_f16_e32 v11, v1
	v_lshl_add_u32 v8, v0, 6, v47
	v_mul_f32_e32 v1, v2, v10
	s_delay_alu instid0(VALU_DEP_3) | instskip(NEXT) | instid1(VALU_DEP_3)
	v_mul_f32_e32 v2, v2, v11
	v_lshlrev_b64_e32 v[8:9], 2, v[8:9]
	s_delay_alu instid0(VALU_DEP_1) | instskip(SKIP_1) | instid1(VALU_DEP_2)
	v_add_co_u32 v8, vcc_lo, s16, v8
	s_wait_alu 0xfffd
	v_add_co_ci_u32_e64 v9, null, s17, v9, vcc_lo
	global_store_b64 v[8:9], v[1:2], off
	s_and_saveexec_b32 s6, s5
	s_cbranch_execz .LBB37_32
; %bb.31:
	v_ashrrev_i32_e32 v1, 31, v0
	v_mov_b32_e32 v18, v3
	s_delay_alu instid0(VALU_DEP_2) | instskip(NEXT) | instid1(VALU_DEP_1)
	v_lshlrev_b64_e32 v[0:1], 3, v[0:1]
	v_add_co_u32 v0, vcc_lo, s18, v0
	s_wait_alu 0xfffd
	s_delay_alu instid0(VALU_DEP_2)
	v_add_co_ci_u32_e64 v1, null, s19, v1, vcc_lo
	global_store_b64 v[0:1], v[18:19], off
.LBB37_32:
	s_wait_alu 0xfffe
	s_or_b32 exec_lo, exec_lo, s6
	v_cmp_gt_i32_e32 vcc_lo, s22, v40
	s_and_b32 exec_lo, exec_lo, vcc_lo
	s_cbranch_execz .LBB37_52
; %bb.33:
	v_cmp_ne_u32_e32 vcc_lo, 1, v24
	v_mov_b32_e32 v2, 1.0
	s_cbranch_vccnz .LBB37_35
; %bb.34:
	v_div_scale_f32 v0, null, v12, v12, 1.0
	s_delay_alu instid0(VALU_DEP_1) | instskip(NEXT) | instid1(TRANS32_DEP_1)
	v_rcp_f32_e32 v1, v0
	v_fma_f32 v2, -v0, v1, 1.0
	s_delay_alu instid0(VALU_DEP_1) | instskip(SKIP_1) | instid1(VALU_DEP_1)
	v_fmac_f32_e32 v1, v2, v1
	v_div_scale_f32 v2, vcc_lo, 1.0, v12, 1.0
	v_mul_f32_e32 v3, v2, v1
	s_delay_alu instid0(VALU_DEP_1) | instskip(NEXT) | instid1(VALU_DEP_1)
	v_fma_f32 v8, -v0, v3, v2
	v_fmac_f32_e32 v3, v8, v1
	s_delay_alu instid0(VALU_DEP_1) | instskip(SKIP_1) | instid1(VALU_DEP_1)
	v_fma_f32 v0, -v0, v3, v2
	s_wait_alu 0xfffd
	v_div_fmas_f32 v0, v0, v1, v3
	s_delay_alu instid0(VALU_DEP_1)
	v_div_fixup_f32 v2, v0, v12, 1.0
.LBB37_35:
	v_dual_mov_b32 v9, 0 :: v_dual_add_nc_u32 v0, s3, v38
	v_cvt_f32_f16_e32 v3, v29
	s_delay_alu instid0(VALU_DEP_2) | instskip(NEXT) | instid1(VALU_DEP_1)
	v_mad_co_u64_u32 v[0:1], null, v0, s23, s[2:3]
	v_mad_co_u64_u32 v[0:1], null, s1, v0, s[4:5]
	v_lshrrev_b32_e32 v1, 16, v29
	s_delay_alu instid0(VALU_DEP_1) | instskip(NEXT) | instid1(VALU_DEP_3)
	v_cvt_f32_f16_e32 v10, v1
	v_lshl_add_u32 v8, v0, 6, v47
	v_mul_f32_e32 v1, v2, v3
	s_delay_alu instid0(VALU_DEP_3) | instskip(NEXT) | instid1(VALU_DEP_3)
	v_mul_f32_e32 v2, v2, v10
	v_lshlrev_b64_e32 v[8:9], 2, v[8:9]
	s_delay_alu instid0(VALU_DEP_1) | instskip(SKIP_1) | instid1(VALU_DEP_2)
	v_add_co_u32 v8, vcc_lo, s16, v8
	s_wait_alu 0xfffd
	v_add_co_ci_u32_e64 v9, null, s17, v9, vcc_lo
	global_store_b64 v[8:9], v[1:2], off
	s_and_saveexec_b32 s6, s5
	s_cbranch_execz .LBB37_37
; %bb.36:
	v_ashrrev_i32_e32 v1, 31, v0
	v_mov_b32_e32 v19, v4
	s_delay_alu instid0(VALU_DEP_2) | instskip(NEXT) | instid1(VALU_DEP_1)
	v_lshlrev_b64_e32 v[0:1], 3, v[0:1]
	v_add_co_u32 v0, vcc_lo, s18, v0
	s_wait_alu 0xfffd
	s_delay_alu instid0(VALU_DEP_2)
	v_add_co_ci_u32_e64 v1, null, s19, v1, vcc_lo
	global_store_b64 v[0:1], v[19:20], off
.LBB37_37:
	s_wait_alu 0xfffe
	s_or_b32 exec_lo, exec_lo, s6
	v_cmp_gt_i32_e32 vcc_lo, s22, v37
	s_and_b32 exec_lo, exec_lo, vcc_lo
	s_cbranch_execz .LBB37_52
; %bb.38:
	v_cmp_ne_u32_e32 vcc_lo, 1, v24
	v_mov_b32_e32 v2, 1.0
	s_cbranch_vccnz .LBB37_40
; %bb.39:
	v_div_scale_f32 v0, null, v13, v13, 1.0
	s_delay_alu instid0(VALU_DEP_1) | instskip(NEXT) | instid1(TRANS32_DEP_1)
	v_rcp_f32_e32 v1, v0
	v_fma_f32 v2, -v0, v1, 1.0
	s_delay_alu instid0(VALU_DEP_1) | instskip(SKIP_1) | instid1(VALU_DEP_1)
	v_fmac_f32_e32 v1, v2, v1
	v_div_scale_f32 v2, vcc_lo, 1.0, v13, 1.0
	v_mul_f32_e32 v3, v2, v1
	s_delay_alu instid0(VALU_DEP_1) | instskip(NEXT) | instid1(VALU_DEP_1)
	v_fma_f32 v4, -v0, v3, v2
	v_fmac_f32_e32 v3, v4, v1
	s_delay_alu instid0(VALU_DEP_1) | instskip(SKIP_1) | instid1(VALU_DEP_1)
	v_fma_f32 v0, -v0, v3, v2
	s_wait_alu 0xfffd
	v_div_fmas_f32 v0, v0, v1, v3
	s_delay_alu instid0(VALU_DEP_1)
	v_div_fixup_f32 v2, v0, v13, 1.0
.LBB37_40:
	v_cvt_f32_f16_e32 v8, v28
	v_add_nc_u32_e32 v0, s3, v35
	v_mov_b32_e32 v4, 0
	s_delay_alu instid0(VALU_DEP_2) | instskip(NEXT) | instid1(VALU_DEP_1)
	v_mad_co_u64_u32 v[0:1], null, v0, s23, s[0:1]
	v_mad_co_u64_u32 v[0:1], null, s1, v0, s[4:5]
	v_lshrrev_b32_e32 v1, 16, v28
	s_delay_alu instid0(VALU_DEP_1) | instskip(NEXT) | instid1(VALU_DEP_3)
	v_cvt_f32_f16_e32 v9, v1
	v_lshl_add_u32 v3, v0, 6, v47
	v_mul_f32_e32 v1, v2, v8
	s_delay_alu instid0(VALU_DEP_3) | instskip(NEXT) | instid1(VALU_DEP_3)
	v_mul_f32_e32 v2, v2, v9
	v_lshlrev_b64_e32 v[3:4], 2, v[3:4]
	s_delay_alu instid0(VALU_DEP_1) | instskip(SKIP_1) | instid1(VALU_DEP_2)
	v_add_co_u32 v3, vcc_lo, s16, v3
	s_wait_alu 0xfffd
	v_add_co_ci_u32_e64 v4, null, s17, v4, vcc_lo
	global_store_b64 v[3:4], v[1:2], off
	s_and_saveexec_b32 s6, s5
	s_cbranch_execz .LBB37_42
; %bb.41:
	v_ashrrev_i32_e32 v1, 31, v0
	v_mov_b32_e32 v20, v5
	s_delay_alu instid0(VALU_DEP_2) | instskip(NEXT) | instid1(VALU_DEP_1)
	v_lshlrev_b64_e32 v[0:1], 3, v[0:1]
	v_add_co_u32 v0, vcc_lo, s18, v0
	s_wait_alu 0xfffd
	s_delay_alu instid0(VALU_DEP_2)
	v_add_co_ci_u32_e64 v1, null, s19, v1, vcc_lo
	global_store_b64 v[0:1], v[20:21], off
.LBB37_42:
	s_wait_alu 0xfffe
	s_or_b32 exec_lo, exec_lo, s6
	v_cmp_gt_i32_e32 vcc_lo, s22, v36
	s_and_b32 exec_lo, exec_lo, vcc_lo
	s_cbranch_execz .LBB37_52
; %bb.43:
	v_cmp_ne_u32_e32 vcc_lo, 1, v24
	v_mov_b32_e32 v2, 1.0
	s_cbranch_vccnz .LBB37_45
; %bb.44:
	v_div_scale_f32 v0, null, v14, v14, 1.0
	s_delay_alu instid0(VALU_DEP_1) | instskip(NEXT) | instid1(TRANS32_DEP_1)
	v_rcp_f32_e32 v1, v0
	v_fma_f32 v2, -v0, v1, 1.0
	s_delay_alu instid0(VALU_DEP_1) | instskip(SKIP_1) | instid1(VALU_DEP_1)
	v_fmac_f32_e32 v1, v2, v1
	v_div_scale_f32 v2, vcc_lo, 1.0, v14, 1.0
	v_mul_f32_e32 v3, v2, v1
	s_delay_alu instid0(VALU_DEP_1) | instskip(NEXT) | instid1(VALU_DEP_1)
	v_fma_f32 v4, -v0, v3, v2
	v_fmac_f32_e32 v3, v4, v1
	s_delay_alu instid0(VALU_DEP_1) | instskip(SKIP_1) | instid1(VALU_DEP_1)
	v_fma_f32 v0, -v0, v3, v2
	s_wait_alu 0xfffd
	v_div_fmas_f32 v0, v0, v1, v3
	s_delay_alu instid0(VALU_DEP_1)
	v_div_fixup_f32 v2, v0, v14, 1.0
.LBB37_45:
	v_cvt_f32_f16_e32 v5, v27
	v_add_nc_u32_e32 v0, s3, v34
	v_mov_b32_e32 v4, 0
	;; [unrolled: 60-line block ×3, first 2 shown]
	s_delay_alu instid0(VALU_DEP_2) | instskip(NEXT) | instid1(VALU_DEP_1)
	v_mad_co_u64_u32 v[0:1], null, v0, s23, s[0:1]
	v_mad_co_u64_u32 v[0:1], null, s1, v0, s[4:5]
	v_lshrrev_b32_e32 v1, 16, v26
	s_delay_alu instid0(VALU_DEP_1) | instskip(NEXT) | instid1(VALU_DEP_3)
	v_cvt_f32_f16_e32 v6, v1
	v_lshl_add_u32 v3, v0, 6, v47
	v_mul_f32_e32 v1, v2, v5
	s_delay_alu instid0(VALU_DEP_3) | instskip(NEXT) | instid1(VALU_DEP_3)
	v_mul_f32_e32 v2, v2, v6
	v_lshlrev_b64_e32 v[3:4], 2, v[3:4]
	s_delay_alu instid0(VALU_DEP_1) | instskip(SKIP_1) | instid1(VALU_DEP_2)
	v_add_co_u32 v3, vcc_lo, s16, v3
	s_wait_alu 0xfffd
	v_add_co_ci_u32_e64 v4, null, s17, v4, vcc_lo
	global_store_b64 v[3:4], v[1:2], off
	s_and_b32 exec_lo, exec_lo, s5
	s_cbranch_execz .LBB37_52
; %bb.51:
	v_ashrrev_i32_e32 v1, 31, v0
	v_mov_b32_e32 v22, v7
	s_delay_alu instid0(VALU_DEP_2) | instskip(NEXT) | instid1(VALU_DEP_1)
	v_lshlrev_b64_e32 v[0:1], 3, v[0:1]
	v_add_co_u32 v0, vcc_lo, s18, v0
	s_wait_alu 0xfffd
	s_delay_alu instid0(VALU_DEP_2)
	v_add_co_ci_u32_e64 v1, null, s19, v1, vcc_lo
	global_store_b64 v[0:1], v[22:23], off
	s_nop 0
	s_sendmsg sendmsg(MSG_DEALLOC_VGPRS)
	s_endpgm
.LBB37_52:
	s_nop 0
	s_sendmsg sendmsg(MSG_DEALLOC_VGPRS)
	s_endpgm
	.section	.rodata,"a",@progbits
	.p2align	6, 0x0
	.amdhsa_kernel _ZL15flash_attn_tileILi64ELi64ELi16ELi2ELb0EEvPKcS1_S1_S1_S1_PKiPfP15HIP_vector_typeIfLj2EEffffjfiS5_IjLj3EEiiiiiiiiiiiliiliiiiil
		.amdhsa_group_segment_fixed_size 17408
		.amdhsa_private_segment_fixed_size 0
		.amdhsa_kernarg_size 464
		.amdhsa_user_sgpr_count 2
		.amdhsa_user_sgpr_dispatch_ptr 0
		.amdhsa_user_sgpr_queue_ptr 0
		.amdhsa_user_sgpr_kernarg_segment_ptr 1
		.amdhsa_user_sgpr_dispatch_id 0
		.amdhsa_user_sgpr_private_segment_size 0
		.amdhsa_wavefront_size32 1
		.amdhsa_uses_dynamic_stack 0
		.amdhsa_enable_private_segment 0
		.amdhsa_system_sgpr_workgroup_id_x 1
		.amdhsa_system_sgpr_workgroup_id_y 1
		.amdhsa_system_sgpr_workgroup_id_z 1
		.amdhsa_system_sgpr_workgroup_info 0
		.amdhsa_system_vgpr_workitem_id 1
		.amdhsa_next_free_vgpr 193
		.amdhsa_next_free_sgpr 48
		.amdhsa_reserve_vcc 1
		.amdhsa_float_round_mode_32 0
		.amdhsa_float_round_mode_16_64 0
		.amdhsa_float_denorm_mode_32 3
		.amdhsa_float_denorm_mode_16_64 3
		.amdhsa_fp16_overflow 0
		.amdhsa_workgroup_processor_mode 1
		.amdhsa_memory_ordered 1
		.amdhsa_forward_progress 1
		.amdhsa_inst_pref_size 213
		.amdhsa_round_robin_scheduling 0
		.amdhsa_exception_fp_ieee_invalid_op 0
		.amdhsa_exception_fp_denorm_src 0
		.amdhsa_exception_fp_ieee_div_zero 0
		.amdhsa_exception_fp_ieee_overflow 0
		.amdhsa_exception_fp_ieee_underflow 0
		.amdhsa_exception_fp_ieee_inexact 0
		.amdhsa_exception_int_div_zero 0
	.end_amdhsa_kernel
	.section	.text._ZL15flash_attn_tileILi64ELi64ELi16ELi2ELb0EEvPKcS1_S1_S1_S1_PKiPfP15HIP_vector_typeIfLj2EEffffjfiS5_IjLj3EEiiiiiiiiiiiliiliiiiil,"axG",@progbits,_ZL15flash_attn_tileILi64ELi64ELi16ELi2ELb0EEvPKcS1_S1_S1_S1_PKiPfP15HIP_vector_typeIfLj2EEffffjfiS5_IjLj3EEiiiiiiiiiiiliiliiiiil,comdat
.Lfunc_end37:
	.size	_ZL15flash_attn_tileILi64ELi64ELi16ELi2ELb0EEvPKcS1_S1_S1_S1_PKiPfP15HIP_vector_typeIfLj2EEffffjfiS5_IjLj3EEiiiiiiiiiiiliiliiiiil, .Lfunc_end37-_ZL15flash_attn_tileILi64ELi64ELi16ELi2ELb0EEvPKcS1_S1_S1_S1_PKiPfP15HIP_vector_typeIfLj2EEffffjfiS5_IjLj3EEiiiiiiiiiiiliiliiiiil
                                        ; -- End function
	.set _ZL15flash_attn_tileILi64ELi64ELi16ELi2ELb0EEvPKcS1_S1_S1_S1_PKiPfP15HIP_vector_typeIfLj2EEffffjfiS5_IjLj3EEiiiiiiiiiiiliiliiiiil.num_vgpr, 143
	.set _ZL15flash_attn_tileILi64ELi64ELi16ELi2ELb0EEvPKcS1_S1_S1_S1_PKiPfP15HIP_vector_typeIfLj2EEffffjfiS5_IjLj3EEiiiiiiiiiiiliiliiiiil.num_agpr, 0
	.set _ZL15flash_attn_tileILi64ELi64ELi16ELi2ELb0EEvPKcS1_S1_S1_S1_PKiPfP15HIP_vector_typeIfLj2EEffffjfiS5_IjLj3EEiiiiiiiiiiiliiliiiiil.numbered_sgpr, 48
	.set _ZL15flash_attn_tileILi64ELi64ELi16ELi2ELb0EEvPKcS1_S1_S1_S1_PKiPfP15HIP_vector_typeIfLj2EEffffjfiS5_IjLj3EEiiiiiiiiiiiliiliiiiil.num_named_barrier, 0
	.set _ZL15flash_attn_tileILi64ELi64ELi16ELi2ELb0EEvPKcS1_S1_S1_S1_PKiPfP15HIP_vector_typeIfLj2EEffffjfiS5_IjLj3EEiiiiiiiiiiiliiliiiiil.private_seg_size, 0
	.set _ZL15flash_attn_tileILi64ELi64ELi16ELi2ELb0EEvPKcS1_S1_S1_S1_PKiPfP15HIP_vector_typeIfLj2EEffffjfiS5_IjLj3EEiiiiiiiiiiiliiliiiiil.uses_vcc, 1
	.set _ZL15flash_attn_tileILi64ELi64ELi16ELi2ELb0EEvPKcS1_S1_S1_S1_PKiPfP15HIP_vector_typeIfLj2EEffffjfiS5_IjLj3EEiiiiiiiiiiiliiliiiiil.uses_flat_scratch, 0
	.set _ZL15flash_attn_tileILi64ELi64ELi16ELi2ELb0EEvPKcS1_S1_S1_S1_PKiPfP15HIP_vector_typeIfLj2EEffffjfiS5_IjLj3EEiiiiiiiiiiiliiliiiiil.has_dyn_sized_stack, 0
	.set _ZL15flash_attn_tileILi64ELi64ELi16ELi2ELb0EEvPKcS1_S1_S1_S1_PKiPfP15HIP_vector_typeIfLj2EEffffjfiS5_IjLj3EEiiiiiiiiiiiliiliiiiil.has_recursion, 0
	.set _ZL15flash_attn_tileILi64ELi64ELi16ELi2ELb0EEvPKcS1_S1_S1_S1_PKiPfP15HIP_vector_typeIfLj2EEffffjfiS5_IjLj3EEiiiiiiiiiiiliiliiiiil.has_indirect_call, 0
	.section	.AMDGPU.csdata,"",@progbits
; Kernel info:
; codeLenInByte = 27216
; TotalNumSgprs: 50
; NumVgprs: 143
; ScratchSize: 0
; MemoryBound: 0
; FloatMode: 240
; IeeeMode: 1
; LDSByteSize: 17408 bytes/workgroup (compile time only)
; SGPRBlocks: 0
; VGPRBlocks: 24
; NumSGPRsForWavesPerEU: 50
; NumVGPRsForWavesPerEU: 193
; Occupancy: 7
; WaveLimiterHint : 1
; COMPUTE_PGM_RSRC2:SCRATCH_EN: 0
; COMPUTE_PGM_RSRC2:USER_SGPR: 2
; COMPUTE_PGM_RSRC2:TRAP_HANDLER: 0
; COMPUTE_PGM_RSRC2:TGID_X_EN: 1
; COMPUTE_PGM_RSRC2:TGID_Y_EN: 1
; COMPUTE_PGM_RSRC2:TGID_Z_EN: 1
; COMPUTE_PGM_RSRC2:TIDIG_COMP_CNT: 1
	.section	.text._ZL33flash_attn_stream_k_fixup_uniformILi64ELi16ELi2EEvPfPK15HIP_vector_typeIfLj2EEiiiiiiS1_IjLj3EES5_S5_,"axG",@progbits,_ZL33flash_attn_stream_k_fixup_uniformILi64ELi16ELi2EEvPfPK15HIP_vector_typeIfLj2EEiiiiiiS1_IjLj3EES5_S5_,comdat
	.globl	_ZL33flash_attn_stream_k_fixup_uniformILi64ELi16ELi2EEvPfPK15HIP_vector_typeIfLj2EEiiiiiiS1_IjLj3EES5_S5_ ; -- Begin function _ZL33flash_attn_stream_k_fixup_uniformILi64ELi16ELi2EEvPfPK15HIP_vector_typeIfLj2EEiiiiiiS1_IjLj3EES5_S5_
	.p2align	8
	.type	_ZL33flash_attn_stream_k_fixup_uniformILi64ELi16ELi2EEvPfPK15HIP_vector_typeIfLj2EEiiiiiiS1_IjLj3EES5_S5_,@function
_ZL33flash_attn_stream_k_fixup_uniformILi64ELi16ELi2EEvPfPK15HIP_vector_typeIfLj2EEiiiiiiS1_IjLj3EES5_S5_: ; @_ZL33flash_attn_stream_k_fixup_uniformILi64ELi16ELi2EEvPfPK15HIP_vector_typeIfLj2EEiiiiiiS1_IjLj3EES5_S5_
; %bb.0:
	s_clause 0x1
	s_load_b256 s[4:11], s[0:1], 0x1c
	s_load_b128 s[12:15], s[0:1], 0x3c
	s_wait_kmcnt 0x0
	s_mul_hi_u32 s2, s7, ttmp9
	s_delay_alu instid0(SALU_CYCLE_1) | instskip(NEXT) | instid1(SALU_CYCLE_1)
	s_add_co_i32 s2, ttmp9, s2
	s_lshr_b32 s2, s2, s8
	s_delay_alu instid0(SALU_CYCLE_1) | instskip(SKIP_2) | instid1(SALU_CYCLE_1)
	s_mul_i32 s3, s2, s9
	s_load_b64 s[8:9], s[0:1], 0x10
	s_sub_co_i32 s7, ttmp9, s3
	s_mul_hi_u32 s3, s7, s10
	s_delay_alu instid0(SALU_CYCLE_1) | instskip(NEXT) | instid1(SALU_CYCLE_1)
	s_add_co_i32 s3, s7, s3
	s_lshr_b32 s3, s3, s11
	s_delay_alu instid0(SALU_CYCLE_1) | instskip(NEXT) | instid1(SALU_CYCLE_1)
	s_mul_i32 s10, s3, s12
	s_sub_co_i32 s7, s7, s10
	s_delay_alu instid0(SALU_CYCLE_1) | instskip(NEXT) | instid1(SALU_CYCLE_1)
	s_mul_hi_u32 s10, s7, s13
	s_add_co_i32 s10, s7, s10
	s_delay_alu instid0(SALU_CYCLE_1) | instskip(NEXT) | instid1(SALU_CYCLE_1)
	s_lshr_b32 s12, s10, s14
	s_mul_i32 s10, s12, s15
	s_lshl_b32 s12, s12, 1
	s_sub_co_i32 s11, s7, s10
	s_and_b32 s7, ttmp7, 0xffff
	s_lshl_b32 s13, s11, 4
	s_lshr_b32 s10, ttmp7, 16
	s_add_co_i32 s13, s13, s7
	s_wait_kmcnt 0x0
	s_cmp_lt_i32 s13, s8
	s_cselect_b32 s13, -1, 0
	s_add_co_i32 s14, s12, s10
	s_delay_alu instid0(SALU_CYCLE_1) | instskip(SKIP_1) | instid1(SALU_CYCLE_1)
	s_cmp_lt_i32 s14, s5
	s_cselect_b32 s14, -1, 0
	s_and_b32 s13, s13, s14
	s_delay_alu instid0(SALU_CYCLE_1)
	s_and_not1_b32 vcc_lo, exec_lo, s13
	s_cbranch_vccnz .LBB38_6
; %bb.1:
	s_mul_i32 s2, s2, s8
	s_mul_i32 s5, s3, s5
	s_add_co_i32 s2, s2, s7
	s_delay_alu instid0(SALU_CYCLE_1) | instskip(NEXT) | instid1(SALU_CYCLE_1)
	s_mul_i32 s2, s2, s9
	s_add_co_i32 s8, s2, s10
	s_load_b128 s[0:3], s[0:1], 0x0
	s_add_co_i32 s5, s8, s5
	s_mul_i32 s8, s9, s11
	s_add_co_i32 s5, s5, s12
	s_lshl_b32 s8, s8, 10
	s_lshl_b32 s5, s5, 6
	s_delay_alu instid0(SALU_CYCLE_1)
	s_add_co_i32 s8, s8, s5
	s_lshl_b32 s5, s7, 1
	v_or_b32_e32 v1, s8, v0
	s_mul_i32 s8, s6, ttmp9
	s_wait_alu 0xfffe
	s_add_co_i32 s9, s8, s6
	s_wait_alu 0xfffe
	s_add_co_i32 s12, s9, -2
	v_ashrrev_i32_e32 v2, 31, v1
	s_delay_alu instid0(VALU_DEP_1) | instskip(SKIP_1) | instid1(VALU_DEP_1)
	v_lshlrev_b64_e32 v[1:2], 2, v[1:2]
	s_wait_kmcnt 0x0
	v_add_co_u32 v1, vcc_lo, s0, v1
	s_delay_alu instid0(VALU_DEP_1)
	v_add_co_ci_u32_e64 v2, null, s1, v2, vcc_lo
	s_add_co_i32 s0, s5, s10
	s_lshl_b32 s1, s9, 5
	global_load_b32 v5, v[1:2], off
	s_wait_alu 0xfffe
	s_add_co_i32 s0, s0, s1
	s_wait_alu 0xfffe
	s_sub_co_i32 s0, s0, 32
	s_wait_alu 0xfffe
	s_ashr_i32 s1, s0, 31
	s_wait_alu 0xfffe
	s_lshl_b64 s[0:1], s[0:1], 3
	s_cmp_lt_i32 s12, s8
	s_wait_alu 0xfffe
	s_add_nc_u64 s[0:1], s[2:3], s[0:1]
	s_load_b32 s11, s[0:1], 0x4
	s_cbranch_scc1 .LBB38_4
; %bb.2:
	s_load_b32 s0, s[0:1], 0x0
	s_add_co_i32 s13, ttmp9, 1
	s_lshl_b32 s12, s4, 7
	s_mul_i32 s1, s6, s13
	s_lshl_b32 s6, s7, 7
	s_lshl_b32 s7, s10, 6
	s_wait_alu 0xfffe
	s_lshl_b32 s14, s1, 11
	s_add_co_i32 s6, s7, s6
	s_lshl_b32 s1, s1, 5
	s_add_co_i32 s14, s6, s14
	s_wait_alu 0xfffe
	s_add_co_i32 s1, s10, s1
	v_or_b32_e32 v0, s14, v0
	s_lshl_b32 s4, s4, 5
	s_ashr_i32 s13, s12, 31
	s_wait_alu 0xfffe
	s_add_co_i32 s1, s1, s4
	s_wait_kmcnt 0x0
	v_dual_mov_b32 v6, s11 :: v_dual_add_nc_u32 v3, 0xfffff000, v0
	s_lshl_b64 s[6:7], s[12:13], 2
	s_wait_alu 0xfffe
	s_add_co_i32 s4, s1, s5
	s_add_nc_u64 s[6:7], s[2:3], s[6:7]
	s_add_co_i32 s1, s9, -1
	s_sub_co_i32 s4, s4, 64
.LBB38_3:                               ; =>This Inner Loop Header: Depth=1
	v_ashrrev_i32_e32 v4, 31, v3
	s_ashr_i32 s5, s4, 31
	v_mov_b32_e32 v10, v6
	s_lshl_b64 s[10:11], s[4:5], 3
	s_wait_loadcnt 0x0
	v_mov_b32_e32 v9, v5
	v_lshlrev_b64_e32 v[7:8], 2, v[3:4]
	s_wait_alu 0xfffe
	s_add_nc_u64 s[10:11], s[2:3], s[10:11]
	v_max_num_f32_e64 v4, s0, s0
	s_load_b64 s[10:11], s[10:11], 0x0
	v_add_nc_u32_e32 v3, 0xfffff800, v3
	v_add_co_u32 v7, vcc_lo, s6, v7
	s_wait_alu 0xfffd
	v_add_co_ci_u32_e64 v8, null, s7, v8, vcc_lo
	v_readfirstlane_b32 s5, v4
	global_load_b32 v0, v[7:8], off
	s_wait_kmcnt 0x0
	v_max_num_f32_e64 v4, s10, s10
	s_delay_alu instid0(VALU_DEP_1) | instskip(SKIP_1) | instid1(SALU_CYCLE_3)
	v_readfirstlane_b32 s9, v4
	s_max_num_f32 s5, s5, s9
	s_sub_f32 s0, s0, s5
	s_sub_f32 s9, s10, s5
	s_wait_alu 0xfffe
	s_delay_alu instid0(SALU_CYCLE_1) | instskip(NEXT) | instid1(SALU_CYCLE_1)
	s_mul_f32 s10, s0, 0x3fb8aa3b
	s_mul_f32 s12, s9, 0x3fb8aa3b
	s_wait_alu 0xfffe
	s_delay_alu instid0(SALU_CYCLE_1)
	s_xor_b32 s13, s10, 0x80000000
	s_rndne_f32 s14, s10
	s_fmamk_f32 s13, s0, 0x3fb8aa3b, s13
	s_cmp_nlt_f32 s0, 0xc2ce8ed0
	s_rndne_f32 s15, s12
	s_wait_alu 0xfffe
	s_sub_f32 s10, s10, s14
	s_fmamk_f32 s13, s0, 0x32a5705f, s13
	s_cvt_i32_f32 s14, s14
	s_cselect_b32 vcc_lo, -1, 0
	s_cmp_ngt_f32 s0, 0x42b17218
	s_wait_alu 0xfffe
	s_add_f32 s10, s10, s13
	s_sub_f32 s13, s12, s15
	s_wait_alu 0xfffe
	s_delay_alu instid0(SALU_CYCLE_1) | instskip(SKIP_1) | instid1(TRANS32_DEP_1)
	v_s_exp_f32 s10, s10
	s_wait_alu 0xf1ff
	v_ldexp_f32 v4, s10, s14
	s_cvt_i32_f32 s10, s15
	s_delay_alu instid0(VALU_DEP_1) | instskip(SKIP_3) | instid1(VALU_DEP_1)
	v_cndmask_b32_e32 v4, 0, v4, vcc_lo
	s_cselect_b32 vcc_lo, -1, 0
	s_cmp_ge_f32 s0, 0xc1a00000
	s_wait_alu 0xfffe
	v_cndmask_b32_e32 v4, 0x7f800000, v4, vcc_lo
	s_cselect_b32 vcc_lo, -1, 0
	s_xor_b32 s0, s12, 0x80000000
	s_cmp_nlt_f32 s9, 0xc2ce8ed0
	s_wait_alu 0xfffe
	s_fmamk_f32 s0, s9, 0x3fb8aa3b, s0
	s_wait_alu 0xfffe
	s_delay_alu instid0(SALU_CYCLE_2) | instskip(SKIP_1) | instid1(SALU_CYCLE_2)
	s_fmamk_f32 s0, s9, 0x32a5705f, s0
	s_wait_alu 0xfffe
	s_add_f32 s0, s13, s0
	s_wait_alu 0xfffe
	s_delay_alu instid0(SALU_CYCLE_2) | instskip(SKIP_1) | instid1(TRANS32_DEP_1)
	v_s_exp_f32 s0, s0
	s_wait_alu 0xf1ff
	v_ldexp_f32 v7, s0, s10
	s_cselect_b32 s0, -1, 0
	s_cmp_ngt_f32 s9, 0x42b17218
	s_wait_alu 0xfffe
	s_delay_alu instid0(VALU_DEP_1) | instskip(SKIP_3) | instid1(VALU_DEP_1)
	v_cndmask_b32_e64 v7, 0, v7, s0
	s_cselect_b32 s0, -1, 0
	s_cmp_ge_f32 s9, 0xc1a00000
	s_wait_alu 0xfffe
	v_cndmask_b32_e64 v7, 0x7f800000, v7, s0
	s_cselect_b32 s0, -1, 0
	s_add_co_i32 s1, s1, -1
	s_sub_co_i32 s4, s4, 32
	s_wait_alu 0xfffe
	s_cmp_le_i32 s1, s8
	v_cndmask_b32_e64 v7, 0, v7, s0
	s_mov_b32 s0, s5
	s_wait_loadcnt 0x0
	s_delay_alu instid0(VALU_DEP_1) | instskip(NEXT) | instid1(VALU_DEP_1)
	v_dual_mul_f32 v5, v0, v7 :: v_dual_cndmask_b32 v4, 0, v4
	v_dual_mul_f32 v8, s11, v7 :: v_dual_fmac_f32 v5, v9, v4
	s_delay_alu instid0(VALU_DEP_1) | instskip(NEXT) | instid1(VALU_DEP_1)
	v_mov_b32_e32 v6, v8
	v_fmac_f32_e32 v6, v10, v4
	s_cbranch_scc0 .LBB38_3
	s_branch .LBB38_5
.LBB38_4:
	s_wait_kmcnt 0x0
	v_mov_b32_e32 v6, s11
.LBB38_5:
	s_wait_loadcnt 0x0
	s_delay_alu instid0(VALU_DEP_1) | instskip(NEXT) | instid1(VALU_DEP_1)
	v_div_scale_f32 v0, null, v6, v6, v5
	v_rcp_f32_e32 v3, v0
	s_delay_alu instid0(TRANS32_DEP_1) | instskip(NEXT) | instid1(VALU_DEP_1)
	v_fma_f32 v4, -v0, v3, 1.0
	v_fmac_f32_e32 v3, v4, v3
	v_div_scale_f32 v4, vcc_lo, v5, v6, v5
	s_delay_alu instid0(VALU_DEP_1) | instskip(NEXT) | instid1(VALU_DEP_1)
	v_mul_f32_e32 v7, v4, v3
	v_fma_f32 v8, -v0, v7, v4
	s_delay_alu instid0(VALU_DEP_1) | instskip(NEXT) | instid1(VALU_DEP_1)
	v_fmac_f32_e32 v7, v8, v3
	v_fma_f32 v0, -v0, v7, v4
	s_wait_alu 0xfffd
	s_delay_alu instid0(VALU_DEP_1) | instskip(NEXT) | instid1(VALU_DEP_1)
	v_div_fmas_f32 v0, v0, v3, v7
	v_div_fixup_f32 v0, v0, v6, v5
	global_store_b32 v[1:2], v0, off
.LBB38_6:
	s_endpgm
	.section	.rodata,"a",@progbits
	.p2align	6, 0x0
	.amdhsa_kernel _ZL33flash_attn_stream_k_fixup_uniformILi64ELi16ELi2EEvPfPK15HIP_vector_typeIfLj2EEiiiiiiS1_IjLj3EES5_S5_
		.amdhsa_group_segment_fixed_size 0
		.amdhsa_private_segment_fixed_size 0
		.amdhsa_kernarg_size 76
		.amdhsa_user_sgpr_count 2
		.amdhsa_user_sgpr_dispatch_ptr 0
		.amdhsa_user_sgpr_queue_ptr 0
		.amdhsa_user_sgpr_kernarg_segment_ptr 1
		.amdhsa_user_sgpr_dispatch_id 0
		.amdhsa_user_sgpr_private_segment_size 0
		.amdhsa_wavefront_size32 1
		.amdhsa_uses_dynamic_stack 0
		.amdhsa_enable_private_segment 0
		.amdhsa_system_sgpr_workgroup_id_x 1
		.amdhsa_system_sgpr_workgroup_id_y 1
		.amdhsa_system_sgpr_workgroup_id_z 1
		.amdhsa_system_sgpr_workgroup_info 0
		.amdhsa_system_vgpr_workitem_id 0
		.amdhsa_next_free_vgpr 11
		.amdhsa_next_free_sgpr 16
		.amdhsa_reserve_vcc 1
		.amdhsa_float_round_mode_32 0
		.amdhsa_float_round_mode_16_64 0
		.amdhsa_float_denorm_mode_32 3
		.amdhsa_float_denorm_mode_16_64 3
		.amdhsa_fp16_overflow 0
		.amdhsa_workgroup_processor_mode 1
		.amdhsa_memory_ordered 1
		.amdhsa_forward_progress 1
		.amdhsa_inst_pref_size 9
		.amdhsa_round_robin_scheduling 0
		.amdhsa_exception_fp_ieee_invalid_op 0
		.amdhsa_exception_fp_denorm_src 0
		.amdhsa_exception_fp_ieee_div_zero 0
		.amdhsa_exception_fp_ieee_overflow 0
		.amdhsa_exception_fp_ieee_underflow 0
		.amdhsa_exception_fp_ieee_inexact 0
		.amdhsa_exception_int_div_zero 0
	.end_amdhsa_kernel
	.section	.text._ZL33flash_attn_stream_k_fixup_uniformILi64ELi16ELi2EEvPfPK15HIP_vector_typeIfLj2EEiiiiiiS1_IjLj3EES5_S5_,"axG",@progbits,_ZL33flash_attn_stream_k_fixup_uniformILi64ELi16ELi2EEvPfPK15HIP_vector_typeIfLj2EEiiiiiiS1_IjLj3EES5_S5_,comdat
.Lfunc_end38:
	.size	_ZL33flash_attn_stream_k_fixup_uniformILi64ELi16ELi2EEvPfPK15HIP_vector_typeIfLj2EEiiiiiiS1_IjLj3EES5_S5_, .Lfunc_end38-_ZL33flash_attn_stream_k_fixup_uniformILi64ELi16ELi2EEvPfPK15HIP_vector_typeIfLj2EEiiiiiiS1_IjLj3EES5_S5_
                                        ; -- End function
	.set _ZL33flash_attn_stream_k_fixup_uniformILi64ELi16ELi2EEvPfPK15HIP_vector_typeIfLj2EEiiiiiiS1_IjLj3EES5_S5_.num_vgpr, 11
	.set _ZL33flash_attn_stream_k_fixup_uniformILi64ELi16ELi2EEvPfPK15HIP_vector_typeIfLj2EEiiiiiiS1_IjLj3EES5_S5_.num_agpr, 0
	.set _ZL33flash_attn_stream_k_fixup_uniformILi64ELi16ELi2EEvPfPK15HIP_vector_typeIfLj2EEiiiiiiS1_IjLj3EES5_S5_.numbered_sgpr, 16
	.set _ZL33flash_attn_stream_k_fixup_uniformILi64ELi16ELi2EEvPfPK15HIP_vector_typeIfLj2EEiiiiiiS1_IjLj3EES5_S5_.num_named_barrier, 0
	.set _ZL33flash_attn_stream_k_fixup_uniformILi64ELi16ELi2EEvPfPK15HIP_vector_typeIfLj2EEiiiiiiS1_IjLj3EES5_S5_.private_seg_size, 0
	.set _ZL33flash_attn_stream_k_fixup_uniformILi64ELi16ELi2EEvPfPK15HIP_vector_typeIfLj2EEiiiiiiS1_IjLj3EES5_S5_.uses_vcc, 1
	.set _ZL33flash_attn_stream_k_fixup_uniformILi64ELi16ELi2EEvPfPK15HIP_vector_typeIfLj2EEiiiiiiS1_IjLj3EES5_S5_.uses_flat_scratch, 0
	.set _ZL33flash_attn_stream_k_fixup_uniformILi64ELi16ELi2EEvPfPK15HIP_vector_typeIfLj2EEiiiiiiS1_IjLj3EES5_S5_.has_dyn_sized_stack, 0
	.set _ZL33flash_attn_stream_k_fixup_uniformILi64ELi16ELi2EEvPfPK15HIP_vector_typeIfLj2EEiiiiiiS1_IjLj3EES5_S5_.has_recursion, 0
	.set _ZL33flash_attn_stream_k_fixup_uniformILi64ELi16ELi2EEvPfPK15HIP_vector_typeIfLj2EEiiiiiiS1_IjLj3EES5_S5_.has_indirect_call, 0
	.section	.AMDGPU.csdata,"",@progbits
; Kernel info:
; codeLenInByte = 1140
; TotalNumSgprs: 18
; NumVgprs: 11
; ScratchSize: 0
; MemoryBound: 0
; FloatMode: 240
; IeeeMode: 1
; LDSByteSize: 0 bytes/workgroup (compile time only)
; SGPRBlocks: 0
; VGPRBlocks: 1
; NumSGPRsForWavesPerEU: 18
; NumVGPRsForWavesPerEU: 11
; Occupancy: 16
; WaveLimiterHint : 0
; COMPUTE_PGM_RSRC2:SCRATCH_EN: 0
; COMPUTE_PGM_RSRC2:USER_SGPR: 2
; COMPUTE_PGM_RSRC2:TRAP_HANDLER: 0
; COMPUTE_PGM_RSRC2:TGID_X_EN: 1
; COMPUTE_PGM_RSRC2:TGID_Y_EN: 1
; COMPUTE_PGM_RSRC2:TGID_Z_EN: 1
; COMPUTE_PGM_RSRC2:TIDIG_COMP_CNT: 0
	.section	.text._ZL33flash_attn_stream_k_fixup_generalILi64ELi16ELi2EEvPfPK15HIP_vector_typeIfLj2EEiiiiS1_IjLj3EES5_S5_S5_,"axG",@progbits,_ZL33flash_attn_stream_k_fixup_generalILi64ELi16ELi2EEvPfPK15HIP_vector_typeIfLj2EEiiiiS1_IjLj3EES5_S5_S5_,comdat
	.globl	_ZL33flash_attn_stream_k_fixup_generalILi64ELi16ELi2EEvPfPK15HIP_vector_typeIfLj2EEiiiiS1_IjLj3EES5_S5_S5_ ; -- Begin function _ZL33flash_attn_stream_k_fixup_generalILi64ELi16ELi2EEvPfPK15HIP_vector_typeIfLj2EEiiiiS1_IjLj3EES5_S5_S5_
	.p2align	8
	.type	_ZL33flash_attn_stream_k_fixup_generalILi64ELi16ELi2EEvPfPK15HIP_vector_typeIfLj2EEiiiiS1_IjLj3EES5_S5_S5_,@function
_ZL33flash_attn_stream_k_fixup_generalILi64ELi16ELi2EEvPfPK15HIP_vector_typeIfLj2EEiiiiS1_IjLj3EES5_S5_S5_: ; @_ZL33flash_attn_stream_k_fixup_generalILi64ELi16ELi2EEvPfPK15HIP_vector_typeIfLj2EEiiiiS1_IjLj3EES5_S5_S5_
; %bb.0:
	s_clause 0x1
	s_load_b128 s[4:7], s[0:1], 0x10
	s_load_b32 s16, s[0:1], 0x50
	s_mov_b32 s2, ttmp9
	s_ashr_i32 s3, ttmp9, 31
	s_mov_b32 s17, 0
	s_delay_alu instid0(SALU_CYCLE_1) | instskip(SKIP_3) | instid1(SALU_CYCLE_1)
	s_mov_b32 s8, s17
	s_wait_kmcnt 0x0
	s_ashr_i32 s19, s7, 31
	s_mov_b32 s18, s7
	s_mul_u64 s[2:3], s[18:19], s[2:3]
	s_delay_alu instid0(SALU_CYCLE_1) | instskip(NEXT) | instid1(SALU_CYCLE_1)
	s_mov_b32 s9, s3
	s_cmp_lg_u64 s[8:9], 0
	s_cbranch_scc0 .LBB39_21
; %bb.1:
	s_add_nc_u64 s[8:9], s[16:17], 0
	s_mov_b32 s15, s17
	s_xor_b64 s[8:9], s[8:9], 0
	s_mov_b32 s23, s17
	s_cvt_f32_u32 s7, s8
	s_cvt_f32_u32 s10, s9
	s_sub_nc_u64 s[12:13], 0, s[8:9]
	s_delay_alu instid0(SALU_CYCLE_2) | instskip(NEXT) | instid1(SALU_CYCLE_3)
	s_fmamk_f32 s7, s10, 0x4f800000, s7
	v_s_rcp_f32 s7, s7
	s_delay_alu instid0(TRANS32_DEP_1) | instskip(SKIP_1) | instid1(SALU_CYCLE_2)
	s_mul_f32 s7, s7, 0x5f7ffffc
	s_wait_alu 0xfffe
	s_mul_f32 s10, s7, 0x2f800000
	s_delay_alu instid0(SALU_CYCLE_3) | instskip(NEXT) | instid1(SALU_CYCLE_3)
	s_trunc_f32 s10, s10
	s_fmamk_f32 s7, s10, 0xcf800000, s7
	s_cvt_u32_f32 s11, s10
	s_wait_alu 0xfffe
	s_delay_alu instid0(SALU_CYCLE_1) | instskip(NEXT) | instid1(SALU_CYCLE_3)
	s_cvt_u32_f32 s10, s7
	s_mul_u64 s[20:21], s[12:13], s[10:11]
	s_delay_alu instid0(SALU_CYCLE_1)
	s_mul_hi_u32 s25, s10, s21
	s_mul_i32 s24, s10, s21
	s_mul_hi_u32 s14, s10, s20
	s_mul_i32 s22, s11, s20
	s_add_nc_u64 s[14:15], s[14:15], s[24:25]
	s_mul_hi_u32 s7, s11, s20
	s_mul_hi_u32 s26, s11, s21
	s_add_co_u32 s14, s14, s22
	s_wait_alu 0xfffe
	s_add_co_ci_u32 s22, s15, s7
	s_mul_i32 s20, s11, s21
	s_add_co_ci_u32 s21, s26, 0
	s_delay_alu instid0(SALU_CYCLE_1)
	s_add_nc_u64 s[14:15], s[22:23], s[20:21]
	s_mov_b32 s21, s17
	s_add_co_u32 s10, s10, s14
	s_cselect_b32 s7, -1, 0
	s_wait_alu 0xfffe
	s_cmp_lg_u32 s7, 0
	s_add_co_ci_u32 s11, s11, s15
	s_mov_b32 s15, s17
	s_mul_u64 s[12:13], s[12:13], s[10:11]
	s_delay_alu instid0(SALU_CYCLE_1)
	s_mul_hi_u32 s23, s10, s13
	s_mul_i32 s22, s10, s13
	s_mul_hi_u32 s14, s10, s12
	s_mul_i32 s20, s11, s12
	s_add_nc_u64 s[14:15], s[14:15], s[22:23]
	s_mul_hi_u32 s7, s11, s12
	s_mul_hi_u32 s24, s11, s13
	s_mul_i32 s12, s11, s13
	s_add_co_u32 s13, s14, s20
	s_wait_alu 0xfffe
	s_add_co_ci_u32 s20, s15, s7
	s_add_co_ci_u32 s13, s24, 0
	s_mov_b32 s15, s17
	s_add_nc_u64 s[12:13], s[20:21], s[12:13]
	s_delay_alu instid0(SALU_CYCLE_1) | instskip(SKIP_1) | instid1(SALU_CYCLE_1)
	s_add_co_u32 s7, s10, s12
	s_cselect_b32 s10, -1, 0
	s_cmp_lg_u32 s10, 0
	s_add_co_ci_u32 s20, s11, s13
	s_ashr_i32 s10, s3, 31
	s_delay_alu instid0(SALU_CYCLE_1) | instskip(NEXT) | instid1(SALU_CYCLE_1)
	s_mov_b32 s11, s10
	s_add_nc_u64 s[12:13], s[2:3], s[10:11]
	s_delay_alu instid0(SALU_CYCLE_1) | instskip(NEXT) | instid1(SALU_CYCLE_1)
	s_xor_b64 s[12:13], s[12:13], s[10:11]
	s_mul_hi_u32 s23, s12, s20
	s_mul_i32 s22, s12, s20
	s_wait_alu 0xfffe
	s_mul_hi_u32 s14, s12, s7
	s_mul_hi_u32 s24, s13, s7
	s_mul_i32 s7, s13, s7
	s_add_nc_u64 s[14:15], s[14:15], s[22:23]
	s_mul_hi_u32 s3, s13, s20
	s_wait_alu 0xfffe
	s_add_co_u32 s7, s14, s7
	s_mul_i32 s22, s13, s20
	s_add_co_ci_u32 s20, s15, s24
	s_add_co_ci_u32 s23, s3, 0
	s_delay_alu instid0(SALU_CYCLE_1) | instskip(NEXT) | instid1(SALU_CYCLE_1)
	s_add_nc_u64 s[14:15], s[20:21], s[22:23]
	s_mul_u64 s[20:21], s[8:9], s[14:15]
	s_delay_alu instid0(SALU_CYCLE_1)
	s_sub_co_u32 s3, s12, s20
	s_cselect_b32 s7, -1, 0
	s_sub_co_i32 s12, s13, s21
	s_wait_alu 0xfffe
	s_cmp_lg_u32 s7, 0
	s_sub_co_ci_u32 s12, s12, s9
	s_sub_co_u32 s20, s3, s8
	s_cselect_b32 s22, -1, 0
	s_delay_alu instid0(SALU_CYCLE_1) | instskip(SKIP_2) | instid1(SALU_CYCLE_1)
	s_cmp_lg_u32 s22, 0
	s_add_nc_u64 s[22:23], s[14:15], 1
	s_sub_co_ci_u32 s12, s12, 0
	s_cmp_ge_u32 s12, s9
	s_cselect_b32 s24, -1, 0
	s_cmp_ge_u32 s20, s8
	s_cselect_b32 s20, -1, 0
	s_cmp_eq_u32 s12, s9
	s_cselect_b32 s12, s20, s24
	s_add_nc_u64 s[24:25], s[14:15], 2
	s_cmp_lg_u32 s12, 0
	s_cselect_b32 s12, s24, s22
	s_cselect_b32 s20, s25, s23
	s_cmp_lg_u32 s7, 0
	s_sub_co_ci_u32 s7, s13, s21
	s_wait_alu 0xfffe
	s_cmp_ge_u32 s7, s9
	s_cselect_b32 s13, -1, 0
	s_cmp_ge_u32 s3, s8
	s_cselect_b32 s3, -1, 0
	s_cmp_eq_u32 s7, s9
	s_cselect_b32 s3, s3, s13
	s_delay_alu instid0(SALU_CYCLE_1) | instskip(SKIP_4) | instid1(SALU_CYCLE_1)
	s_cmp_lg_u32 s3, 0
	s_mov_b32 s3, s17
	s_cselect_b32 s9, s20, s15
	s_cselect_b32 s8, s12, s14
	s_xor_b64 s[10:11], s[10:11], 0
	s_xor_b64 s[8:9], s[8:9], s[10:11]
	s_delay_alu instid0(SALU_CYCLE_1)
	s_sub_nc_u64 s[20:21], s[8:9], s[10:11]
	s_and_not1_b32 vcc_lo, exec_lo, s3
	s_cbranch_vccnz .LBB39_3
.LBB39_2:
	v_cvt_f32_u32_e32 v1, s16
	s_sub_co_i32 s7, 0, s16
	s_delay_alu instid0(VALU_DEP_1) | instskip(NEXT) | instid1(TRANS32_DEP_1)
	v_rcp_iflag_f32_e32 v1, v1
	v_mul_f32_e32 v1, 0x4f7ffffe, v1
	s_delay_alu instid0(VALU_DEP_1) | instskip(NEXT) | instid1(VALU_DEP_1)
	v_cvt_u32_f32_e32 v1, v1
	v_readfirstlane_b32 s3, v1
	s_wait_alu 0xfffe
	s_mul_i32 s7, s7, s3
	s_wait_alu 0xfffe
	s_mul_hi_u32 s7, s3, s7
	s_wait_alu 0xfffe
	s_add_co_i32 s3, s3, s7
	s_delay_alu instid0(SALU_CYCLE_1) | instskip(NEXT) | instid1(SALU_CYCLE_1)
	s_mul_hi_u32 s3, s2, s3
	s_mul_i32 s7, s3, s16
	s_wait_alu 0xfffe
	s_sub_co_i32 s2, s2, s7
	s_add_co_i32 s7, s3, 1
	s_sub_co_i32 s8, s2, s16
	s_cmp_ge_u32 s2, s16
	s_wait_alu 0xfffe
	s_cselect_b32 s3, s7, s3
	s_cselect_b32 s2, s8, s2
	s_add_co_i32 s7, s3, 1
	s_cmp_ge_u32 s2, s16
	s_wait_alu 0xfffe
	s_cselect_b32 s20, s7, s3
.LBB39_3:
	s_add_co_i32 s2, ttmp9, 1
	s_mov_b32 s8, 0
	s_ashr_i32 s3, s2, 31
	s_delay_alu instid0(SALU_CYCLE_1) | instskip(NEXT) | instid1(SALU_CYCLE_1)
	s_mul_u64 s[2:3], s[18:19], s[2:3]
	s_mov_b32 s9, s3
	s_delay_alu instid0(SALU_CYCLE_1)
	s_cmp_lg_u64 s[8:9], 0
	s_cbranch_scc0 .LBB39_22
; %bb.4:
	s_add_nc_u64 s[10:11], s[16:17], 0
	s_mov_b32 s23, s8
	s_xor_b64 s[10:11], s[10:11], 0
	s_mov_b32 s27, s8
	s_cvt_f32_u32 s7, s10
	s_cvt_f32_u32 s9, s11
	s_sub_nc_u64 s[14:15], 0, s[10:11]
	s_wait_alu 0xfffe
	s_delay_alu instid0(SALU_CYCLE_1) | instskip(SKIP_1) | instid1(SALU_CYCLE_2)
	s_fmamk_f32 s7, s9, 0x4f800000, s7
	s_wait_alu 0xfffe
	v_s_rcp_f32 s7, s7
	s_delay_alu instid0(TRANS32_DEP_1) | instskip(SKIP_1) | instid1(SALU_CYCLE_2)
	s_mul_f32 s7, s7, 0x5f7ffffc
	s_wait_alu 0xfffe
	s_mul_f32 s9, s7, 0x2f800000
	s_delay_alu instid0(SALU_CYCLE_3) | instskip(NEXT) | instid1(SALU_CYCLE_3)
	s_trunc_f32 s9, s9
	s_fmamk_f32 s7, s9, 0xcf800000, s7
	s_cvt_u32_f32 s13, s9
	s_wait_alu 0xfffe
	s_delay_alu instid0(SALU_CYCLE_1) | instskip(NEXT) | instid1(SALU_CYCLE_3)
	s_cvt_u32_f32 s12, s7
	s_mul_u64 s[24:25], s[14:15], s[12:13]
	s_delay_alu instid0(SALU_CYCLE_1)
	s_mul_hi_u32 s29, s12, s25
	s_mul_i32 s28, s12, s25
	s_mul_hi_u32 s22, s12, s24
	s_mul_i32 s9, s13, s24
	s_add_nc_u64 s[22:23], s[22:23], s[28:29]
	s_mul_hi_u32 s7, s13, s24
	s_mul_hi_u32 s21, s13, s25
	s_add_co_u32 s9, s22, s9
	s_wait_alu 0xfffe
	s_add_co_ci_u32 s26, s23, s7
	s_mul_i32 s24, s13, s25
	s_add_co_ci_u32 s25, s21, 0
	s_delay_alu instid0(SALU_CYCLE_1)
	s_add_nc_u64 s[22:23], s[26:27], s[24:25]
	s_mov_b32 s25, s8
	s_add_co_u32 s12, s12, s22
	s_cselect_b32 s7, -1, 0
	s_wait_alu 0xfffe
	s_cmp_lg_u32 s7, 0
	s_add_co_ci_u32 s13, s13, s23
	s_mov_b32 s23, s8
	s_mul_u64 s[14:15], s[14:15], s[12:13]
	s_delay_alu instid0(SALU_CYCLE_1)
	s_mul_hi_u32 s27, s12, s15
	s_mul_i32 s26, s12, s15
	s_mul_hi_u32 s22, s12, s14
	s_mul_i32 s9, s13, s14
	s_add_nc_u64 s[22:23], s[22:23], s[26:27]
	s_mul_hi_u32 s7, s13, s14
	s_mul_hi_u32 s21, s13, s15
	s_add_co_u32 s9, s22, s9
	s_wait_alu 0xfffe
	s_add_co_ci_u32 s24, s23, s7
	s_mul_i32 s14, s13, s15
	s_add_co_ci_u32 s15, s21, 0
	s_mov_b32 s23, s8
	s_add_nc_u64 s[14:15], s[24:25], s[14:15]
	s_delay_alu instid0(SALU_CYCLE_1) | instskip(SKIP_1) | instid1(SALU_CYCLE_1)
	s_add_co_u32 s7, s12, s14
	s_cselect_b32 s9, -1, 0
	s_cmp_lg_u32 s9, 0
	s_add_co_ci_u32 s9, s13, s15
	s_ashr_i32 s12, s3, 31
	s_delay_alu instid0(SALU_CYCLE_1) | instskip(NEXT) | instid1(SALU_CYCLE_1)
	s_mov_b32 s13, s12
	s_add_nc_u64 s[14:15], s[2:3], s[12:13]
	s_delay_alu instid0(SALU_CYCLE_1) | instskip(NEXT) | instid1(SALU_CYCLE_1)
	s_xor_b64 s[14:15], s[14:15], s[12:13]
	s_mul_hi_u32 s27, s14, s9
	s_mul_i32 s26, s14, s9
	s_wait_alu 0xfffe
	s_mul_hi_u32 s22, s14, s7
	s_mul_hi_u32 s21, s15, s7
	s_mul_i32 s7, s15, s7
	s_add_nc_u64 s[22:23], s[22:23], s[26:27]
	s_mul_hi_u32 s3, s15, s9
	s_wait_alu 0xfffe
	s_add_co_u32 s7, s22, s7
	s_add_co_ci_u32 s24, s23, s21
	s_mul_i32 s26, s15, s9
	s_add_co_ci_u32 s27, s3, 0
	s_delay_alu instid0(SALU_CYCLE_1) | instskip(NEXT) | instid1(SALU_CYCLE_1)
	s_add_nc_u64 s[22:23], s[24:25], s[26:27]
	s_mul_u64 s[24:25], s[10:11], s[22:23]
	s_add_nc_u64 s[26:27], s[22:23], 1
	s_sub_co_u32 s3, s14, s24
	s_cselect_b32 s7, -1, 0
	s_sub_co_i32 s9, s15, s25
	s_wait_alu 0xfffe
	s_cmp_lg_u32 s7, 0
	s_add_nc_u64 s[28:29], s[22:23], 2
	s_sub_co_ci_u32 s9, s9, s11
	s_sub_co_u32 s14, s3, s10
	s_cselect_b32 s21, -1, 0
	s_delay_alu instid0(SALU_CYCLE_1) | instskip(SKIP_1) | instid1(SALU_CYCLE_1)
	s_cmp_lg_u32 s21, 0
	s_sub_co_ci_u32 s9, s9, 0
	s_cmp_ge_u32 s9, s11
	s_cselect_b32 s21, -1, 0
	s_cmp_ge_u32 s14, s10
	s_cselect_b32 s14, -1, 0
	s_cmp_eq_u32 s9, s11
	s_cselect_b32 s9, s14, s21
	s_delay_alu instid0(SALU_CYCLE_1)
	s_cmp_lg_u32 s9, 0
	s_cselect_b32 s9, s28, s26
	s_cselect_b32 s14, s29, s27
	s_cmp_lg_u32 s7, 0
	s_sub_co_ci_u32 s7, s15, s25
	s_wait_alu 0xfffe
	s_cmp_ge_u32 s7, s11
	s_cselect_b32 s15, -1, 0
	s_cmp_ge_u32 s3, s10
	s_cselect_b32 s3, -1, 0
	s_cmp_eq_u32 s7, s11
	s_cselect_b32 s3, s3, s15
	s_delay_alu instid0(SALU_CYCLE_1) | instskip(SKIP_3) | instid1(SALU_CYCLE_1)
	s_cmp_lg_u32 s3, 0
	s_cselect_b32 s11, s14, s23
	s_cselect_b32 s10, s9, s22
	s_xor_b64 s[12:13], s[12:13], 0
	s_xor_b64 s[10:11], s[10:11], s[12:13]
	s_delay_alu instid0(SALU_CYCLE_1)
	s_sub_nc_u64 s[10:11], s[10:11], s[12:13]
	s_load_b96 s[12:14], s[0:1], 0x44
	s_and_not1_b32 vcc_lo, exec_lo, s8
	s_cbranch_vccnz .LBB39_6
.LBB39_5:
	v_cvt_f32_u32_e32 v1, s16
	s_sub_co_i32 s7, 0, s16
	s_delay_alu instid0(VALU_DEP_1) | instskip(NEXT) | instid1(TRANS32_DEP_1)
	v_rcp_iflag_f32_e32 v1, v1
	v_mul_f32_e32 v1, 0x4f7ffffe, v1
	s_delay_alu instid0(VALU_DEP_1) | instskip(NEXT) | instid1(VALU_DEP_1)
	v_cvt_u32_f32_e32 v1, v1
	v_readfirstlane_b32 s3, v1
	s_wait_alu 0xfffe
	s_mul_i32 s7, s7, s3
	s_wait_alu 0xfffe
	s_mul_hi_u32 s7, s3, s7
	s_wait_alu 0xfffe
	s_add_co_i32 s3, s3, s7
	s_delay_alu instid0(SALU_CYCLE_1) | instskip(NEXT) | instid1(SALU_CYCLE_1)
	s_mul_hi_u32 s3, s2, s3
	s_mul_i32 s7, s3, s16
	s_wait_alu 0xfffe
	s_sub_co_i32 s2, s2, s7
	s_add_co_i32 s7, s3, 1
	s_sub_co_i32 s8, s2, s16
	s_cmp_ge_u32 s2, s16
	s_wait_alu 0xfffe
	s_cselect_b32 s3, s7, s3
	s_cselect_b32 s2, s8, s2
	s_add_co_i32 s7, s3, 1
	s_cmp_ge_u32 s2, s16
	s_wait_alu 0xfffe
	s_cselect_b32 s10, s7, s3
.LBB39_6:
	s_mov_b32 s21, 0
	s_wait_kmcnt 0x0
	s_mov_b32 s22, s12
	s_mov_b32 s23, s21
	s_cmp_eq_u32 s20, s10
	s_mul_u64 s[2:3], s[20:21], s[22:23]
	s_cselect_b32 s7, -1, 0
	s_add_co_i32 s2, s3, s20
	s_mov_b32 s11, s21
	s_lshr_b32 s12, s2, s13
	s_mul_u64 s[2:3], s[10:11], s[22:23]
	s_mul_i32 s2, s12, s14
	s_delay_alu instid0(SALU_CYCLE_1) | instskip(SKIP_2) | instid1(SALU_CYCLE_1)
	s_cmp_eq_u32 s2, s20
	s_cselect_b32 s2, -1, 0
	s_add_co_i32 s3, s3, s10
	s_lshr_b32 s3, s3, s13
	s_delay_alu instid0(SALU_CYCLE_1)
	s_cmp_eq_u32 s12, s3
	s_mul_i32 s3, s3, s14
	s_cselect_b32 s8, -1, 0
	s_cmp_lg_u32 s3, s10
	s_cselect_b32 s3, -1, 0
	s_wait_alu 0xfffe
	s_or_b32 s2, s7, s2
	s_and_b32 s3, s8, s3
	s_delay_alu instid0(SALU_CYCLE_1) | instskip(NEXT) | instid1(SALU_CYCLE_1)
	s_or_b32 s2, s2, s3
	s_and_b32 vcc_lo, exec_lo, s2
	s_cbranch_vccnz .LBB39_24
; %bb.7:
	s_load_b256 s[24:31], s[0:1], 0x20
	s_mov_b32 s3, s21
	s_wait_kmcnt 0x0
	s_mov_b32 s2, s24
	s_delay_alu instid0(SALU_CYCLE_1) | instskip(NEXT) | instid1(SALU_CYCLE_1)
	s_mul_u64 s[2:3], s[20:21], s[2:3]
	s_add_co_i32 s2, s3, s20
	s_delay_alu instid0(SALU_CYCLE_1) | instskip(SKIP_2) | instid1(SALU_CYCLE_1)
	s_lshr_b32 s7, s2, s25
	s_load_b32 s2, s[0:1], 0x40
	s_mul_i32 s3, s7, s26
	s_sub_co_i32 s3, s20, s3
	s_delay_alu instid0(SALU_CYCLE_1) | instskip(NEXT) | instid1(SALU_CYCLE_1)
	s_mul_hi_u32 s8, s3, s27
	s_add_co_i32 s8, s3, s8
	s_delay_alu instid0(SALU_CYCLE_1) | instskip(NEXT) | instid1(SALU_CYCLE_1)
	s_lshr_b32 s8, s8, s28
	s_mul_i32 s9, s8, s29
	s_delay_alu instid0(SALU_CYCLE_1) | instskip(NEXT) | instid1(SALU_CYCLE_1)
	s_sub_co_i32 s9, s3, s9
	s_mul_hi_u32 s3, s9, s30
	s_delay_alu instid0(SALU_CYCLE_1) | instskip(NEXT) | instid1(SALU_CYCLE_1)
	s_add_co_i32 s3, s9, s3
	s_lshr_b32 s24, s3, s31
	s_mov_b32 s3, s21
	s_wait_kmcnt 0x0
	s_mul_i32 s2, s24, s2
	s_lshl_b32 s21, s24, 1
	s_sub_co_i32 s2, s9, s2
	s_delay_alu instid0(SALU_CYCLE_1) | instskip(SKIP_2) | instid1(SALU_CYCLE_1)
	s_mul_u64 s[10:11], s[2:3], s[22:23]
	s_lshr_b32 s3, ttmp7, 16
	s_add_co_i32 s2, s2, s11
	s_lshr_b32 s15, s2, s13
	s_and_b32 s2, ttmp7, 0xffff
	s_lshl_b32 s9, s15, 4
	s_delay_alu instid0(SALU_CYCLE_1) | instskip(NEXT) | instid1(SALU_CYCLE_1)
	s_add_co_i32 s9, s9, s2
	s_cmp_lt_i32 s9, s4
	s_cselect_b32 s9, -1, 0
	s_add_co_i32 s10, s21, s3
	s_delay_alu instid0(SALU_CYCLE_1) | instskip(SKIP_1) | instid1(SALU_CYCLE_1)
	s_cmp_lt_i32 s10, s6
	s_cselect_b32 s10, -1, 0
	s_and_b32 s9, s9, s10
	s_delay_alu instid0(SALU_CYCLE_1)
	s_and_not1_b32 vcc_lo, exec_lo, s9
	s_cbranch_vccnz .LBB39_24
; %bb.8:
	s_mul_i32 s4, s7, s4
	s_mul_i32 s6, s8, s6
	s_add_co_i32 s4, s4, s2
	s_load_b128 s[8:11], s[0:1], 0x0
	s_mul_i32 s4, s4, s5
	s_mul_i32 s1, s5, s15
	s_add_co_i32 s4, s4, s3
	s_lshl_b32 s1, s1, 10
	s_add_co_i32 s0, s4, s6
	s_lshl_b32 s15, s2, 1
	s_add_co_i32 s0, s0, s21
	s_add_co_i32 s15, s15, s3
	s_lshl_b32 s0, s0, 6
	v_cvt_f32_u32_e32 v4, s16
	s_add_co_i32 s1, s1, s0
	s_add_co_i32 s34, ttmp9, -1
	v_or_b32_e32 v1, s1, v0
	s_add_nc_u64 s[0:1], s[16:17], 0
	v_rcp_iflag_f32_e32 v4, v4
	s_wait_alu 0xfffe
	s_xor_b64 s[6:7], s[0:1], 0
	s_lshl_b32 s0, ttmp9, 5
	v_ashrrev_i32_e32 v2, 31, v1
	s_wait_alu 0xfffe
	s_cvt_f32_u32 s1, s6
	s_cvt_f32_u32 s2, s7
	s_add_co_i32 s0, s15, s0
	v_lshl_or_b32 v0, s15, 6, v0
	v_lshlrev_b64_e32 v[1:2], 2, v[1:2]
	s_wait_alu 0xfffe
	s_fmamk_f32 s2, s2, 0x4f800000, s1
	s_ashr_i32 s1, s0, 31
	s_sub_nc_u64 s[30:31], 0, s[6:7]
	s_wait_alu 0xfffe
	s_lshl_b64 s[0:1], s[0:1], 3
	v_s_rcp_f32 s2, s2
	s_wait_kmcnt 0x0
	v_add_co_u32 v1, vcc_lo, s8, v1
	s_delay_alu instid0(VALU_DEP_1)
	v_add_co_ci_u32_e64 v2, null, s9, v2, vcc_lo
	s_wait_alu 0xfffe
	s_add_nc_u64 s[0:1], s[10:11], s[0:1]
	s_mov_b32 s8, 0
	s_load_b64 s[26:27], s[0:1], 0x0
	global_load_b32 v3, v[1:2], off
	s_mul_f32 s2, s2, 0x5f7ffffc
	v_mul_f32_e32 v4, 0x4f7ffffe, v4
	s_lshl_b32 s0, s16, 7
	s_wait_alu 0xfffe
	s_mul_f32 s1, s2, 0x2f800000
	s_wait_alu 0xfffe
	s_delay_alu instid0(SALU_CYCLE_2)
	s_trunc_f32 s3, s1
	s_mov_b32 s1, s8
	s_wait_alu 0xfffe
	s_lshl_b64 s[0:1], s[0:1], 2
	s_fmamk_f32 s2, s3, 0xcf800000, s2
	s_cvt_u32_f32 s29, s3
	s_wait_alu 0xfffe
	s_add_nc_u64 s[24:25], s[10:11], s[0:1]
	s_cvt_u32_f32 s28, s2
	s_wait_kmcnt 0x0
	v_mov_b32_e32 v5, s27
	v_cvt_u32_f32_e32 v4, v4
.LBB39_9:                               ; =>This Inner Loop Header: Depth=1
	s_wait_alu 0xfffe
	s_ashr_i32 s35, s34, 31
	s_mov_b32 s2, -1
	s_wait_alu 0xfffe
	s_mul_u64 s[0:1], s[34:35], s[18:19]
                                        ; implicit-def: $sgpr38_sgpr39
	s_wait_alu 0xfffe
	s_mov_b32 s9, s1
	s_wait_alu 0xfffe
	s_cmp_lg_u64 s[8:9], 0
	s_cbranch_scc0 .LBB39_11
; %bb.10:                               ;   in Loop: Header=BB39_9 Depth=1
	s_mul_u64 s[2:3], s[30:31], s[28:29]
	s_mov_b32 s37, s8
	s_wait_alu 0xfffe
	s_mul_hi_u32 s5, s28, s3
	s_mul_i32 s4, s28, s3
	s_mul_hi_u32 s36, s28, s2
	s_mul_hi_u32 s9, s29, s2
	s_wait_alu 0xfffe
	s_add_nc_u64 s[4:5], s[36:37], s[4:5]
	s_mul_i32 s2, s29, s2
	s_mul_hi_u32 s17, s29, s3
	s_wait_alu 0xfffe
	s_add_co_u32 s2, s4, s2
	s_add_co_ci_u32 s2, s5, s9
	s_add_co_ci_u32 s5, s17, 0
	s_mul_i32 s4, s29, s3
	s_mov_b32 s3, s8
	s_mov_b32 s39, s8
	s_wait_alu 0xfffe
	s_add_nc_u64 s[2:3], s[2:3], s[4:5]
	s_wait_alu 0xfffe
	s_add_co_u32 s2, s28, s2
	s_cselect_b32 s4, -1, 0
	s_wait_alu 0xfffe
	s_cmp_lg_u32 s4, 0
	s_add_co_ci_u32 s3, s29, s3
	s_wait_alu 0xfffe
	s_mul_u64 s[4:5], s[30:31], s[2:3]
	s_wait_alu 0xfffe
	s_mul_hi_u32 s37, s2, s5
	s_mul_i32 s36, s2, s5
	s_mul_hi_u32 s38, s2, s4
	s_mul_hi_u32 s9, s3, s4
	s_mul_i32 s4, s3, s4
	s_wait_alu 0xfffe
	s_add_nc_u64 s[36:37], s[38:39], s[36:37]
	s_mul_hi_u32 s17, s3, s5
	s_wait_alu 0xfffe
	s_add_co_u32 s4, s36, s4
	s_add_co_ci_u32 s4, s37, s9
	s_add_co_ci_u32 s37, s17, 0
	s_mul_i32 s36, s3, s5
	s_mov_b32 s5, s8
	s_wait_alu 0xfffe
	s_add_nc_u64 s[4:5], s[4:5], s[36:37]
	s_mov_b32 s37, s8
	s_wait_alu 0xfffe
	s_add_co_u32 s9, s2, s4
	s_cselect_b32 s2, -1, 0
	s_wait_alu 0xfffe
	s_cmp_lg_u32 s2, 0
	s_add_co_ci_u32 s17, s3, s5
	s_ashr_i32 s2, s1, 31
	s_wait_alu 0xfffe
	s_mov_b32 s3, s2
	s_wait_alu 0xfffe
	s_add_nc_u64 s[4:5], s[0:1], s[2:3]
	s_wait_alu 0xfffe
	s_xor_b64 s[4:5], s[4:5], s[2:3]
	s_wait_alu 0xfffe
	s_mul_hi_u32 s39, s4, s17
	s_mul_i32 s38, s4, s17
	s_mul_hi_u32 s36, s4, s9
	s_mul_i32 s21, s5, s9
	s_wait_alu 0xfffe
	s_add_nc_u64 s[36:37], s[36:37], s[38:39]
	s_mul_hi_u32 s9, s5, s9
	s_mul_hi_u32 s1, s5, s17
	s_wait_alu 0xfffe
	s_add_co_u32 s21, s36, s21
	s_add_co_ci_u32 s36, s37, s9
	s_add_co_ci_u32 s39, s1, 0
	s_mul_i32 s38, s5, s17
	s_mov_b32 s37, s8
	s_wait_alu 0xfffe
	s_add_nc_u64 s[36:37], s[36:37], s[38:39]
	s_wait_alu 0xfffe
	s_mul_u64 s[38:39], s[6:7], s[36:37]
	s_add_nc_u64 s[40:41], s[36:37], 1
	s_sub_co_u32 s1, s4, s38
	s_cselect_b32 s4, -1, 0
	s_sub_co_i32 s9, s5, s39
	s_wait_alu 0xfffe
	s_cmp_lg_u32 s4, 0
	s_add_nc_u64 s[42:43], s[36:37], 2
	s_sub_co_ci_u32 s9, s9, s7
	s_sub_co_u32 s17, s1, s6
	s_cselect_b32 s21, -1, 0
	s_delay_alu instid0(SALU_CYCLE_1)
	s_cmp_lg_u32 s21, 0
	s_wait_alu 0xfffe
	s_sub_co_ci_u32 s9, s9, 0
	s_wait_alu 0xfffe
	s_cmp_ge_u32 s9, s7
	s_cselect_b32 s21, -1, 0
	s_cmp_ge_u32 s17, s6
	s_cselect_b32 s17, -1, 0
	s_cmp_eq_u32 s9, s7
	s_wait_alu 0xfffe
	s_cselect_b32 s9, s17, s21
	s_wait_alu 0xfffe
	s_cmp_lg_u32 s9, 0
	s_cselect_b32 s9, s42, s40
	s_cselect_b32 s17, s43, s41
	s_cmp_lg_u32 s4, 0
	s_sub_co_ci_u32 s4, s5, s39
	s_wait_alu 0xfffe
	s_cmp_ge_u32 s4, s7
	s_cselect_b32 s5, -1, 0
	s_cmp_ge_u32 s1, s6
	s_cselect_b32 s1, -1, 0
	s_cmp_eq_u32 s4, s7
	s_wait_alu 0xfffe
	s_cselect_b32 s1, s1, s5
	s_wait_alu 0xfffe
	s_cmp_lg_u32 s1, 0
	s_cselect_b32 s5, s17, s37
	s_cselect_b32 s4, s9, s36
	s_xor_b64 s[2:3], s[2:3], 0
	s_wait_alu 0xfffe
	s_xor_b64 s[4:5], s[4:5], s[2:3]
	s_wait_alu 0xfffe
	s_sub_nc_u64 s[38:39], s[4:5], s[2:3]
	s_mov_b32 s2, 0
.LBB39_11:                              ;   in Loop: Header=BB39_9 Depth=1
	s_wait_alu 0xfffe
	s_and_not1_b32 vcc_lo, exec_lo, s2
	s_wait_alu 0xfffe
	s_cbranch_vccnz .LBB39_13
; %bb.12:                               ;   in Loop: Header=BB39_9 Depth=1
	v_readfirstlane_b32 s1, v4
	s_sub_co_i32 s2, 0, s16
	s_wait_alu 0xfffe
	s_mul_i32 s2, s2, s1
	s_wait_alu 0xfffe
	s_mul_hi_u32 s2, s1, s2
	s_wait_alu 0xfffe
	s_add_co_i32 s1, s1, s2
	s_wait_alu 0xfffe
	s_mul_hi_u32 s1, s0, s1
	s_wait_alu 0xfffe
	s_mul_i32 s2, s1, s16
	s_wait_alu 0xfffe
	s_sub_co_i32 s0, s0, s2
	s_add_co_i32 s2, s1, 1
	s_wait_alu 0xfffe
	s_sub_co_i32 s3, s0, s16
	s_cmp_ge_u32 s0, s16
	s_cselect_b32 s1, s2, s1
	s_wait_alu 0xfffe
	s_cselect_b32 s0, s3, s0
	s_add_co_i32 s2, s1, 1
	s_wait_alu 0xfffe
	s_cmp_ge_u32 s0, s16
	s_cselect_b32 s38, s2, s1
.LBB39_13:                              ;   in Loop: Header=BB39_9 Depth=1
	v_readfirstlane_b32 s9, v0
	s_cmp_lg_u32 s20, s38
	s_mov_b32 s0, -1
                                        ; implicit-def: $sgpr21
                                        ; implicit-def: $vgpr6
                                        ; implicit-def: $vgpr7
                                        ; implicit-def: $sgpr17
                                        ; implicit-def: $sgpr27
	s_cbranch_scc1 .LBB39_16
; %bb.14:                               ;   in Loop: Header=BB39_9 Depth=1
	s_wait_alu 0xfffe
	s_and_not1_b32 vcc_lo, exec_lo, s0
	s_wait_alu 0xfffe
	s_cbranch_vccz .LBB39_19
.LBB39_15:                              ;   in Loop: Header=BB39_9 Depth=1
	s_and_not1_b32 vcc_lo, exec_lo, s21
	s_wait_alu 0xfffe
	s_cbranch_vccnz .LBB39_20
	s_branch .LBB39_23
.LBB39_16:                              ;   in Loop: Header=BB39_9 Depth=1
	s_add_co_i32 s0, s34, s16
	s_mov_b32 s1, s8
	s_wait_alu 0xfffe
	s_lshl_b32 s0, s0, 5
	v_max_num_f32_e64 v6, s26, s26
	s_wait_alu 0xfffe
	s_add_co_i32 s0, s0, s15
	s_mov_b32 s39, s8
	s_wait_alu 0xfffe
	s_lshl_b64 s[0:1], s[0:1], 3
	s_mul_u64 s[40:41], s[38:39], s[22:23]
	s_wait_alu 0xfffe
	s_add_nc_u64 s[0:1], s[10:11], s[0:1]
	s_mov_b32 s27, s20
	s_load_b64 s[36:37], s[0:1], 0x0
	v_readfirstlane_b32 s0, v6
	s_wait_kmcnt 0x0
	v_max_num_f32_e64 v7, s36, s36
	s_delay_alu instid0(VALU_DEP_1) | instskip(SKIP_2) | instid1(SALU_CYCLE_2)
	v_readfirstlane_b32 s1, v7
	s_max_num_f32 s9, s0, s1
	s_wait_alu 0xfffe
	s_sub_f32 s33, s26, s9
	s_sub_f32 s35, s36, s9
	s_wait_alu 0xfffe
	s_delay_alu instid0(SALU_CYCLE_1)
	s_cmp_nlt_f32 s33, 0xc2ce8ed0
	s_cselect_b32 s0, -1, 0
	s_cmp_ngt_f32 s33, 0x42b17218
	s_cselect_b32 s1, -1, 0
	s_cmp_ge_f32 s33, 0xc1a00000
	s_cselect_b32 s2, -1, 0
	s_cmp_nlt_f32 s35, 0xc2ce8ed0
	s_cselect_b32 s3, -1, 0
	s_cmp_ngt_f32 s35, 0x42b17218
	s_cselect_b32 s4, -1, 0
	s_cmp_ge_f32 s35, 0xc1a00000
	s_cselect_b32 s5, -1, 0
	s_add_co_i32 s17, s41, s38
	s_wait_alu 0xfffe
	s_lshr_b32 s17, s17, s13
	s_wait_alu 0xfffe
	s_mul_i32 s21, s17, s14
	s_delay_alu instid0(SALU_CYCLE_1)
	s_cmp_eq_u32 s21, s38
	s_cselect_b32 s21, -1, 0
	s_cmp_lt_u32 s17, s12
	s_cselect_b32 s17, -1, 0
	s_wait_alu 0xfffe
	s_or_b32 s17, s17, s21
	s_mov_b32 s21, -1
	s_wait_alu 0xfffe
	s_and_b32 vcc_lo, exec_lo, s17
	s_mov_b32 s17, s34
	s_wait_alu 0xfffe
	s_cbranch_vccnz .LBB39_18
; %bb.17:                               ;   in Loop: Header=BB39_9 Depth=1
	s_add_co_i32 s17, s34, -1
	s_mov_b32 s21, 0
	s_mov_b32 s27, s38
.LBB39_18:                              ;   in Loop: Header=BB39_9 Depth=1
	v_lshl_add_u32 v6, s34, 11, v0
	s_mul_f32 s36, s35, 0x3fb8aa3b
	s_mul_f32 s38, s33, 0x3fb8aa3b
	s_wait_alu 0xfffe
	s_delay_alu instid0(SALU_CYCLE_1)
	s_xor_b32 s39, s36, 0x80000000
	v_ashrrev_i32_e32 v7, 31, v6
	s_rndne_f32 s40, s36
	s_fmamk_f32 s39, s35, 0x3fb8aa3b, s39
	s_xor_b32 s41, s38, 0x80000000
	s_rndne_f32 s42, s38
	v_lshlrev_b64_e32 v[6:7], 2, v[6:7]
	s_sub_f32 s36, s36, s40
	s_fmamk_f32 s35, s35, 0x32a5705f, s39
	s_fmamk_f32 s39, s33, 0x3fb8aa3b, s41
	s_sub_f32 s38, s38, s42
	s_delay_alu instid0(VALU_DEP_1)
	v_add_co_u32 v6, vcc_lo, s24, v6
	s_wait_alu 0xfffd
	v_add_co_ci_u32_e64 v7, null, s25, v7, vcc_lo
	s_wait_alu 0xfffe
	s_add_f32 s35, s36, s35
	s_fmamk_f32 s33, s33, 0x32a5705f, s39
	s_cvt_i32_f32 s36, s40
	global_load_b32 v6, v[6:7], off
	s_wait_alu 0xfffe
	v_s_exp_f32 s35, s35
	s_add_f32 s33, s38, s33
	s_wait_alu 0xfffe
	s_delay_alu instid0(SALU_CYCLE_2) | instskip(NEXT) | instid1(TRANS32_DEP_2)
	v_s_exp_f32 s33, s33
	v_ldexp_f32 v7, s35, s36
	s_cvt_i32_f32 s35, s42
	s_wait_alu 0xf1fe
	s_delay_alu instid0(TRANS32_DEP_1) | instid1(SALU_CYCLE_2)
	v_ldexp_f32 v8, s33, s35
	s_delay_alu instid0(VALU_DEP_2) | instskip(NEXT) | instid1(VALU_DEP_2)
	v_cndmask_b32_e64 v7, 0, v7, s3
	v_cndmask_b32_e64 v8, 0, v8, s0
	s_delay_alu instid0(VALU_DEP_2) | instskip(NEXT) | instid1(VALU_DEP_2)
	v_cndmask_b32_e64 v7, 0x7f800000, v7, s4
	v_cndmask_b32_e64 v8, 0x7f800000, v8, s1
	;; [unrolled: 3-line block ×3, first 2 shown]
	s_wait_loadcnt 0x0
	s_delay_alu instid0(VALU_DEP_2) | instskip(SKIP_1) | instid1(VALU_DEP_1)
	v_mul_f32_e32 v6, v6, v7
	v_mul_f32_e32 v7, s37, v7
	v_fmac_f32_e32 v7, v5, v8
	s_delay_alu instid0(VALU_DEP_3)
	v_fmac_f32_e32 v6, v3, v8
	s_cbranch_execnz .LBB39_15
.LBB39_19:                              ;   in Loop: Header=BB39_9 Depth=1
	s_wait_loadcnt 0x0
	v_dual_mov_b32 v7, v5 :: v_dual_mov_b32 v6, v3
	s_add_co_i32 s17, s34, -1
	s_mov_b32 s27, s20
	s_mov_b32 s9, s26
	s_cbranch_execz .LBB39_23
.LBB39_20:                              ;   in Loop: Header=BB39_9 Depth=1
	v_mov_b32_e32 v5, v7
	s_wait_loadcnt 0x0
	v_mov_b32_e32 v3, v6
	s_wait_alu 0xfffe
	s_mov_b32 s20, s27
	s_mov_b32 s34, s17
	;; [unrolled: 1-line block ×3, first 2 shown]
	s_branch .LBB39_9
.LBB39_21:
                                        ; implicit-def: $sgpr20_sgpr21
	s_branch .LBB39_2
.LBB39_22:
                                        ; implicit-def: $sgpr10_sgpr11
	s_load_b96 s[12:14], s[0:1], 0x44
	s_branch .LBB39_5
.LBB39_23:
	v_div_scale_f32 v0, null, v7, v7, v6
	s_wait_loadcnt 0x0
	s_delay_alu instid0(VALU_DEP_1) | instskip(NEXT) | instid1(TRANS32_DEP_1)
	v_rcp_f32_e32 v3, v0
	v_fma_f32 v4, -v0, v3, 1.0
	s_delay_alu instid0(VALU_DEP_1) | instskip(SKIP_1) | instid1(VALU_DEP_1)
	v_fmac_f32_e32 v3, v4, v3
	v_div_scale_f32 v4, vcc_lo, v6, v7, v6
	v_mul_f32_e32 v5, v4, v3
	s_delay_alu instid0(VALU_DEP_1) | instskip(NEXT) | instid1(VALU_DEP_1)
	v_fma_f32 v8, -v0, v5, v4
	v_fmac_f32_e32 v5, v8, v3
	s_delay_alu instid0(VALU_DEP_1) | instskip(SKIP_1) | instid1(VALU_DEP_1)
	v_fma_f32 v0, -v0, v5, v4
	s_wait_alu 0xfffd
	v_div_fmas_f32 v0, v0, v3, v5
	s_delay_alu instid0(VALU_DEP_1)
	v_div_fixup_f32 v0, v0, v7, v6
	global_store_b32 v[1:2], v0, off
.LBB39_24:
	s_endpgm
	.section	.rodata,"a",@progbits
	.p2align	6, 0x0
	.amdhsa_kernel _ZL33flash_attn_stream_k_fixup_generalILi64ELi16ELi2EEvPfPK15HIP_vector_typeIfLj2EEiiiiS1_IjLj3EES5_S5_S5_
		.amdhsa_group_segment_fixed_size 0
		.amdhsa_private_segment_fixed_size 0
		.amdhsa_kernarg_size 336
		.amdhsa_user_sgpr_count 2
		.amdhsa_user_sgpr_dispatch_ptr 0
		.amdhsa_user_sgpr_queue_ptr 0
		.amdhsa_user_sgpr_kernarg_segment_ptr 1
		.amdhsa_user_sgpr_dispatch_id 0
		.amdhsa_user_sgpr_private_segment_size 0
		.amdhsa_wavefront_size32 1
		.amdhsa_uses_dynamic_stack 0
		.amdhsa_enable_private_segment 0
		.amdhsa_system_sgpr_workgroup_id_x 1
		.amdhsa_system_sgpr_workgroup_id_y 1
		.amdhsa_system_sgpr_workgroup_id_z 1
		.amdhsa_system_sgpr_workgroup_info 0
		.amdhsa_system_vgpr_workitem_id 0
		.amdhsa_next_free_vgpr 9
		.amdhsa_next_free_sgpr 44
		.amdhsa_reserve_vcc 1
		.amdhsa_float_round_mode_32 0
		.amdhsa_float_round_mode_16_64 0
		.amdhsa_float_denorm_mode_32 3
		.amdhsa_float_denorm_mode_16_64 3
		.amdhsa_fp16_overflow 0
		.amdhsa_workgroup_processor_mode 1
		.amdhsa_memory_ordered 1
		.amdhsa_forward_progress 1
		.amdhsa_inst_pref_size 28
		.amdhsa_round_robin_scheduling 0
		.amdhsa_exception_fp_ieee_invalid_op 0
		.amdhsa_exception_fp_denorm_src 0
		.amdhsa_exception_fp_ieee_div_zero 0
		.amdhsa_exception_fp_ieee_overflow 0
		.amdhsa_exception_fp_ieee_underflow 0
		.amdhsa_exception_fp_ieee_inexact 0
		.amdhsa_exception_int_div_zero 0
	.end_amdhsa_kernel
	.section	.text._ZL33flash_attn_stream_k_fixup_generalILi64ELi16ELi2EEvPfPK15HIP_vector_typeIfLj2EEiiiiS1_IjLj3EES5_S5_S5_,"axG",@progbits,_ZL33flash_attn_stream_k_fixup_generalILi64ELi16ELi2EEvPfPK15HIP_vector_typeIfLj2EEiiiiS1_IjLj3EES5_S5_S5_,comdat
.Lfunc_end39:
	.size	_ZL33flash_attn_stream_k_fixup_generalILi64ELi16ELi2EEvPfPK15HIP_vector_typeIfLj2EEiiiiS1_IjLj3EES5_S5_S5_, .Lfunc_end39-_ZL33flash_attn_stream_k_fixup_generalILi64ELi16ELi2EEvPfPK15HIP_vector_typeIfLj2EEiiiiS1_IjLj3EES5_S5_S5_
                                        ; -- End function
	.set _ZL33flash_attn_stream_k_fixup_generalILi64ELi16ELi2EEvPfPK15HIP_vector_typeIfLj2EEiiiiS1_IjLj3EES5_S5_S5_.num_vgpr, 9
	.set _ZL33flash_attn_stream_k_fixup_generalILi64ELi16ELi2EEvPfPK15HIP_vector_typeIfLj2EEiiiiS1_IjLj3EES5_S5_S5_.num_agpr, 0
	.set _ZL33flash_attn_stream_k_fixup_generalILi64ELi16ELi2EEvPfPK15HIP_vector_typeIfLj2EEiiiiS1_IjLj3EES5_S5_S5_.numbered_sgpr, 44
	.set _ZL33flash_attn_stream_k_fixup_generalILi64ELi16ELi2EEvPfPK15HIP_vector_typeIfLj2EEiiiiS1_IjLj3EES5_S5_S5_.num_named_barrier, 0
	.set _ZL33flash_attn_stream_k_fixup_generalILi64ELi16ELi2EEvPfPK15HIP_vector_typeIfLj2EEiiiiS1_IjLj3EES5_S5_S5_.private_seg_size, 0
	.set _ZL33flash_attn_stream_k_fixup_generalILi64ELi16ELi2EEvPfPK15HIP_vector_typeIfLj2EEiiiiS1_IjLj3EES5_S5_S5_.uses_vcc, 1
	.set _ZL33flash_attn_stream_k_fixup_generalILi64ELi16ELi2EEvPfPK15HIP_vector_typeIfLj2EEiiiiS1_IjLj3EES5_S5_S5_.uses_flat_scratch, 0
	.set _ZL33flash_attn_stream_k_fixup_generalILi64ELi16ELi2EEvPfPK15HIP_vector_typeIfLj2EEiiiiS1_IjLj3EES5_S5_S5_.has_dyn_sized_stack, 0
	.set _ZL33flash_attn_stream_k_fixup_generalILi64ELi16ELi2EEvPfPK15HIP_vector_typeIfLj2EEiiiiS1_IjLj3EES5_S5_S5_.has_recursion, 0
	.set _ZL33flash_attn_stream_k_fixup_generalILi64ELi16ELi2EEvPfPK15HIP_vector_typeIfLj2EEiiiiS1_IjLj3EES5_S5_S5_.has_indirect_call, 0
	.section	.AMDGPU.csdata,"",@progbits
; Kernel info:
; codeLenInByte = 3548
; TotalNumSgprs: 46
; NumVgprs: 9
; ScratchSize: 0
; MemoryBound: 0
; FloatMode: 240
; IeeeMode: 1
; LDSByteSize: 0 bytes/workgroup (compile time only)
; SGPRBlocks: 0
; VGPRBlocks: 1
; NumSGPRsForWavesPerEU: 46
; NumVGPRsForWavesPerEU: 9
; Occupancy: 16
; WaveLimiterHint : 0
; COMPUTE_PGM_RSRC2:SCRATCH_EN: 0
; COMPUTE_PGM_RSRC2:USER_SGPR: 2
; COMPUTE_PGM_RSRC2:TRAP_HANDLER: 0
; COMPUTE_PGM_RSRC2:TGID_X_EN: 1
; COMPUTE_PGM_RSRC2:TGID_Y_EN: 1
; COMPUTE_PGM_RSRC2:TGID_Z_EN: 1
; COMPUTE_PGM_RSRC2:TIDIG_COMP_CNT: 0
	.section	.text._ZL15flash_attn_tileILi64ELi64ELi8ELi2ELb0EEvPKcS1_S1_S1_S1_PKiPfP15HIP_vector_typeIfLj2EEffffjfiS5_IjLj3EEiiiiiiiiiiiliiliiiiil,"axG",@progbits,_ZL15flash_attn_tileILi64ELi64ELi8ELi2ELb0EEvPKcS1_S1_S1_S1_PKiPfP15HIP_vector_typeIfLj2EEffffjfiS5_IjLj3EEiiiiiiiiiiiliiliiiiil,comdat
	.globl	_ZL15flash_attn_tileILi64ELi64ELi8ELi2ELb0EEvPKcS1_S1_S1_S1_PKiPfP15HIP_vector_typeIfLj2EEffffjfiS5_IjLj3EEiiiiiiiiiiiliiliiiiil ; -- Begin function _ZL15flash_attn_tileILi64ELi64ELi8ELi2ELb0EEvPKcS1_S1_S1_S1_PKiPfP15HIP_vector_typeIfLj2EEffffjfiS5_IjLj3EEiiiiiiiiiiiliiliiiiil
	.p2align	8
	.type	_ZL15flash_attn_tileILi64ELi64ELi8ELi2ELb0EEvPKcS1_S1_S1_S1_PKiPfP15HIP_vector_typeIfLj2EEffffjfiS5_IjLj3EEiiiiiiiiiiiliiliiiiil,@function
_ZL15flash_attn_tileILi64ELi64ELi8ELi2ELb0EEvPKcS1_S1_S1_S1_PKiPfP15HIP_vector_typeIfLj2EEffffjfiS5_IjLj3EEiiiiiiiiiiiliiliiiiil: ; @_ZL15flash_attn_tileILi64ELi64ELi8ELi2ELb0EEvPKcS1_S1_S1_S1_PKiPfP15HIP_vector_typeIfLj2EEffffjfiS5_IjLj3EEiiiiiiiiiiiliiliiiiil
; %bb.0:
	s_clause 0x1
	s_load_b128 s[20:23], s[0:1], 0x5c
	s_load_b64 s[30:31], s[0:1], 0x80
	s_lshr_b32 s5, ttmp7, 16
	s_load_b64 s[38:39], s[0:1], 0xb8
	s_mov_b32 s37, 0
	s_mov_b64 s[34:35], 0
	s_wait_kmcnt 0x0
	s_lshr_b32 s2, s23, 31
	s_delay_alu instid0(SALU_CYCLE_1) | instskip(NEXT) | instid1(SALU_CYCLE_1)
	s_add_co_i32 s2, s23, s2
	s_ashr_i32 s2, s2, 1
	s_delay_alu instid0(SALU_CYCLE_1) | instskip(SKIP_1) | instid1(SALU_CYCLE_2)
	s_cvt_f32_u32 s3, s2
	s_sub_co_i32 s4, 0, s2
	v_rcp_iflag_f32_e32 v1, s3
	s_delay_alu instid0(TRANS32_DEP_1) | instskip(SKIP_2) | instid1(SALU_CYCLE_2)
	v_readfirstlane_b32 s3, v1
	s_mul_f32 s3, s3, 0x4f7ffffe
	s_wait_alu 0xfffe
	s_cvt_u32_f32 s3, s3
	s_wait_alu 0xfffe
	s_delay_alu instid0(SALU_CYCLE_2) | instskip(NEXT) | instid1(SALU_CYCLE_1)
	s_mul_i32 s4, s4, s3
	s_mul_hi_u32 s4, s3, s4
	s_delay_alu instid0(SALU_CYCLE_1)
	s_add_co_i32 s3, s3, s4
	s_wait_alu 0xfffe
	s_mul_hi_u32 s3, s5, s3
	s_wait_alu 0xfffe
	s_mul_i32 s4, s3, s2
	s_add_co_i32 s6, s3, 1
	s_sub_co_i32 s4, s5, s4
	s_delay_alu instid0(SALU_CYCLE_1)
	s_sub_co_i32 s7, s4, s2
	s_cmp_ge_u32 s4, s2
	s_cselect_b32 s3, s6, s3
	s_cselect_b32 s4, s7, s4
	s_wait_alu 0xfffe
	s_add_co_i32 s6, s3, 1
	s_cmp_ge_u32 s4, s2
	s_cselect_b32 s28, s6, s3
	s_abs_i32 s3, s31
	s_abs_i32 s7, s23
	s_wait_alu 0xfffe
	s_cvt_f32_u32 s2, s3
	s_sub_co_i32 s4, 0, s3
	s_lshl_b32 s5, s5, 1
	s_mul_i32 s6, s28, s23
	s_wait_alu 0xfffe
	v_rcp_iflag_f32_e32 v1, s2
	s_delay_alu instid0(TRANS32_DEP_1) | instskip(SKIP_2) | instid1(SALU_CYCLE_2)
	v_readfirstlane_b32 s2, v1
	s_mul_f32 s2, s2, 0x4f7ffffe
	s_wait_alu 0xfffe
	s_cvt_u32_f32 s2, s2
	s_wait_alu 0xfffe
	s_delay_alu instid0(SALU_CYCLE_2) | instskip(NEXT) | instid1(SALU_CYCLE_1)
	s_mul_i32 s4, s4, s2
	s_mul_hi_u32 s4, s2, s4
	s_delay_alu instid0(SALU_CYCLE_1)
	s_add_co_i32 s4, s2, s4
	s_sub_co_i32 s2, s5, s6
	s_mul_hi_u32 s4, s7, s4
	s_xor_b32 s5, s23, s31
	s_mul_i32 s6, s4, s3
	s_ashr_i32 s24, s5, 31
	s_sub_co_i32 s5, s7, s6
	s_add_co_i32 s6, s4, 1
	s_sub_co_i32 s7, s5, s3
	s_cmp_ge_u32 s5, s3
	s_cselect_b32 s4, s6, s4
	s_cselect_b32 s5, s7, s5
	s_add_co_i32 s6, s4, 1
	s_cmp_ge_u32 s5, s3
	s_cselect_b32 s3, s6, s4
	s_load_b512 s[4:19], s[0:1], 0x0
	s_xor_b32 s3, s3, s24
	s_wait_alu 0xfffe
	s_sub_co_i32 s33, s3, s24
	s_delay_alu instid0(SALU_CYCLE_1) | instskip(SKIP_2) | instid1(SALU_CYCLE_3)
	s_abs_i32 s3, s33
	s_wait_alu 0xfffe
	s_cvt_f32_u32 s24, s3
	v_rcp_iflag_f32_e32 v1, s24
	s_wait_kmcnt 0x0
	s_cmp_eq_u64 s[10:11], 0
	s_delay_alu instid0(TRANS32_DEP_1)
	v_readfirstlane_b32 s24, v1
	s_cbranch_scc1 .LBB40_2
; %bb.1:
	s_abs_i32 s25, s38
	s_wait_alu 0xfffe
	s_cvt_f32_u32 s26, s25
	s_delay_alu instid0(SALU_CYCLE_3) | instskip(NEXT) | instid1(TRANS32_DEP_1)
	v_rcp_iflag_f32_e32 v1, s26
	v_readfirstlane_b32 s26, v1
	s_mul_f32 s26, s26, 0x4f7ffffe
	s_wait_alu 0xfffe
	s_delay_alu instid0(SALU_CYCLE_2) | instskip(SKIP_2) | instid1(SALU_CYCLE_1)
	s_cvt_u32_f32 s29, s26
	s_sub_co_i32 s26, 0, s25
	s_wait_alu 0xfffe
	s_mul_i32 s26, s26, s29
	s_wait_alu 0xfffe
	s_mul_hi_u32 s31, s29, s26
	s_load_b64 s[26:27], s[0:1], 0xc8
	s_add_co_i32 s29, s29, s31
	s_delay_alu instid0(SALU_CYCLE_1) | instskip(NEXT) | instid1(SALU_CYCLE_1)
	s_mul_hi_u32 s29, s28, s29
	s_mul_i32 s29, s29, s25
	s_delay_alu instid0(SALU_CYCLE_1) | instskip(NEXT) | instid1(SALU_CYCLE_1)
	s_sub_co_i32 s29, s28, s29
	s_sub_co_i32 s31, s29, s25
	s_cmp_ge_u32 s29, s25
	s_cselect_b32 s29, s31, s29
	s_delay_alu instid0(SALU_CYCLE_1) | instskip(SKIP_2) | instid1(SALU_CYCLE_1)
	s_sub_co_i32 s31, s29, s25
	s_cmp_ge_u32 s29, s25
	s_cselect_b32 s34, s31, s29
	s_ashr_i32 s35, s34, 31
	s_wait_kmcnt 0x0
	s_mul_u64 s[26:27], s[26:27], s[34:35]
	s_wait_alu 0xfffe
	s_add_nc_u64 s[34:35], s[10:11], s[26:27]
.LBB40_2:
	v_bfe_u32 v1, v0, 10, 10
	s_lshl_b32 s31, ttmp9, 3
	s_load_b96 s[40:42], s[0:1], 0x70
	v_and_b32_e32 v58, 0x3ff, v0
	s_delay_alu instid0(VALU_DEP_2) | instskip(SKIP_1) | instid1(VALU_DEP_2)
	v_lshlrev_b32_e32 v56, 1, v1
	v_lshlrev_b32_e32 v4, 2, v1
	v_add_nc_u32_e32 v57, s31, v56
	s_delay_alu instid0(VALU_DEP_2) | instskip(SKIP_1) | instid1(VALU_DEP_3)
	v_or_b32_e32 v13, 2, v4
	v_or_b32_e32 v14, 3, v4
	v_mul_hi_u32 v2, v57, s20
	s_delay_alu instid0(VALU_DEP_3) | instskip(NEXT) | instid1(VALU_DEP_3)
	v_lshrrev_b32_e32 v54, 1, v13
	v_lshrrev_b32_e32 v52, 1, v14
	s_delay_alu instid0(VALU_DEP_2) | instskip(NEXT) | instid1(VALU_DEP_2)
	v_add_nc_u32_e32 v55, s31, v54
	v_add_nc_u32_e32 v53, s31, v52
	;; [unrolled: 1-line block ×3, first 2 shown]
	s_wait_kmcnt 0x0
	s_ashr_i32 s11, s40, 31
	s_mov_b32 s10, s40
	v_mul_hi_u32 v3, v55, s20
	v_mul_hi_u32 v5, v53, s20
	v_lshrrev_b32_e32 v2, s21, v2
	s_lshr_b64 s[26:27], s[10:11], 2
	s_lshr_b32 s25, s11, 2
	s_mul_i32 s10, s28, s42
	s_ashr_i32 s43, s41, 31
	v_mul_lo_u32 v2, v2, s22
	v_add_nc_u32_e32 v3, v55, v3
	v_add_nc_u32_e32 v5, v53, v5
	s_ashr_i32 s11, s10, 31
	s_and_b32 s42, s41, -4
	s_add_nc_u64 s[4:5], s[4:5], s[10:11]
	v_lshrrev_b32_e32 v6, s21, v3
	v_lshrrev_b32_e32 v5, s21, v5
	v_sub_nc_u32_e32 v3, v57, v2
	s_delay_alu instid0(VALU_DEP_3) | instskip(NEXT) | instid1(VALU_DEP_3)
	v_mul_lo_u32 v2, v6, s22
	v_mul_lo_u32 v7, v5, s22
	s_wait_alu 0xfffe
	s_delay_alu instid0(VALU_DEP_3) | instskip(NEXT) | instid1(VALU_DEP_3)
	v_mad_co_u64_u32 v[5:6], null, s26, v3, 0
	v_sub_nc_u32_e32 v15, v55, v2
	s_delay_alu instid0(VALU_DEP_3) | instskip(NEXT) | instid1(VALU_DEP_3)
	v_sub_nc_u32_e32 v16, v53, v7
	v_mov_b32_e32 v0, v6
	s_delay_alu instid0(VALU_DEP_3) | instskip(NEXT) | instid1(VALU_DEP_3)
	v_mad_co_u64_u32 v[7:8], null, s26, v15, 0
	v_mad_co_u64_u32 v[9:10], null, s26, v16, 0
	s_delay_alu instid0(VALU_DEP_3)
	v_mad_co_u64_u32 v[11:12], null, s25, v3, v[0:1]
	s_mul_i32 s26, s2, s41
	v_mov_b32_e32 v0, v8
	s_wait_alu 0xfffe
	s_ashr_i32 s27, s26, 31
	v_mov_b32_e32 v2, v10
	s_wait_alu 0xfffe
	s_add_nc_u64 s[4:5], s[4:5], s[26:27]
	v_mov_b32_e32 v6, v11
	v_mad_co_u64_u32 v[10:11], null, s25, v15, v[0:1]
	v_mad_co_u64_u32 v[11:12], null, s25, v16, v[2:3]
	s_delay_alu instid0(VALU_DEP_3) | instskip(SKIP_3) | instid1(VALU_DEP_4)
	v_lshlrev_b64_e32 v[5:6], 2, v[5:6]
	v_lshlrev_b32_e32 v2, 3, v58
	s_add_nc_u64 s[10:11], s[4:5], s[42:43]
	s_cmp_eq_u64 s[14:15], 0
	v_mov_b32_e32 v8, v10
	s_delay_alu instid0(VALU_DEP_3)
	v_add_co_u32 v0, vcc_lo, s4, v5
	v_mov_b32_e32 v10, v11
	v_add_co_ci_u32_e64 v11, null, s5, v6, vcc_lo
	v_add_co_u32 v12, vcc_lo, s10, v5
	s_wait_alu 0xfffd
	v_add_co_ci_u32_e64 v15, null, s11, v6, vcc_lo
	v_add_co_u32 v5, vcc_lo, v0, v2
	s_wait_alu 0xfffd
	;; [unrolled: 3-line block ×3, first 2 shown]
	v_add_co_ci_u32_e64 v12, null, 0, v15, vcc_lo
	s_clause 0x1
	global_load_b64 v[5:6], v[5:6], off
	global_load_b64 v[11:12], v[11:12], off
	v_lshlrev_b64_e32 v[7:8], 2, v[7:8]
	v_lshl_add_u32 v15, v58, 2, 0x5800
	s_delay_alu instid0(VALU_DEP_2)
	v_add_co_u32 v0, vcc_lo, s4, v7
	s_load_b32 s4, s[0:1], 0x40
	v_add_co_ci_u32_e64 v8, null, s5, v8, vcc_lo
	v_lshl_add_u32 v13, v13, 7, v15
	v_lshl_add_u32 v14, v14, 7, v15
	s_wait_loadcnt 0x1
	s_wait_kmcnt 0x0
	v_fma_mixlo_f16 v5, s4, v5, 0
	v_fma_mixlo_f16 v6, s4, v6, 0
	s_wait_loadcnt 0x0
	v_fma_mixlo_f16 v12, s4, v12, 0
	v_fma_mixlo_f16 v11, s4, v11, 0
	v_and_b32_e32 v5, 0xffff, v5
	v_lshlrev_b64_e32 v[9:10], 2, v[9:10]
	v_lshlrev_b32_e32 v6, 16, v6
	v_lshlrev_b32_e32 v12, 16, v12
	v_and_b32_e32 v11, 0xffff, v11
	s_delay_alu instid0(VALU_DEP_4)
	v_add_co_u32 v9, vcc_lo, s10, v9
	s_wait_alu 0xfffd
	v_add_co_ci_u32_e64 v10, null, s11, v10, vcc_lo
	v_add_co_u32 v7, vcc_lo, v0, v2
	s_wait_alu 0xfffd
	v_add_co_ci_u32_e64 v8, null, 0, v8, vcc_lo
	;; [unrolled: 3-line block ×3, first 2 shown]
	s_clause 0x1
	global_load_b64 v[7:8], v[7:8], off
	global_load_b64 v[9:10], v[9:10], off
	v_lshlrev_b32_e32 v0, 9, v1
	v_or_b32_e32 v5, v6, v5
	v_or_b32_e32 v6, v12, v11
	s_delay_alu instid0(VALU_DEP_3)
	v_add_nc_u32_e32 v16, v15, v0
	s_wait_loadcnt 0x1
	v_fma_mixlo_f16 v8, s4, v8, 0
	v_fma_mixlo_f16 v7, s4, v7, 0
	s_wait_loadcnt 0x0
	v_fma_mixlo_f16 v10, s4, v10, 0
	v_fma_mixlo_f16 v9, s4, v9, 0
	v_lshlrev_b32_e32 v8, 16, v8
	v_and_b32_e32 v7, 0xffff, v7
	s_delay_alu instid0(VALU_DEP_4) | instskip(NEXT) | instid1(VALU_DEP_4)
	v_lshlrev_b32_e32 v10, 16, v10
	v_and_b32_e32 v9, 0xffff, v9
	s_delay_alu instid0(VALU_DEP_3) | instskip(NEXT) | instid1(VALU_DEP_2)
	v_or_b32_e32 v7, v8, v7
	v_or_b32_e32 v8, v10, v9
	ds_store_2addr_b32 v16, v5, v6 offset1:32
	ds_store_b32 v13, v7
	ds_store_b32 v14, v8
	s_wait_dscnt 0x0
	s_barrier_signal -1
	s_barrier_wait -1
	global_inv scope:SCOPE_SE
	s_cbranch_scc1 .LBB40_4
; %bb.3:
	s_load_b32 s4, s[0:1], 0xd0
	s_mov_b32 s5, 0
	s_wait_kmcnt 0x0
	s_mul_i32 s4, s4, s28
	s_wait_alu 0xfffe
	s_add_co_i32 s4, s4, ttmp9
	s_wait_alu 0xfffe
	s_lshl_b64 s[4:5], s[4:5], 2
	s_wait_alu 0xfffe
	s_add_nc_u64 s[4:5], s[14:15], s[4:5]
	s_load_b32 s30, s[4:5], 0x0
.LBB40_4:
	s_and_b32 s4, ttmp7, 0xffff
	v_mbcnt_lo_u32_b32 v59, -1, 0
	s_wait_alu 0xfffe
	s_lshl_b32 s10, s4, 7
	s_wait_kmcnt 0x0
	s_wait_alu 0xfffe
	s_cmp_lt_i32 s10, s30
	s_cbranch_scc1 .LBB40_7
; %bb.5:
	v_mbcnt_lo_u32_b32 v5, -1, 0
	v_mov_b32_e32 v60, 32
	s_delay_alu instid0(VALU_DEP_2)
	v_xor_b32_e32 v67, 16, v5
	v_xor_b32_e32 v65, 8, v5
	;; [unrolled: 1-line block ×5, first 2 shown]
	s_mov_b32 s29, 0
	s_cbranch_execz .LBB40_8
; %bb.6:
	v_dual_mov_b32 v111, 0 :: v_dual_mov_b32 v72, 0
	v_dual_mov_b32 v3, 0xfeffffff :: v_dual_mov_b32 v2, 0xfeffffff
	;; [unrolled: 1-line block ×5, first 2 shown]
	v_mov_b32_e32 v110, 0
	v_mov_b32_e32 v36, 0
	s_branch .LBB40_11
.LBB40_7:
                                        ; implicit-def: $vgpr5
                                        ; implicit-def: $vgpr60
                                        ; implicit-def: $vgpr67
                                        ; implicit-def: $vgpr65
                                        ; implicit-def: $vgpr64
                                        ; implicit-def: $vgpr63
                                        ; implicit-def: $vgpr62
	s_mov_b32 s29, 0
.LBB40_8:
	v_add3_u32 v25, s31, v56, 1
	s_mul_f32 s5, s24, 0x4f7ffffe
	s_clause 0x1
	s_load_b128 s[24:27], s[0:1], 0x98
	s_load_b64 s[40:41], s[0:1], 0x8c
	v_lshl_add_u32 v81, v1, 10, 0x4800
	s_sub_co_i32 s11, 0, s3
	v_mul_hi_u32 v11, s20, v25
	s_cvt_u32_f32 s5, s5
	s_abs_i32 s36, s2
	v_add_nc_u32_e32 v90, v81, v2
	s_mov_b32 s15, s37
	s_wait_alu 0xfffe
	s_mul_i32 s11, s11, s5
	s_ashr_i32 s38, s2, 31
	s_wait_alu 0xfffe
	s_mul_hi_u32 s11, s5, s11
	v_dual_mov_b32 v2, 0xfeffffff :: v_dual_add_nc_u32 v15, v25, v11
	s_wait_alu 0xfffe
	s_add_co_i32 s14, s5, s11
	s_ashr_i32 s33, s33, 31
	s_mul_u64 s[14:15], s[36:37], s[14:15]
	v_lshrrev_b32_e32 v17, s21, v15
	s_xor_b32 s11, s38, s33
	s_mul_i32 s33, s15, s3
	v_lshrrev_b32_e32 v5, 3, v58
	s_sub_co_i32 s33, s36, s33
	v_mul_lo_u32 v27, v17, s22
	s_ashr_i32 s5, s39, 1
	s_add_co_i32 s37, s15, 1
	s_wait_kmcnt 0x0
	s_ashr_i32 s14, s26, 2
	s_ashr_i32 s26, s40, 2
	s_sub_co_i32 s36, s33, s3
	s_cmp_ge_u32 s33, s3
	v_add_nc_u32_e32 v21, v5, v4
	s_cselect_b32 s15, s37, s15
	v_add_nc_u32_e32 v76, 0x5800, v0
	v_sub_nc_u32_e32 v0, v25, v27
	s_cselect_b32 s33, s36, s33
	s_add_co_i32 s36, s15, 1
	s_cmp_ge_u32 s33, s3
	s_mul_u64 s[24:25], s[24:25], s[28:29]
	s_cselect_b32 s3, s36, s15
	s_wait_alu 0xfffe
	v_mul_lo_u32 v80, v0, s5
	v_mov_b32_e32 v0, 0xfeffffff
	v_mul_lo_u32 v4, s26, v21
	v_mul_lo_u32 v20, s14, v21
	s_xor_b32 s3, s3, s11
	s_add_nc_u64 s[6:7], s[6:7], s[24:25]
	s_wait_alu 0xfffe
	s_sub_co_i32 s3, s3, s11
	s_lshl_b32 s11, s26, 4
	s_wait_alu 0xfffe
	s_mul_i32 s24, s3, s41
	s_mul_i32 s38, s3, s27
	s_lshl_b32 s3, s14, 4
	v_dual_mov_b32 v109, 0 :: v_dual_add_nc_u32 v6, s11, v4
	s_wait_alu 0xfffe
	v_dual_mov_b32 v111, 0 :: v_dual_add_nc_u32 v22, s3, v20
	s_delay_alu instid0(VALU_DEP_2) | instskip(SKIP_1) | instid1(VALU_DEP_2)
	v_dual_mov_b32 v1, 0xfeffffff :: v_dual_add_nc_u32 v8, s11, v6
	s_load_b64 s[42:43], s[0:1], 0xa8
	v_add_nc_u32_e32 v24, s3, v22
	v_dual_mov_b32 v36, 0 :: v_dual_lshlrev_b32 v61, 2, v58
	s_delay_alu instid0(VALU_DEP_3) | instskip(SKIP_1) | instid1(VALU_DEP_4)
	v_add_nc_u32_e32 v10, s11, v8
	v_mul_lo_u32 v78, v3, s5
	v_dual_mov_b32 v3, 0xfeffffff :: v_dual_add_nc_u32 v26, s3, v24
	s_delay_alu instid0(VALU_DEP_4) | instskip(NEXT) | instid1(VALU_DEP_4)
	v_dual_mov_b32 v60, 32 :: v_dual_and_b32 v37, 28, v61
	v_add_nc_u32_e32 v12, s11, v10
	s_delay_alu instid0(VALU_DEP_3) | instskip(SKIP_1) | instid1(VALU_DEP_4)
	v_add_nc_u32_e32 v28, s3, v26
	v_ashrrev_i32_e32 v5, 31, v4
	v_dual_mov_b32 v110, 0 :: v_dual_lshlrev_b32 v23, 2, v37
	s_delay_alu instid0(VALU_DEP_4) | instskip(NEXT) | instid1(VALU_DEP_4)
	v_add_nc_u32_e32 v14, s11, v12
	v_add_nc_u32_e32 v30, s3, v28
	v_ashrrev_i32_e32 v7, 31, v6
	s_delay_alu instid0(VALU_DEP_4)
	v_mad_u32_u24 v66, 0x90, v21, v23
	v_ashrrev_i32_e32 v9, 31, v8
	v_add_nc_u32_e32 v16, s11, v14
	v_add_nc_u32_e32 v32, s3, v30
	v_ashrrev_i32_e32 v11, 31, v10
	v_ashrrev_i32_e32 v13, 31, v12
	;; [unrolled: 1-line block ×3, first 2 shown]
	v_add_nc_u32_e32 v18, s11, v16
	v_add_nc_u32_e32 v34, s3, v32
	v_ashrrev_i32_e32 v17, 31, v16
	v_lshl_or_b32 v79, v21, 7, v23
	v_ashrrev_i32_e32 v21, 31, v20
	v_ashrrev_i32_e32 v19, 31, v18
	;; [unrolled: 1-line block ×9, first 2 shown]
	s_wait_kmcnt 0x0
	s_mul_u64 s[36:37], s[42:43], s[28:29]
	v_lshlrev_b64_e32 v[4:5], 2, v[4:5]
	v_lshlrev_b64_e32 v[6:7], 2, v[6:7]
	v_lshlrev_b64_e32 v[8:9], 2, v[8:9]
	v_lshlrev_b64_e32 v[10:11], 2, v[10:11]
	v_lshlrev_b64_e32 v[12:13], 2, v[12:13]
	v_lshlrev_b64_e32 v[14:15], 2, v[14:15]
	v_lshlrev_b64_e32 v[16:17], 2, v[16:17]
	v_lshlrev_b64_e32 v[18:19], 2, v[18:19]
	v_lshlrev_b64_e32 v[20:21], 2, v[20:21]
	v_lshlrev_b64_e32 v[22:23], 2, v[22:23]
	v_lshlrev_b64_e32 v[24:25], 2, v[24:25]
	v_lshlrev_b64_e32 v[26:27], 2, v[26:27]
	v_lshlrev_b64_e32 v[28:29], 2, v[28:29]
	v_lshlrev_b64_e32 v[30:31], 2, v[30:31]
	v_lshlrev_b64_e32 v[32:33], 2, v[32:33]
	v_lshlrev_b64_e32 v[34:35], 2, v[34:35]
	v_dual_mov_b32 v107, 0 :: v_dual_add_nc_u32 v68, 0x900, v66
	v_dual_mov_b32 v106, 0 :: v_dual_add_nc_u32 v69, 0x1200, v66
	v_add_nc_u32_e32 v70, 0x1b00, v66
	v_dual_mov_b32 v108, 0 :: v_dual_add_nc_u32 v71, 0x2400, v66
	v_dual_mov_b32 v72, 0 :: v_dual_add_nc_u32 v73, 0x2d00, v66
	v_add_nc_u32_e32 v74, 0x3600, v66
	v_add_nc_u32_e32 v75, 0x3f00, v66
	v_mul_u32_u24_e32 v77, 0x90, v58
	v_add_nc_u32_e32 v82, 0x800, v79
	v_add_nc_u32_e32 v83, 0x1000, v79
	;; [unrolled: 1-line block ×7, first 2 shown]
	v_lshlrev_b32_e32 v89, 2, v37
	v_xor_b32_e32 v67, 16, v59
	v_xor_b32_e32 v65, 8, v59
	v_xor_b32_e32 v64, 4, v59
	v_xor_b32_e32 v63, 2, v59
	v_xor_b32_e32 v62, 1, v59
	v_add_nc_u32_e32 v91, 0x400, v61
	v_add_nc_u32_e32 v92, 0x800, v61
	;; [unrolled: 1-line block ×15, first 2 shown]
	s_ashr_i32 s25, s24, 31
	s_add_nc_u64 s[8:9], s[8:9], s[36:37]
	s_ashr_i32 s39, s38, 31
	s_wait_alu 0xfffe
	s_add_nc_u64 s[6:7], s[6:7], s[24:25]
	s_add_nc_u64 s[8:9], s[8:9], s[38:39]
	s_ashr_i32 s27, s26, 31
	s_ashr_i32 s15, s14, 31
	s_add_nc_u64 s[20:21], s[0:1], 0xd0
.LBB40_9:                               ; =>This Inner Loop Header: Depth=1
	s_ashr_i32 s11, s10, 31
	v_mov_b32_e32 v43, v0
	s_wait_alu 0xfffe
	s_mul_u64 s[24:25], s[10:11], s[26:27]
	v_dual_mov_b32 v42, v106 :: v_dual_mov_b32 v41, v1
	s_wait_alu 0xfffe
	s_lshl_b64 s[24:25], s[24:25], 2
	v_dual_mov_b32 v38, v108 :: v_dual_mov_b32 v37, v3
	s_wait_alu 0xfffe
	s_add_nc_u64 s[24:25], s[6:7], s[24:25]
	v_dual_mov_b32 v40, v107 :: v_dual_mov_b32 v39, v2
	s_wait_alu 0xfffe
	v_add_co_u32 v0, vcc_lo, s24, v4
	s_wait_alu 0xfffd
	v_add_co_ci_u32_e64 v1, null, s25, v5, vcc_lo
	v_mov_b32_e32 v49, 0
	s_delay_alu instid0(VALU_DEP_3) | instskip(SKIP_1) | instid1(VALU_DEP_3)
	v_add_co_u32 v0, vcc_lo, v0, v89
	s_wait_alu 0xfffd
	v_add_co_ci_u32_e64 v1, null, 0, v1, vcc_lo
	v_dual_mov_b32 v107, 0 :: v_dual_mov_b32 v108, 0
	v_mov_b32_e32 v51, 0
	global_load_b128 v[0:3], v[0:1], off
	v_mov_b32_e32 v48, 0
	v_mov_b32_e32 v50, 0
	;; [unrolled: 1-line block ×3, first 2 shown]
	s_wait_loadcnt 0x0
	ds_store_b128 v66, v[0:3]
	v_add_co_u32 v0, vcc_lo, s24, v6
	s_wait_alu 0xfffd
	v_add_co_ci_u32_e64 v1, null, s25, v7, vcc_lo
	s_delay_alu instid0(VALU_DEP_2) | instskip(SKIP_1) | instid1(VALU_DEP_2)
	v_add_co_u32 v0, vcc_lo, v0, v89
	s_wait_alu 0xfffd
	v_add_co_ci_u32_e64 v1, null, 0, v1, vcc_lo
	global_load_b128 v[0:3], v[0:1], off
	s_wait_loadcnt 0x0
	ds_store_b128 v68, v[0:3]
	v_add_co_u32 v0, vcc_lo, s24, v8
	s_wait_alu 0xfffd
	v_add_co_ci_u32_e64 v1, null, s25, v9, vcc_lo
	s_delay_alu instid0(VALU_DEP_2) | instskip(SKIP_1) | instid1(VALU_DEP_2)
	v_add_co_u32 v0, vcc_lo, v0, v89
	s_wait_alu 0xfffd
	v_add_co_ci_u32_e64 v1, null, 0, v1, vcc_lo
	global_load_b128 v[0:3], v[0:1], off
	;; [unrolled: 10-line block ×6, first 2 shown]
	s_wait_loadcnt 0x0
	ds_store_b128 v74, v[0:3]
	v_add_co_u32 v0, vcc_lo, s24, v18
	s_wait_alu 0xfffd
	v_add_co_ci_u32_e64 v1, null, s25, v19, vcc_lo
	s_mul_u64 s[24:25], s[10:11], s[14:15]
	v_add_co_u32 v0, vcc_lo, v0, v89
	s_wait_alu 0xfffd
	v_add_co_ci_u32_e64 v1, null, 0, v1, vcc_lo
	v_cmp_gt_i32_e32 vcc_lo, 32, v67
	s_wait_alu 0xfffe
	s_lshl_b64 s[24:25], s[24:25], 2
	global_load_b128 v[0:3], v[0:1], off
	s_wait_alu 0xfffe
	s_add_nc_u64 s[24:25], s[8:9], s[24:25]
	s_wait_loadcnt 0x0
	ds_store_b128 v75, v[0:3]
	s_wait_dscnt 0x0
	s_barrier_signal -1
	s_barrier_wait -1
	global_inv scope:SCOPE_SE
	ds_load_b128 v[44:47], v77
	ds_load_b128 v[112:115], v77 offset:4608
	ds_load_b128 v[116:119], v77 offset:9216
	;; [unrolled: 1-line block ×3, first 2 shown]
	ds_load_b128 v[124:127], v76
	ds_load_b128 v[128:131], v76 offset:128
	ds_load_b128 v[132:135], v76 offset:256
	;; [unrolled: 1-line block ×3, first 2 shown]
	v_mov_b32_e32 v0, 0
	s_wait_dscnt 0x3
	;;#ASMSTART
	v_dot2_f32_f16 v0, v44, v124, v0
	;;#ASMEND
	;;#ASMSTART
	v_dot2_f32_f16 v0, v45, v125, v0
	;;#ASMEND
	;; [unrolled: 3-line block ×3, first 2 shown]
	v_dual_mov_b32 v1, 0 :: v_dual_mov_b32 v2, 0
	;;#ASMSTART
	v_dot2_f32_f16 v0, v47, v127, v0
	;;#ASMEND
	s_wait_dscnt 0x2
	;;#ASMSTART
	v_dot2_f32_f16 v1, v44, v128, v1
	;;#ASMEND
	;;#ASMSTART
	v_dot2_f32_f16 v1, v45, v129, v1
	;;#ASMEND
	;; [unrolled: 3-line block ×4, first 2 shown]
	s_wait_dscnt 0x1
	;;#ASMSTART
	v_dot2_f32_f16 v2, v44, v132, v2
	;;#ASMEND
	;;#ASMSTART
	v_dot2_f32_f16 v2, v45, v133, v2
	;;#ASMEND
	;; [unrolled: 3-line block ×3, first 2 shown]
	v_mov_b32_e32 v3, 0
	;;#ASMSTART
	v_dot2_f32_f16 v2, v47, v135, v2
	;;#ASMEND
	s_wait_dscnt 0x0
	;;#ASMSTART
	v_dot2_f32_f16 v3, v44, v136, v3
	;;#ASMEND
	;;#ASMSTART
	v_dot2_f32_f16 v3, v45, v137, v3
	;;#ASMEND
	;; [unrolled: 3-line block ×8, first 2 shown]
	v_mov_b32_e32 v44, 0
	;;#ASMSTART
	v_dot2_f32_f16 v49, v112, v128, v49
	;;#ASMEND
	;;#ASMSTART
	v_dot2_f32_f16 v49, v113, v129, v49
	;;#ASMEND
	;; [unrolled: 3-line block ×3, first 2 shown]
	v_mov_b32_e32 v45, 0
	;;#ASMSTART
	v_dot2_f32_f16 v49, v115, v131, v49
	;;#ASMEND
	;;#ASMSTART
	v_dot2_f32_f16 v45, v112, v132, v45
	;;#ASMEND
	;; [unrolled: 3-line block ×9, first 2 shown]
	v_mov_b32_e32 v46, 0
	;;#ASMSTART
	v_dot2_f32_f16 v107, v116, v124, v107
	;;#ASMEND
	;;#ASMSTART
	v_dot2_f32_f16 v107, v117, v125, v107
	;;#ASMEND
	;; [unrolled: 3-line block ×7, first 2 shown]
	v_dual_mov_b32 v47, 0 :: v_dual_mov_b32 v112, 0
	;;#ASMSTART
	v_dot2_f32_f16 v106, v119, v131, v106
	;;#ASMEND
	;;#ASMSTART
	v_dot2_f32_f16 v47, v116, v132, v47
	;;#ASMEND
	;; [unrolled: 3-line block ×25, first 2 shown]
	ds_load_b128 v[113:116], v77 offset:16
	ds_load_b128 v[117:120], v77 offset:4624
	;; [unrolled: 1-line block ×8, first 2 shown]
	s_wait_dscnt 0x3
	;;#ASMSTART
	v_dot2_f32_f16 v0, v113, v129, v0
	;;#ASMEND
	;;#ASMSTART
	v_dot2_f32_f16 v0, v114, v130, v0
	;;#ASMEND
	;;#ASMSTART
	v_dot2_f32_f16 v0, v115, v131, v0
	;;#ASMEND
	;;#ASMSTART
	v_dot2_f32_f16 v0, v116, v132, v0
	;;#ASMEND
	s_wait_dscnt 0x2
	;;#ASMSTART
	v_dot2_f32_f16 v1, v113, v133, v1
	;;#ASMEND
	;;#ASMSTART
	v_dot2_f32_f16 v1, v114, v134, v1
	;;#ASMEND
	;;#ASMSTART
	v_dot2_f32_f16 v1, v115, v135, v1
	;;#ASMEND
	;;#ASMSTART
	v_dot2_f32_f16 v1, v116, v136, v1
	;;#ASMEND
	;; [unrolled: 13-line block ×4, first 2 shown]
	;;#ASMSTART
	v_dot2_f32_f16 v50, v117, v129, v50
	;;#ASMEND
	;;#ASMSTART
	v_dot2_f32_f16 v50, v118, v130, v50
	;;#ASMEND
	;;#ASMSTART
	v_dot2_f32_f16 v50, v119, v131, v50
	;;#ASMEND
	;;#ASMSTART
	v_dot2_f32_f16 v50, v120, v132, v50
	;;#ASMEND
	;;#ASMSTART
	v_dot2_f32_f16 v49, v117, v133, v49
	;;#ASMEND
	;;#ASMSTART
	v_dot2_f32_f16 v49, v118, v134, v49
	;;#ASMEND
	;;#ASMSTART
	v_dot2_f32_f16 v49, v119, v135, v49
	;;#ASMEND
	;;#ASMSTART
	v_dot2_f32_f16 v49, v120, v136, v49
	;;#ASMEND
	;;#ASMSTART
	v_dot2_f32_f16 v45, v117, v137, v45
	;;#ASMEND
	;;#ASMSTART
	v_dot2_f32_f16 v45, v118, v138, v45
	;;#ASMEND
	;;#ASMSTART
	v_dot2_f32_f16 v45, v119, v139, v45
	;;#ASMEND
	;;#ASMSTART
	v_dot2_f32_f16 v45, v120, v140, v45
	;;#ASMEND
	;;#ASMSTART
	v_dot2_f32_f16 v44, v117, v141, v44
	;;#ASMEND
	;;#ASMSTART
	v_dot2_f32_f16 v44, v118, v142, v44
	;;#ASMEND
	;;#ASMSTART
	v_dot2_f32_f16 v44, v119, v143, v44
	;;#ASMEND
	;;#ASMSTART
	v_dot2_f32_f16 v44, v120, v144, v44
	;;#ASMEND
	;;#ASMSTART
	v_dot2_f32_f16 v107, v121, v129, v107
	;;#ASMEND
	;;#ASMSTART
	v_dot2_f32_f16 v107, v122, v130, v107
	;;#ASMEND
	;;#ASMSTART
	v_dot2_f32_f16 v107, v123, v131, v107
	;;#ASMEND
	;;#ASMSTART
	v_dot2_f32_f16 v107, v124, v132, v107
	;;#ASMEND
	;;#ASMSTART
	v_dot2_f32_f16 v106, v121, v133, v106
	;;#ASMEND
	;;#ASMSTART
	v_dot2_f32_f16 v106, v122, v134, v106
	;;#ASMEND
	;;#ASMSTART
	v_dot2_f32_f16 v106, v123, v135, v106
	;;#ASMEND
	;;#ASMSTART
	v_dot2_f32_f16 v106, v124, v136, v106
	;;#ASMEND
	;;#ASMSTART
	v_dot2_f32_f16 v47, v121, v137, v47
	;;#ASMEND
	;;#ASMSTART
	v_dot2_f32_f16 v47, v122, v138, v47
	;;#ASMEND
	;;#ASMSTART
	v_dot2_f32_f16 v47, v123, v139, v47
	;;#ASMEND
	;;#ASMSTART
	v_dot2_f32_f16 v47, v124, v140, v47
	;;#ASMEND
	;;#ASMSTART
	v_dot2_f32_f16 v46, v121, v141, v46
	;;#ASMEND
	;;#ASMSTART
	v_dot2_f32_f16 v46, v122, v142, v46
	;;#ASMEND
	;;#ASMSTART
	v_dot2_f32_f16 v46, v123, v143, v46
	;;#ASMEND
	;;#ASMSTART
	v_dot2_f32_f16 v46, v124, v144, v46
	;;#ASMEND
	;;#ASMSTART
	v_dot2_f32_f16 v112, v125, v129, v112
	;;#ASMEND
	;;#ASMSTART
	v_dot2_f32_f16 v112, v126, v130, v112
	;;#ASMEND
	;;#ASMSTART
	v_dot2_f32_f16 v112, v127, v131, v112
	;;#ASMEND
	;;#ASMSTART
	v_dot2_f32_f16 v112, v128, v132, v112
	;;#ASMEND
	;;#ASMSTART
	v_dot2_f32_f16 v108, v125, v133, v108
	;;#ASMEND
	;;#ASMSTART
	v_dot2_f32_f16 v108, v126, v134, v108
	;;#ASMEND
	;;#ASMSTART
	v_dot2_f32_f16 v108, v127, v135, v108
	;;#ASMEND
	;;#ASMSTART
	v_dot2_f32_f16 v108, v128, v136, v108
	;;#ASMEND
	;;#ASMSTART
	v_dot2_f32_f16 v51, v125, v137, v51
	;;#ASMEND
	;;#ASMSTART
	v_dot2_f32_f16 v51, v126, v138, v51
	;;#ASMEND
	;;#ASMSTART
	v_dot2_f32_f16 v51, v127, v139, v51
	;;#ASMEND
	;;#ASMSTART
	v_dot2_f32_f16 v51, v128, v140, v51
	;;#ASMEND
	;;#ASMSTART
	v_dot2_f32_f16 v48, v125, v141, v48
	;;#ASMEND
	;;#ASMSTART
	v_dot2_f32_f16 v48, v126, v142, v48
	;;#ASMEND
	;;#ASMSTART
	v_dot2_f32_f16 v48, v127, v143, v48
	;;#ASMEND
	;;#ASMSTART
	v_dot2_f32_f16 v48, v128, v144, v48
	;;#ASMEND
	ds_load_b128 v[113:116], v77 offset:32
	ds_load_b128 v[117:120], v77 offset:4640
	;; [unrolled: 1-line block ×8, first 2 shown]
	s_wait_dscnt 0x3
	;;#ASMSTART
	v_dot2_f32_f16 v0, v113, v129, v0
	;;#ASMEND
	;;#ASMSTART
	v_dot2_f32_f16 v0, v114, v130, v0
	;;#ASMEND
	;;#ASMSTART
	v_dot2_f32_f16 v0, v115, v131, v0
	;;#ASMEND
	;;#ASMSTART
	v_dot2_f32_f16 v0, v116, v132, v0
	;;#ASMEND
	s_wait_dscnt 0x2
	;;#ASMSTART
	v_dot2_f32_f16 v1, v113, v133, v1
	;;#ASMEND
	;;#ASMSTART
	v_dot2_f32_f16 v1, v114, v134, v1
	;;#ASMEND
	;;#ASMSTART
	v_dot2_f32_f16 v1, v115, v135, v1
	;;#ASMEND
	;;#ASMSTART
	v_dot2_f32_f16 v1, v116, v136, v1
	;;#ASMEND
	;; [unrolled: 13-line block ×4, first 2 shown]
	;;#ASMSTART
	v_dot2_f32_f16 v50, v117, v129, v50
	;;#ASMEND
	;;#ASMSTART
	v_dot2_f32_f16 v50, v118, v130, v50
	;;#ASMEND
	;; [unrolled: 3-line block ×48, first 2 shown]
	ds_load_b128 v[113:116], v77 offset:48
	ds_load_b128 v[117:120], v77 offset:4656
	ds_load_b128 v[121:124], v77 offset:9264
	ds_load_b128 v[125:128], v77 offset:13872
	ds_load_b128 v[129:132], v76 offset:48
	ds_load_b128 v[133:136], v76 offset:176
	ds_load_b128 v[137:140], v76 offset:304
	ds_load_b128 v[141:144], v76 offset:432
	s_wait_dscnt 0x3
	;;#ASMSTART
	v_dot2_f32_f16 v0, v113, v129, v0
	;;#ASMEND
	;;#ASMSTART
	v_dot2_f32_f16 v0, v114, v130, v0
	;;#ASMEND
	;;#ASMSTART
	v_dot2_f32_f16 v0, v115, v131, v0
	;;#ASMEND
	;;#ASMSTART
	v_dot2_f32_f16 v0, v116, v132, v0
	;;#ASMEND
	s_wait_dscnt 0x2
	;;#ASMSTART
	v_dot2_f32_f16 v1, v113, v133, v1
	;;#ASMEND
	;;#ASMSTART
	v_dot2_f32_f16 v1, v114, v134, v1
	;;#ASMEND
	;;#ASMSTART
	v_dot2_f32_f16 v1, v115, v135, v1
	;;#ASMEND
	;;#ASMSTART
	v_dot2_f32_f16 v1, v116, v136, v1
	;;#ASMEND
	;; [unrolled: 13-line block ×4, first 2 shown]
	;;#ASMSTART
	v_dot2_f32_f16 v50, v117, v129, v50
	;;#ASMEND
	;;#ASMSTART
	v_dot2_f32_f16 v50, v118, v130, v50
	;;#ASMEND
	;; [unrolled: 3-line block ×48, first 2 shown]
	ds_load_b128 v[113:116], v77 offset:64
	ds_load_b128 v[117:120], v77 offset:4672
	;; [unrolled: 1-line block ×8, first 2 shown]
	s_wait_dscnt 0x3
	;;#ASMSTART
	v_dot2_f32_f16 v0, v113, v129, v0
	;;#ASMEND
	;;#ASMSTART
	v_dot2_f32_f16 v0, v114, v130, v0
	;;#ASMEND
	;;#ASMSTART
	v_dot2_f32_f16 v0, v115, v131, v0
	;;#ASMEND
	;;#ASMSTART
	v_dot2_f32_f16 v0, v116, v132, v0
	;;#ASMEND
	s_wait_dscnt 0x2
	;;#ASMSTART
	v_dot2_f32_f16 v1, v113, v133, v1
	;;#ASMEND
	;;#ASMSTART
	v_dot2_f32_f16 v1, v114, v134, v1
	;;#ASMEND
	;;#ASMSTART
	v_dot2_f32_f16 v1, v115, v135, v1
	;;#ASMEND
	;;#ASMSTART
	v_dot2_f32_f16 v1, v116, v136, v1
	;;#ASMEND
	;; [unrolled: 13-line block ×4, first 2 shown]
	;;#ASMSTART
	v_dot2_f32_f16 v50, v117, v129, v50
	;;#ASMEND
	;;#ASMSTART
	v_dot2_f32_f16 v50, v118, v130, v50
	;;#ASMEND
	;; [unrolled: 3-line block ×48, first 2 shown]
	ds_load_b128 v[113:116], v77 offset:80
	ds_load_b128 v[117:120], v77 offset:4688
	;; [unrolled: 1-line block ×8, first 2 shown]
	s_wait_dscnt 0x3
	;;#ASMSTART
	v_dot2_f32_f16 v0, v113, v129, v0
	;;#ASMEND
	;;#ASMSTART
	v_dot2_f32_f16 v0, v114, v130, v0
	;;#ASMEND
	;;#ASMSTART
	v_dot2_f32_f16 v0, v115, v131, v0
	;;#ASMEND
	;;#ASMSTART
	v_dot2_f32_f16 v0, v116, v132, v0
	;;#ASMEND
	s_wait_dscnt 0x2
	;;#ASMSTART
	v_dot2_f32_f16 v1, v113, v133, v1
	;;#ASMEND
	;;#ASMSTART
	v_dot2_f32_f16 v1, v114, v134, v1
	;;#ASMEND
	;;#ASMSTART
	v_dot2_f32_f16 v1, v115, v135, v1
	;;#ASMEND
	;;#ASMSTART
	v_dot2_f32_f16 v1, v116, v136, v1
	;;#ASMEND
	;; [unrolled: 13-line block ×4, first 2 shown]
	;;#ASMSTART
	v_dot2_f32_f16 v50, v117, v129, v50
	;;#ASMEND
	;;#ASMSTART
	v_dot2_f32_f16 v50, v118, v130, v50
	;;#ASMEND
	;; [unrolled: 3-line block ×48, first 2 shown]
	ds_load_b128 v[113:116], v77 offset:96
	ds_load_b128 v[117:120], v77 offset:4704
	;; [unrolled: 1-line block ×8, first 2 shown]
	s_wait_dscnt 0x3
	;;#ASMSTART
	v_dot2_f32_f16 v0, v113, v129, v0
	;;#ASMEND
	;;#ASMSTART
	v_dot2_f32_f16 v0, v114, v130, v0
	;;#ASMEND
	;;#ASMSTART
	v_dot2_f32_f16 v0, v115, v131, v0
	;;#ASMEND
	;;#ASMSTART
	v_dot2_f32_f16 v0, v116, v132, v0
	;;#ASMEND
	s_wait_dscnt 0x2
	;;#ASMSTART
	v_dot2_f32_f16 v1, v113, v133, v1
	;;#ASMEND
	;;#ASMSTART
	v_dot2_f32_f16 v1, v114, v134, v1
	;;#ASMEND
	;;#ASMSTART
	v_dot2_f32_f16 v1, v115, v135, v1
	;;#ASMEND
	;;#ASMSTART
	v_dot2_f32_f16 v1, v116, v136, v1
	;;#ASMEND
	;; [unrolled: 13-line block ×4, first 2 shown]
	;;#ASMSTART
	v_dot2_f32_f16 v50, v117, v129, v50
	;;#ASMEND
	;;#ASMSTART
	v_dot2_f32_f16 v50, v118, v130, v50
	;;#ASMEND
	;; [unrolled: 3-line block ×48, first 2 shown]
	ds_load_b128 v[113:116], v77 offset:112
	ds_load_b128 v[117:120], v77 offset:4720
	;; [unrolled: 1-line block ×8, first 2 shown]
	s_wait_dscnt 0x3
	;;#ASMSTART
	v_dot2_f32_f16 v0, v113, v129, v0
	;;#ASMEND
	;;#ASMSTART
	v_dot2_f32_f16 v0, v114, v130, v0
	;;#ASMEND
	;;#ASMSTART
	v_dot2_f32_f16 v0, v115, v131, v0
	;;#ASMEND
	;;#ASMSTART
	v_dot2_f32_f16 v0, v116, v132, v0
	;;#ASMEND
	s_wait_dscnt 0x2
	;;#ASMSTART
	v_dot2_f32_f16 v1, v113, v133, v1
	;;#ASMEND
	;;#ASMSTART
	v_dot2_f32_f16 v1, v114, v134, v1
	;;#ASMEND
	;;#ASMSTART
	v_dot2_f32_f16 v1, v115, v135, v1
	;;#ASMEND
	;;#ASMSTART
	v_dot2_f32_f16 v1, v116, v136, v1
	;;#ASMEND
	;; [unrolled: 13-line block ×3, first 2 shown]
	s_wait_dscnt 0x0
	;;#ASMSTART
	v_dot2_f32_f16 v3, v113, v141, v3
	;;#ASMEND
	;;#ASMSTART
	v_dot2_f32_f16 v3, v114, v142, v3
	;;#ASMEND
	;; [unrolled: 3-line block ×3, first 2 shown]
	s_wait_alu 0xfffd
	v_cndmask_b32_e32 v113, v59, v67, vcc_lo
	v_cmp_gt_i32_e32 vcc_lo, 32, v65
	;;#ASMSTART
	v_dot2_f32_f16 v3, v116, v144, v3
	;;#ASMEND
	;;#ASMSTART
	v_dot2_f32_f16 v50, v117, v129, v50
	;;#ASMEND
	;;#ASMSTART
	v_dot2_f32_f16 v50, v118, v130, v50
	;;#ASMEND
	;;#ASMSTART
	v_dot2_f32_f16 v50, v119, v131, v50
	;;#ASMEND
	;;#ASMSTART
	v_dot2_f32_f16 v50, v120, v132, v50
	;;#ASMEND
	;;#ASMSTART
	v_dot2_f32_f16 v49, v117, v133, v49
	;;#ASMEND
	;;#ASMSTART
	v_dot2_f32_f16 v49, v118, v134, v49
	;;#ASMEND
	v_lshlrev_b32_e32 v116, 2, v113
	s_wait_alu 0xfffd
	v_cndmask_b32_e32 v113, v59, v65, vcc_lo
	v_cmp_gt_i32_e32 vcc_lo, 32, v64
	;;#ASMSTART
	v_dot2_f32_f16 v49, v119, v135, v49
	;;#ASMEND
	;;#ASMSTART
	v_dot2_f32_f16 v49, v120, v136, v49
	;;#ASMEND
	;; [unrolled: 3-line block ×7, first 2 shown]
	v_lshlrev_b32_e32 v117, 2, v113
	s_wait_alu 0xfffd
	v_cndmask_b32_e32 v113, v59, v64, vcc_lo
	v_cmp_gt_i32_e32 vcc_lo, 32, v63
	;;#ASMSTART
	v_dot2_f32_f16 v44, v118, v142, v44
	;;#ASMEND
	;;#ASMSTART
	v_dot2_f32_f16 v44, v119, v143, v44
	;;#ASMEND
	v_add_nc_u32_e32 v115, s10, v58
	s_wait_alu 0xfffd
	v_dual_cndmask_b32 v113, v59, v63 :: v_dual_lshlrev_b32 v118, 2, v113
	v_cmp_gt_i32_e32 vcc_lo, 32, v62
	;;#ASMSTART
	v_dot2_f32_f16 v44, v120, v144, v44
	;;#ASMEND
	;;#ASMSTART
	v_dot2_f32_f16 v107, v121, v129, v107
	;;#ASMEND
	;; [unrolled: 3-line block ×3, first 2 shown]
	v_lshlrev_b32_e32 v119, 2, v113
	s_wait_alu 0xfffd
	v_cndmask_b32_e32 v113, v59, v62, vcc_lo
	;;#ASMSTART
	v_dot2_f32_f16 v107, v123, v131, v107
	;;#ASMEND
	;;#ASMSTART
	v_dot2_f32_f16 v107, v124, v132, v107
	;;#ASMEND
	;; [unrolled: 3-line block ×4, first 2 shown]
	v_lshlrev_b32_e32 v120, 2, v113
	v_add_nc_u32_e32 v113, v115, v78
	;;#ASMSTART
	v_dot2_f32_f16 v106, v123, v135, v106
	;;#ASMEND
	;;#ASMSTART
	v_dot2_f32_f16 v106, v124, v136, v106
	;;#ASMEND
	;; [unrolled: 3-line block ×4, first 2 shown]
	v_ashrrev_i32_e32 v114, 31, v113
	;;#ASMSTART
	v_dot2_f32_f16 v47, v123, v139, v47
	;;#ASMEND
	;;#ASMSTART
	v_dot2_f32_f16 v47, v124, v140, v47
	;;#ASMEND
	;; [unrolled: 3-line block ×5, first 2 shown]
	v_lshlrev_b64_e32 v[113:114], 1, v[113:114]
	;;#ASMSTART
	v_dot2_f32_f16 v46, v124, v144, v46
	;;#ASMEND
	;;#ASMSTART
	v_dot2_f32_f16 v112, v125, v129, v112
	;;#ASMEND
	;; [unrolled: 3-line block ×8, first 2 shown]
	v_add_co_u32 v113, vcc_lo, s34, v113
	;;#ASMSTART
	v_dot2_f32_f16 v108, v128, v136, v108
	;;#ASMEND
	;;#ASMSTART
	v_dot2_f32_f16 v51, v125, v137, v51
	;;#ASMEND
	;; [unrolled: 3-line block ×3, first 2 shown]
	s_wait_alu 0xfffd
	v_add_co_ci_u32_e64 v114, null, s35, v114, vcc_lo
	;;#ASMSTART
	v_dot2_f32_f16 v51, v127, v139, v51
	;;#ASMEND
	;;#ASMSTART
	v_dot2_f32_f16 v51, v128, v140, v51
	;;#ASMEND
	;; [unrolled: 3-line block ×6, first 2 shown]
	s_clause 0x1
	global_load_u16 v121, v[113:114], off
	global_load_u16 v123, v[113:114], off offset:64
	s_wait_loadcnt 0x1
	v_cvt_f32_f16_e32 v121, v121
	s_wait_loadcnt 0x0
	v_cvt_f32_f16_e32 v123, v123
	s_delay_alu instid0(VALU_DEP_2) | instskip(NEXT) | instid1(VALU_DEP_2)
	v_add_f32_e32 v122, v0, v121
	v_dual_add_f32 v124, v50, v123 :: v_dual_add_f32 v121, v1, v121
	s_delay_alu instid0(VALU_DEP_2) | instskip(NEXT) | instid1(VALU_DEP_2)
	v_dual_add_f32 v123, v49, v123 :: v_dual_add_f32 v0, 0x40051340, v122
	v_dual_add_f32 v50, 0x40051340, v124 :: v_dual_add_f32 v1, 0x40051340, v121
	s_delay_alu instid0(VALU_DEP_2) | instskip(NEXT) | instid1(VALU_DEP_2)
	v_add_f32_e32 v49, 0x40051340, v123
	v_max3_num_f32 v0, v43, v0, v50
	s_clause 0x1
	global_load_u16 v50, v[113:114], off offset:128
	global_load_u16 v113, v[113:114], off offset:192
	v_max3_num_f32 v1, v41, v1, v49
	s_wait_loadcnt 0x1
	v_cvt_f32_f16_e32 v50, v50
	s_wait_loadcnt 0x0
	v_cvt_f32_f16_e32 v113, v113
	s_delay_alu instid0(VALU_DEP_1) | instskip(SKIP_1) | instid1(VALU_DEP_2)
	v_dual_add_f32 v107, v107, v50 :: v_dual_add_f32 v112, v112, v113
	v_add_f32_e32 v113, v108, v113
	v_dual_add_f32 v125, 0x40051340, v107 :: v_dual_add_f32 v114, 0x40051340, v112
	s_delay_alu instid0(VALU_DEP_1) | instskip(NEXT) | instid1(VALU_DEP_3)
	v_max3_num_f32 v0, v0, v125, v114
	v_dual_add_f32 v125, v106, v50 :: v_dual_add_f32 v50, 0x40051340, v113
	ds_bpermute_b32 v114, v116, v0
	v_add_f32_e32 v49, 0x40051340, v125
	s_delay_alu instid0(VALU_DEP_1) | instskip(SKIP_3) | instid1(VALU_DEP_1)
	v_max3_num_f32 v1, v1, v49, v50
	ds_bpermute_b32 v49, v116, v1
	s_wait_dscnt 0x1
	v_max_num_f32_e32 v114, v114, v114
	v_max_num_f32_e32 v0, v0, v114
	ds_bpermute_b32 v114, v117, v0
	s_wait_dscnt 0x1
	v_max_num_f32_e32 v49, v49, v49
	s_delay_alu instid0(VALU_DEP_1) | instskip(SKIP_3) | instid1(VALU_DEP_1)
	v_max_num_f32_e32 v1, v1, v49
	ds_bpermute_b32 v49, v117, v1
	s_wait_dscnt 0x1
	v_max_num_f32_e32 v114, v114, v114
	v_max_num_f32_e32 v0, v0, v114
	ds_bpermute_b32 v114, v118, v0
	s_wait_dscnt 0x1
	v_max_num_f32_e32 v49, v49, v49
	s_delay_alu instid0(VALU_DEP_1) | instskip(SKIP_3) | instid1(VALU_DEP_1)
	v_max_num_f32_e32 v1, v1, v49
	;; [unrolled: 9-line block ×3, first 2 shown]
	ds_bpermute_b32 v49, v119, v1
	s_wait_dscnt 0x1
	v_max_num_f32_e32 v114, v114, v114
	v_max_num_f32_e32 v0, v0, v114
	ds_bpermute_b32 v114, v120, v0
	s_wait_dscnt 0x1
	v_max_num_f32_e32 v49, v49, v49
	s_delay_alu instid0(VALU_DEP_1) | instskip(SKIP_4) | instid1(VALU_DEP_1)
	v_max_num_f32_e32 v1, v1, v49
	ds_bpermute_b32 v49, v120, v1
	s_wait_dscnt 0x1
	v_max_num_f32_e32 v114, v114, v114
	s_wait_dscnt 0x0
	v_dual_max_num_f32 v0, v0, v114 :: v_dual_max_num_f32 v49, v49, v49
	s_delay_alu instid0(VALU_DEP_1) | instskip(SKIP_1) | instid1(VALU_DEP_1)
	v_max_num_f32_e32 v1, v1, v49
	v_add_nc_u32_e32 v49, v115, v80
	v_ashrrev_i32_e32 v50, 31, v49
	s_delay_alu instid0(VALU_DEP_1) | instskip(NEXT) | instid1(VALU_DEP_1)
	v_lshlrev_b64_e32 v[49:50], 1, v[49:50]
	v_add_co_u32 v49, vcc_lo, s34, v49
	s_wait_alu 0xfffd
	s_delay_alu instid0(VALU_DEP_2)
	v_add_co_ci_u32_e64 v50, null, s35, v50, vcc_lo
	s_clause 0x1
	global_load_u16 v106, v[49:50], off
	global_load_u16 v108, v[49:50], off offset:64
	s_wait_loadcnt 0x1
	v_cvt_f32_f16_e32 v106, v106
	s_wait_loadcnt 0x0
	v_cvt_f32_f16_e32 v126, v108
	s_delay_alu instid0(VALU_DEP_2) | instskip(NEXT) | instid1(VALU_DEP_1)
	v_add_f32_e32 v115, v2, v106
	v_dual_add_f32 v127, v45, v126 :: v_dual_add_f32 v2, 0x40051340, v115
	s_delay_alu instid0(VALU_DEP_1) | instskip(NEXT) | instid1(VALU_DEP_1)
	v_add_f32_e32 v45, 0x40051340, v127
	v_max3_num_f32 v2, v39, v2, v45
	s_clause 0x1
	global_load_u16 v45, v[49:50], off offset:128
	global_load_u16 v49, v[49:50], off offset:192
	v_add_f32_e32 v50, v44, v126
	s_wait_loadcnt 0x0
	s_barrier_signal -1
	s_barrier_wait -1
	global_inv scope:SCOPE_SE
	v_add_f32_e32 v44, 0x40051340, v50
	v_cvt_f32_f16_e32 v45, v45
	v_cvt_f32_f16_e64 v128, v49
	s_delay_alu instid0(VALU_DEP_2) | instskip(NEXT) | instid1(VALU_DEP_2)
	v_add_f32_e32 v108, v47, v45
	v_add_f32_e32 v114, v51, v128
	s_delay_alu instid0(VALU_DEP_2) | instskip(NEXT) | instid1(VALU_DEP_2)
	v_add_f32_e32 v47, 0x40051340, v108
	v_add_f32_e32 v49, 0x40051340, v114
	s_delay_alu instid0(VALU_DEP_1)
	v_max3_num_f32 v2, v2, v47, v49
	v_dual_add_f32 v49, v46, v45 :: v_dual_add_f32 v46, v48, v128
	v_sub_f32_e32 v48, v43, v0
	v_sub_f32_e32 v43, v122, v0
	v_add_f32_e32 v51, v3, v106
	ds_bpermute_b32 v47, v116, v2
	v_add_f32_e32 v45, 0x40051340, v46
	v_cmp_ngt_f32_e32 vcc_lo, 0xc2ce8ed0, v43
	v_add_f32_e32 v3, 0x40051340, v51
	s_delay_alu instid0(VALU_DEP_1) | instskip(SKIP_1) | instid1(VALU_DEP_1)
	v_max3_num_f32 v3, v37, v3, v44
	v_add_f32_e32 v44, 0x40051340, v49
	v_max3_num_f32 v3, v3, v44, v45
	ds_bpermute_b32 v44, v116, v3
	s_wait_dscnt 0x0
	v_dual_max_num_f32 v47, v47, v47 :: v_dual_max_num_f32 v44, v44, v44
	s_delay_alu instid0(VALU_DEP_1) | instskip(SKIP_4) | instid1(VALU_DEP_1)
	v_dual_max_num_f32 v2, v2, v47 :: v_dual_max_num_f32 v3, v3, v44
	ds_bpermute_b32 v47, v117, v2
	ds_bpermute_b32 v44, v117, v3
	s_wait_dscnt 0x0
	v_dual_max_num_f32 v47, v47, v47 :: v_dual_max_num_f32 v44, v44, v44
	v_dual_max_num_f32 v2, v2, v47 :: v_dual_max_num_f32 v3, v3, v44
	ds_bpermute_b32 v47, v118, v2
	ds_bpermute_b32 v44, v118, v3
	s_wait_dscnt 0x0
	v_dual_max_num_f32 v47, v47, v47 :: v_dual_max_num_f32 v44, v44, v44
	s_delay_alu instid0(VALU_DEP_1) | instskip(SKIP_4) | instid1(VALU_DEP_1)
	v_dual_max_num_f32 v2, v2, v47 :: v_dual_max_num_f32 v3, v3, v44
	ds_bpermute_b32 v47, v119, v2
	ds_bpermute_b32 v44, v119, v3
	s_wait_dscnt 0x0
	v_dual_max_num_f32 v47, v47, v47 :: v_dual_max_num_f32 v44, v44, v44
	v_dual_max_num_f32 v2, v2, v47 :: v_dual_max_num_f32 v3, v3, v44
	ds_bpermute_b32 v47, v120, v2
	ds_bpermute_b32 v44, v120, v3
	s_wait_dscnt 0x0
	v_dual_max_num_f32 v47, v47, v47 :: v_dual_max_num_f32 v44, v44, v44
	s_delay_alu instid0(VALU_DEP_1) | instskip(SKIP_1) | instid1(VALU_DEP_2)
	v_dual_max_num_f32 v2, v2, v47 :: v_dual_max_num_f32 v3, v3, v44
	v_mul_f32_e32 v44, 0x3fb8aa3b, v43
	v_sub_f32_e32 v108, v108, v2
	s_delay_alu instid0(VALU_DEP_2) | instskip(SKIP_1) | instid1(VALU_DEP_2)
	v_fma_f32 v45, 0x3fb8aa3b, v43, -v44
	v_rndne_f32_e32 v47, v44
	v_fmac_f32_e32 v45, 0x32a5705f, v43
	s_delay_alu instid0(VALU_DEP_2) | instskip(NEXT) | instid1(VALU_DEP_1)
	v_sub_f32_e32 v44, v44, v47
	v_add_f32_e32 v44, v44, v45
	v_cvt_i32_f32_e32 v45, v47
	s_delay_alu instid0(VALU_DEP_2) | instskip(NEXT) | instid1(TRANS32_DEP_1)
	v_exp_f32_e32 v44, v44
	v_ldexp_f32 v44, v44, v45
	s_wait_alu 0xfffd
	s_delay_alu instid0(VALU_DEP_1) | instskip(SKIP_2) | instid1(VALU_DEP_2)
	v_cndmask_b32_e32 v44, 0, v44, vcc_lo
	v_cmp_nlt_f32_e32 vcc_lo, 0x42b17218, v43
	s_wait_alu 0xfffd
	v_cndmask_b32_e32 v43, 0x7f800000, v44, vcc_lo
	v_sub_f32_e32 v44, v124, v0
	s_delay_alu instid0(VALU_DEP_2) | instskip(NEXT) | instid1(VALU_DEP_2)
	v_cvt_f16_f32_e32 v47, v43
	v_mul_f32_e32 v45, 0x3fb8aa3b, v44
	v_cmp_ngt_f32_e32 vcc_lo, 0xc2ce8ed0, v44
	s_delay_alu instid0(VALU_DEP_2) | instskip(SKIP_1) | instid1(VALU_DEP_2)
	v_fma_f32 v106, 0x3fb8aa3b, v44, -v45
	v_rndne_f32_e32 v116, v45
	v_fmac_f32_e32 v106, 0x32a5705f, v44
	s_delay_alu instid0(VALU_DEP_2) | instskip(NEXT) | instid1(VALU_DEP_1)
	v_sub_f32_e32 v45, v45, v116
	v_add_f32_e32 v45, v45, v106
	v_cvt_i32_f32_e32 v106, v116
	s_delay_alu instid0(VALU_DEP_2) | instskip(NEXT) | instid1(TRANS32_DEP_1)
	v_exp_f32_e32 v45, v45
	v_ldexp_f32 v45, v45, v106
	s_wait_alu 0xfffd
	s_delay_alu instid0(VALU_DEP_1) | instskip(SKIP_2) | instid1(VALU_DEP_2)
	v_cndmask_b32_e32 v45, 0, v45, vcc_lo
	v_cmp_nlt_f32_e32 vcc_lo, 0x42b17218, v44
	s_wait_alu 0xfffd
	v_cndmask_b32_e32 v44, 0x7f800000, v45, vcc_lo
	s_delay_alu instid0(VALU_DEP_1) | instskip(SKIP_2) | instid1(VALU_DEP_1)
	v_add_f32_e32 v43, v43, v44
	v_cvt_f16_f32_e32 v45, v44
	v_sub_f32_e32 v44, v107, v0
	v_mul_f32_e32 v106, 0x3fb8aa3b, v44
	v_cmp_ngt_f32_e32 vcc_lo, 0xc2ce8ed0, v44
	s_delay_alu instid0(VALU_DEP_2) | instskip(SKIP_1) | instid1(VALU_DEP_2)
	v_fma_f32 v107, 0x3fb8aa3b, v44, -v106
	v_rndne_f32_e32 v116, v106
	v_fmac_f32_e32 v107, 0x32a5705f, v44
	s_delay_alu instid0(VALU_DEP_2) | instskip(NEXT) | instid1(VALU_DEP_1)
	v_sub_f32_e32 v106, v106, v116
	v_add_f32_e32 v106, v106, v107
	v_cvt_i32_f32_e32 v107, v116
	s_delay_alu instid0(VALU_DEP_2) | instskip(NEXT) | instid1(TRANS32_DEP_1)
	v_exp_f32_e32 v106, v106
	v_ldexp_f32 v106, v106, v107
	s_wait_alu 0xfffd
	s_delay_alu instid0(VALU_DEP_1) | instskip(SKIP_2) | instid1(VALU_DEP_2)
	v_cndmask_b32_e32 v106, 0, v106, vcc_lo
	v_cmp_nlt_f32_e32 vcc_lo, 0x42b17218, v44
	s_wait_alu 0xfffd
	v_cndmask_b32_e32 v44, 0x7f800000, v106, vcc_lo
	v_sub_f32_e32 v106, v112, v0
	s_delay_alu instid0(VALU_DEP_2) | instskip(NEXT) | instid1(VALU_DEP_2)
	v_add_f32_e32 v43, v44, v43
	v_mul_f32_e32 v107, 0x3fb8aa3b, v106
	v_cmp_ngt_f32_e32 vcc_lo, 0xc2ce8ed0, v106
	v_cvt_f16_f32_e32 v44, v44
	s_delay_alu instid0(VALU_DEP_3) | instskip(SKIP_1) | instid1(VALU_DEP_1)
	v_fma_f32 v112, 0x3fb8aa3b, v106, -v107
	v_rndne_f32_e32 v116, v107
	v_dual_fmac_f32 v112, 0x32a5705f, v106 :: v_dual_sub_f32 v107, v107, v116
	v_sub_f32_e32 v49, v49, v3
	v_sub_f32_e32 v50, v50, v3
	s_delay_alu instid0(VALU_DEP_3) | instskip(SKIP_1) | instid1(VALU_DEP_2)
	v_dual_sub_f32 v46, v46, v3 :: v_dual_add_f32 v107, v107, v112
	v_cvt_i32_f32_e32 v112, v116
	v_exp_f32_e32 v107, v107
	s_delay_alu instid0(TRANS32_DEP_1) | instskip(SKIP_1) | instid1(VALU_DEP_1)
	v_ldexp_f32 v107, v107, v112
	s_wait_alu 0xfffd
	v_cndmask_b32_e32 v107, 0, v107, vcc_lo
	v_cmp_nlt_f32_e32 vcc_lo, 0x42b17218, v106
	s_wait_alu 0xfffd
	s_delay_alu instid0(VALU_DEP_2) | instskip(SKIP_1) | instid1(VALU_DEP_2)
	v_cndmask_b32_e32 v107, 0x7f800000, v107, vcc_lo
	v_cmp_ngt_f32_e32 vcc_lo, 0xc2ce8ed0, v48
	v_add_f32_e32 v106, v107, v43
	v_cvt_f16_f32_e32 v43, v107
	v_mul_f32_e32 v107, 0x3fb8aa3b, v48
	s_delay_alu instid0(VALU_DEP_1) | instskip(SKIP_1) | instid1(VALU_DEP_2)
	v_fma_f32 v112, 0x3fb8aa3b, v48, -v107
	v_rndne_f32_e32 v116, v107
	v_fmac_f32_e32 v112, 0x32a5705f, v48
	s_delay_alu instid0(VALU_DEP_2) | instskip(NEXT) | instid1(VALU_DEP_1)
	v_sub_f32_e32 v107, v107, v116
	v_add_f32_e32 v107, v107, v112
	v_cvt_i32_f32_e32 v112, v116
	v_sub_f32_e32 v116, v41, v1
	v_sub_f32_e32 v41, v121, v1
	s_delay_alu instid0(VALU_DEP_4) | instskip(NEXT) | instid1(TRANS32_DEP_1)
	v_exp_f32_e32 v107, v107
	v_ldexp_f32 v107, v107, v112
	s_wait_alu 0xfffd
	s_delay_alu instid0(VALU_DEP_1) | instskip(SKIP_2) | instid1(VALU_DEP_2)
	v_cndmask_b32_e32 v107, 0, v107, vcc_lo
	v_cmp_nlt_f32_e32 vcc_lo, 0x42b17218, v48
	s_wait_alu 0xfffd
	v_cndmask_b32_e32 v48, 0x7f800000, v107, vcc_lo
	s_delay_alu instid0(VALU_DEP_1) | instskip(SKIP_1) | instid1(VALU_DEP_1)
	v_fmac_f32_e32 v106, v42, v48
	v_cvt_f16_f32_e32 v42, v48
	v_and_b32_e32 v42, 0xffff, v42
	s_delay_alu instid0(VALU_DEP_1) | instskip(SKIP_1) | instid1(VALU_DEP_1)
	v_mul_u32_u24_e32 v112, 0x10001, v42
	v_mul_f32_e32 v42, 0x3fb8aa3b, v41
	v_fma_f32 v48, 0x3fb8aa3b, v41, -v42
	v_rndne_f32_e32 v107, v42
	s_delay_alu instid0(VALU_DEP_1) | instskip(NEXT) | instid1(VALU_DEP_3)
	v_sub_f32_e32 v42, v42, v107
	v_fmac_f32_e32 v48, 0x32a5705f, v41
	v_cmp_ngt_f32_e32 vcc_lo, 0xc2ce8ed0, v41
	s_delay_alu instid0(VALU_DEP_2) | instskip(SKIP_1) | instid1(VALU_DEP_2)
	v_add_f32_e32 v42, v42, v48
	v_cvt_i32_f32_e32 v48, v107
	v_exp_f32_e32 v42, v42
	s_delay_alu instid0(TRANS32_DEP_1) | instskip(SKIP_1) | instid1(VALU_DEP_1)
	v_ldexp_f32 v42, v42, v48
	s_wait_alu 0xfffd
	v_cndmask_b32_e32 v42, 0, v42, vcc_lo
	v_cmp_nlt_f32_e32 vcc_lo, 0x42b17218, v41
	s_wait_alu 0xfffd
	s_delay_alu instid0(VALU_DEP_2) | instskip(NEXT) | instid1(VALU_DEP_1)
	v_dual_cndmask_b32 v41, 0x7f800000, v42 :: v_dual_sub_f32 v42, v123, v1
	v_mul_f32_e32 v48, 0x3fb8aa3b, v42
	v_cmp_ngt_f32_e32 vcc_lo, 0xc2ce8ed0, v42
	s_delay_alu instid0(VALU_DEP_2) | instskip(SKIP_1) | instid1(VALU_DEP_2)
	v_fma_f32 v107, 0x3fb8aa3b, v42, -v48
	v_rndne_f32_e32 v118, v48
	v_fmac_f32_e32 v107, 0x32a5705f, v42
	s_delay_alu instid0(VALU_DEP_2) | instskip(NEXT) | instid1(VALU_DEP_1)
	v_sub_f32_e32 v48, v48, v118
	v_add_f32_e32 v48, v48, v107
	v_cvt_i32_f32_e32 v107, v118
	v_cvt_f16_f32_e32 v117, v41
	s_delay_alu instid0(VALU_DEP_3) | instskip(NEXT) | instid1(TRANS32_DEP_1)
	v_exp_f32_e32 v48, v48
	v_ldexp_f32 v48, v48, v107
	s_wait_alu 0xfffd
	s_delay_alu instid0(VALU_DEP_1) | instskip(SKIP_2) | instid1(VALU_DEP_2)
	v_cndmask_b32_e32 v48, 0, v48, vcc_lo
	v_cmp_nlt_f32_e32 vcc_lo, 0x42b17218, v42
	s_wait_alu 0xfffd
	v_cndmask_b32_e32 v42, 0x7f800000, v48, vcc_lo
	s_delay_alu instid0(VALU_DEP_1) | instskip(SKIP_2) | instid1(VALU_DEP_1)
	v_add_f32_e32 v41, v41, v42
	v_cvt_f16_f32_e32 v48, v42
	v_sub_f32_e32 v42, v125, v1
	v_mul_f32_e32 v107, 0x3fb8aa3b, v42
	v_cmp_ngt_f32_e32 vcc_lo, 0xc2ce8ed0, v42
	s_delay_alu instid0(VALU_DEP_2) | instskip(SKIP_1) | instid1(VALU_DEP_1)
	v_fma_f32 v118, 0x3fb8aa3b, v42, -v107
	v_rndne_f32_e32 v119, v107
	v_dual_fmac_f32 v118, 0x32a5705f, v42 :: v_dual_sub_f32 v107, v107, v119
	s_delay_alu instid0(VALU_DEP_1) | instskip(SKIP_1) | instid1(VALU_DEP_2)
	v_add_f32_e32 v107, v107, v118
	v_cvt_i32_f32_e32 v118, v119
	v_exp_f32_e32 v107, v107
	s_delay_alu instid0(TRANS32_DEP_1) | instskip(SKIP_1) | instid1(VALU_DEP_1)
	v_ldexp_f32 v107, v107, v118
	s_wait_alu 0xfffd
	v_cndmask_b32_e32 v107, 0, v107, vcc_lo
	v_cmp_nlt_f32_e32 vcc_lo, 0x42b17218, v42
	s_wait_alu 0xfffd
	s_delay_alu instid0(VALU_DEP_2) | instskip(NEXT) | instid1(VALU_DEP_1)
	v_dual_cndmask_b32 v42, 0x7f800000, v107 :: v_dual_sub_f32 v107, v113, v1
	v_mul_f32_e32 v113, 0x3fb8aa3b, v107
	v_cmp_ngt_f32_e32 vcc_lo, 0xc2ce8ed0, v107
	s_delay_alu instid0(VALU_DEP_2) | instskip(SKIP_3) | instid1(VALU_DEP_4)
	v_fma_f32 v118, 0x3fb8aa3b, v107, -v113
	v_rndne_f32_e32 v119, v113
	v_add_f32_e32 v41, v42, v41
	v_cvt_f16_f32_e32 v42, v42
	v_fmac_f32_e32 v118, 0x32a5705f, v107
	s_delay_alu instid0(VALU_DEP_4) | instskip(NEXT) | instid1(VALU_DEP_1)
	v_sub_f32_e32 v113, v113, v119
	v_add_f32_e32 v113, v113, v118
	v_cvt_i32_f32_e32 v118, v119
	s_delay_alu instid0(VALU_DEP_2) | instskip(NEXT) | instid1(TRANS32_DEP_1)
	v_exp_f32_e32 v113, v113
	v_ldexp_f32 v113, v113, v118
	s_wait_alu 0xfffd
	s_delay_alu instid0(VALU_DEP_1) | instskip(SKIP_2) | instid1(VALU_DEP_2)
	v_cndmask_b32_e32 v113, 0, v113, vcc_lo
	v_cmp_nlt_f32_e32 vcc_lo, 0x42b17218, v107
	s_wait_alu 0xfffd
	v_cndmask_b32_e32 v113, 0x7f800000, v113, vcc_lo
	v_cmp_ngt_f32_e32 vcc_lo, 0xc2ce8ed0, v116
	s_delay_alu instid0(VALU_DEP_2) | instskip(SKIP_2) | instid1(VALU_DEP_1)
	v_add_f32_e32 v107, v113, v41
	v_cvt_f16_f32_e32 v41, v113
	v_mul_f32_e32 v113, 0x3fb8aa3b, v116
	v_fma_f32 v118, 0x3fb8aa3b, v116, -v113
	v_rndne_f32_e32 v119, v113
	s_delay_alu instid0(VALU_DEP_1) | instskip(NEXT) | instid1(VALU_DEP_1)
	v_dual_fmac_f32 v118, 0x32a5705f, v116 :: v_dual_sub_f32 v113, v113, v119
	v_add_f32_e32 v113, v113, v118
	v_cvt_i32_f32_e32 v118, v119
	s_delay_alu instid0(VALU_DEP_2) | instskip(NEXT) | instid1(TRANS32_DEP_1)
	v_exp_f32_e32 v113, v113
	v_ldexp_f32 v113, v113, v118
	s_wait_alu 0xfffd
	s_delay_alu instid0(VALU_DEP_1) | instskip(SKIP_2) | instid1(VALU_DEP_2)
	v_cndmask_b32_e32 v113, 0, v113, vcc_lo
	v_cmp_nlt_f32_e32 vcc_lo, 0x42b17218, v116
	s_wait_alu 0xfffd
	v_cndmask_b32_e32 v113, 0x7f800000, v113, vcc_lo
	s_delay_alu instid0(VALU_DEP_1) | instskip(SKIP_1) | instid1(VALU_DEP_1)
	v_fmac_f32_e32 v107, v40, v113
	v_cvt_f16_f32_e32 v40, v113
	v_and_b32_e32 v40, 0xffff, v40
	s_delay_alu instid0(VALU_DEP_1) | instskip(SKIP_1) | instid1(VALU_DEP_1)
	v_mul_u32_u24_e32 v113, 0x10001, v40
	v_sub_f32_e32 v40, v115, v2
	v_mul_f32_e32 v115, 0x3fb8aa3b, v40
	v_cmp_ngt_f32_e32 vcc_lo, 0xc2ce8ed0, v40
	s_delay_alu instid0(VALU_DEP_2) | instskip(SKIP_1) | instid1(VALU_DEP_1)
	v_fma_f32 v116, 0x3fb8aa3b, v40, -v115
	v_rndne_f32_e32 v118, v115
	v_dual_fmac_f32 v116, 0x32a5705f, v40 :: v_dual_sub_f32 v115, v115, v118
	s_delay_alu instid0(VALU_DEP_1) | instskip(SKIP_1) | instid1(VALU_DEP_2)
	v_add_f32_e32 v115, v115, v116
	v_cvt_i32_f32_e32 v116, v118
	v_exp_f32_e32 v115, v115
	s_delay_alu instid0(TRANS32_DEP_1) | instskip(SKIP_1) | instid1(VALU_DEP_1)
	v_ldexp_f32 v115, v115, v116
	s_wait_alu 0xfffd
	v_cndmask_b32_e32 v115, 0, v115, vcc_lo
	v_cmp_nlt_f32_e32 vcc_lo, 0x42b17218, v40
	s_wait_alu 0xfffd
	s_delay_alu instid0(VALU_DEP_2) | instskip(NEXT) | instid1(VALU_DEP_1)
	v_dual_cndmask_b32 v40, 0x7f800000, v115 :: v_dual_sub_f32 v115, v127, v2
	v_cvt_f16_f32_e32 v116, v40
	s_delay_alu instid0(VALU_DEP_2) | instskip(SKIP_1) | instid1(VALU_DEP_2)
	v_mul_f32_e32 v118, 0x3fb8aa3b, v115
	v_cmp_ngt_f32_e32 vcc_lo, 0xc2ce8ed0, v115
	v_fma_f32 v119, 0x3fb8aa3b, v115, -v118
	v_rndne_f32_e32 v120, v118
	s_delay_alu instid0(VALU_DEP_1) | instskip(NEXT) | instid1(VALU_DEP_1)
	v_dual_fmac_f32 v119, 0x32a5705f, v115 :: v_dual_sub_f32 v118, v118, v120
	v_add_f32_e32 v118, v118, v119
	v_cvt_i32_f32_e32 v119, v120
	s_delay_alu instid0(VALU_DEP_2) | instskip(NEXT) | instid1(TRANS32_DEP_1)
	v_exp_f32_e32 v118, v118
	v_ldexp_f32 v118, v118, v119
	s_wait_alu 0xfffd
	s_delay_alu instid0(VALU_DEP_1) | instskip(SKIP_2) | instid1(VALU_DEP_2)
	v_cndmask_b32_e32 v118, 0, v118, vcc_lo
	v_cmp_nlt_f32_e32 vcc_lo, 0x42b17218, v115
	s_wait_alu 0xfffd
	v_cndmask_b32_e32 v115, 0x7f800000, v118, vcc_lo
	v_cmp_ngt_f32_e32 vcc_lo, 0xc2ce8ed0, v108
	s_delay_alu instid0(VALU_DEP_2) | instskip(SKIP_2) | instid1(VALU_DEP_1)
	v_add_f32_e32 v40, v40, v115
	v_cvt_f16_f32_e32 v118, v115
	v_mul_f32_e32 v115, 0x3fb8aa3b, v108
	v_fma_f32 v119, 0x3fb8aa3b, v108, -v115
	v_rndne_f32_e32 v120, v115
	s_delay_alu instid0(VALU_DEP_2) | instskip(NEXT) | instid1(VALU_DEP_2)
	v_fmac_f32_e32 v119, 0x32a5705f, v108
	v_sub_f32_e32 v115, v115, v120
	s_delay_alu instid0(VALU_DEP_1) | instskip(SKIP_1) | instid1(VALU_DEP_2)
	v_add_f32_e32 v115, v115, v119
	v_cvt_i32_f32_e32 v119, v120
	v_exp_f32_e32 v115, v115
	s_delay_alu instid0(TRANS32_DEP_1) | instskip(SKIP_1) | instid1(VALU_DEP_1)
	v_ldexp_f32 v115, v115, v119
	s_wait_alu 0xfffd
	v_cndmask_b32_e32 v115, 0, v115, vcc_lo
	v_cmp_nlt_f32_e32 vcc_lo, 0x42b17218, v108
	s_wait_alu 0xfffd
	s_delay_alu instid0(VALU_DEP_2) | instskip(NEXT) | instid1(VALU_DEP_1)
	v_cndmask_b32_e32 v108, 0x7f800000, v115, vcc_lo
	v_add_f32_e32 v40, v108, v40
	v_cvt_f16_f32_e32 v119, v108
	v_sub_f32_e32 v108, v114, v2
	s_delay_alu instid0(VALU_DEP_1) | instskip(SKIP_1) | instid1(VALU_DEP_2)
	v_dual_sub_f32 v39, v39, v2 :: v_dual_mul_f32 v114, 0x3fb8aa3b, v108
	v_cmp_ngt_f32_e32 vcc_lo, 0xc2ce8ed0, v108
	v_fma_f32 v115, 0x3fb8aa3b, v108, -v114
	v_rndne_f32_e32 v120, v114
	s_delay_alu instid0(VALU_DEP_2) | instskip(NEXT) | instid1(VALU_DEP_2)
	v_fmac_f32_e32 v115, 0x32a5705f, v108
	v_sub_f32_e32 v114, v114, v120
	s_delay_alu instid0(VALU_DEP_1) | instskip(SKIP_1) | instid1(VALU_DEP_2)
	v_add_f32_e32 v114, v114, v115
	v_cvt_i32_f32_e32 v115, v120
	v_exp_f32_e32 v114, v114
	s_delay_alu instid0(TRANS32_DEP_1) | instskip(SKIP_1) | instid1(VALU_DEP_1)
	v_ldexp_f32 v114, v114, v115
	s_wait_alu 0xfffd
	v_cndmask_b32_e32 v114, 0, v114, vcc_lo
	v_cmp_nlt_f32_e32 vcc_lo, 0x42b17218, v108
	s_wait_alu 0xfffd
	s_delay_alu instid0(VALU_DEP_2) | instskip(SKIP_1) | instid1(VALU_DEP_2)
	v_cndmask_b32_e32 v114, 0x7f800000, v114, vcc_lo
	v_cmp_ngt_f32_e32 vcc_lo, 0xc2ce8ed0, v39
	v_add_f32_e32 v108, v114, v40
	v_cvt_f16_f32_e32 v40, v114
	v_mul_f32_e32 v114, 0x3fb8aa3b, v39
	s_delay_alu instid0(VALU_DEP_1) | instskip(SKIP_1) | instid1(VALU_DEP_1)
	v_fma_f32 v115, 0x3fb8aa3b, v39, -v114
	v_rndne_f32_e32 v120, v114
	v_dual_fmac_f32 v115, 0x32a5705f, v39 :: v_dual_sub_f32 v114, v114, v120
	s_delay_alu instid0(VALU_DEP_1) | instskip(SKIP_1) | instid1(VALU_DEP_2)
	v_add_f32_e32 v114, v114, v115
	v_cvt_i32_f32_e32 v115, v120
	v_exp_f32_e32 v114, v114
	s_delay_alu instid0(TRANS32_DEP_1) | instskip(SKIP_1) | instid1(VALU_DEP_1)
	v_ldexp_f32 v114, v114, v115
	s_wait_alu 0xfffd
	v_cndmask_b32_e32 v114, 0, v114, vcc_lo
	v_cmp_nlt_f32_e32 vcc_lo, 0x42b17218, v39
	s_wait_alu 0xfffd
	s_delay_alu instid0(VALU_DEP_2) | instskip(NEXT) | instid1(VALU_DEP_1)
	v_cndmask_b32_e32 v39, 0x7f800000, v114, vcc_lo
	v_fmac_f32_e32 v108, v38, v39
	v_cvt_f16_f32_e32 v38, v39
	s_delay_alu instid0(VALU_DEP_1) | instskip(NEXT) | instid1(VALU_DEP_1)
	v_and_b32_e32 v38, 0xffff, v38
	v_mul_u32_u24_e32 v114, 0x10001, v38
	v_sub_f32_e32 v38, v51, v3
	s_delay_alu instid0(VALU_DEP_1) | instskip(SKIP_1) | instid1(VALU_DEP_2)
	v_mul_f32_e32 v39, 0x3fb8aa3b, v38
	v_cmp_ngt_f32_e32 vcc_lo, 0xc2ce8ed0, v38
	v_fma_f32 v51, 0x3fb8aa3b, v38, -v39
	v_rndne_f32_e32 v115, v39
	s_delay_alu instid0(VALU_DEP_2) | instskip(NEXT) | instid1(VALU_DEP_2)
	v_fmac_f32_e32 v51, 0x32a5705f, v38
	v_sub_f32_e32 v39, v39, v115
	s_delay_alu instid0(VALU_DEP_1) | instskip(SKIP_1) | instid1(VALU_DEP_2)
	v_add_f32_e32 v39, v39, v51
	v_cvt_i32_f32_e32 v51, v115
	v_exp_f32_e32 v39, v39
	s_delay_alu instid0(TRANS32_DEP_1) | instskip(SKIP_2) | instid1(VALU_DEP_2)
	v_ldexp_f32 v39, v39, v51
	v_mul_f32_e32 v51, 0x3fb8aa3b, v50
	s_wait_alu 0xfffd
	v_cndmask_b32_e32 v39, 0, v39, vcc_lo
	v_cmp_nlt_f32_e32 vcc_lo, 0x42b17218, v38
	s_delay_alu instid0(VALU_DEP_3) | instskip(SKIP_3) | instid1(VALU_DEP_3)
	v_fma_f32 v115, 0x3fb8aa3b, v50, -v51
	v_rndne_f32_e32 v120, v51
	s_wait_alu 0xfffd
	v_cndmask_b32_e32 v38, 0x7f800000, v39, vcc_lo
	v_fmac_f32_e32 v115, 0x32a5705f, v50
	s_delay_alu instid0(VALU_DEP_3) | instskip(SKIP_1) | instid1(VALU_DEP_4)
	v_sub_f32_e32 v51, v51, v120
	v_cmp_ngt_f32_e32 vcc_lo, 0xc2ce8ed0, v50
	v_cvt_f16_f32_e32 v39, v38
	s_delay_alu instid0(VALU_DEP_3) | instskip(SKIP_1) | instid1(VALU_DEP_2)
	v_add_f32_e32 v51, v51, v115
	v_cvt_i32_f32_e32 v115, v120
	v_exp_f32_e32 v51, v51
	s_delay_alu instid0(TRANS32_DEP_1) | instskip(SKIP_1) | instid1(VALU_DEP_1)
	v_ldexp_f32 v51, v51, v115
	s_wait_alu 0xfffd
	v_cndmask_b32_e32 v51, 0, v51, vcc_lo
	v_cmp_nlt_f32_e32 vcc_lo, 0x42b17218, v50
	s_wait_alu 0xfffd
	s_delay_alu instid0(VALU_DEP_2) | instskip(SKIP_2) | instid1(VALU_DEP_2)
	v_cndmask_b32_e32 v50, 0x7f800000, v51, vcc_lo
	v_mul_f32_e32 v51, 0x3fb8aa3b, v49
	v_cmp_ngt_f32_e32 vcc_lo, 0xc2ce8ed0, v49
	v_fma_f32 v115, 0x3fb8aa3b, v49, -v51
	v_rndne_f32_e32 v120, v51
	s_delay_alu instid0(VALU_DEP_2) | instskip(NEXT) | instid1(VALU_DEP_2)
	v_fmac_f32_e32 v115, 0x32a5705f, v49
	v_dual_sub_f32 v51, v51, v120 :: v_dual_add_f32 v38, v38, v50
	v_cvt_f16_f32_e32 v50, v50
	s_delay_alu instid0(VALU_DEP_2) | instskip(SKIP_1) | instid1(VALU_DEP_2)
	v_add_f32_e32 v51, v51, v115
	v_cvt_i32_f32_e32 v115, v120
	v_exp_f32_e32 v51, v51
	s_delay_alu instid0(TRANS32_DEP_1) | instskip(SKIP_1) | instid1(VALU_DEP_1)
	v_ldexp_f32 v51, v51, v115
	s_wait_alu 0xfffd
	v_cndmask_b32_e32 v51, 0, v51, vcc_lo
	v_cmp_nlt_f32_e32 vcc_lo, 0x42b17218, v49
	s_wait_alu 0xfffd
	s_delay_alu instid0(VALU_DEP_2) | instskip(SKIP_2) | instid1(VALU_DEP_3)
	v_cndmask_b32_e32 v49, 0x7f800000, v51, vcc_lo
	v_mul_f32_e32 v51, 0x3fb8aa3b, v46
	v_cmp_ngt_f32_e32 vcc_lo, 0xc2ce8ed0, v46
	v_add_f32_e32 v38, v49, v38
	s_delay_alu instid0(VALU_DEP_3) | instskip(SKIP_2) | instid1(VALU_DEP_3)
	v_fma_f32 v115, 0x3fb8aa3b, v46, -v51
	v_rndne_f32_e32 v120, v51
	v_cvt_f16_f32_e32 v49, v49
	v_fmac_f32_e32 v115, 0x32a5705f, v46
	s_delay_alu instid0(VALU_DEP_3) | instskip(NEXT) | instid1(VALU_DEP_1)
	v_sub_f32_e32 v51, v51, v120
	v_add_f32_e32 v51, v51, v115
	v_cvt_i32_f32_e32 v115, v120
	s_delay_alu instid0(VALU_DEP_2) | instskip(NEXT) | instid1(TRANS32_DEP_1)
	v_exp_f32_e32 v51, v51
	v_ldexp_f32 v51, v51, v115
	s_wait_alu 0xfffd
	s_delay_alu instid0(VALU_DEP_1) | instskip(SKIP_2) | instid1(VALU_DEP_2)
	v_cndmask_b32_e32 v51, 0, v51, vcc_lo
	v_cmp_nlt_f32_e32 vcc_lo, 0x42b17218, v46
	s_wait_alu 0xfffd
	v_cndmask_b32_e32 v46, 0x7f800000, v51, vcc_lo
	s_delay_alu instid0(VALU_DEP_1) | instskip(NEXT) | instid1(VALU_DEP_1)
	v_dual_add_f32 v38, v46, v38 :: v_dual_sub_f32 v37, v37, v3
	v_mul_f32_e32 v51, 0x3fb8aa3b, v37
	v_cmp_ngt_f32_e32 vcc_lo, 0xc2ce8ed0, v37
	s_delay_alu instid0(VALU_DEP_2) | instskip(SKIP_1) | instid1(VALU_DEP_2)
	v_fma_f32 v115, 0x3fb8aa3b, v37, -v51
	v_rndne_f32_e32 v120, v51
	v_fmac_f32_e32 v115, 0x32a5705f, v37
	s_delay_alu instid0(VALU_DEP_2) | instskip(SKIP_1) | instid1(VALU_DEP_2)
	v_sub_f32_e32 v51, v51, v120
	v_cvt_f16_f32_e32 v46, v46
	v_add_f32_e32 v51, v51, v115
	v_cvt_i32_f32_e32 v115, v120
	s_delay_alu instid0(VALU_DEP_2) | instskip(NEXT) | instid1(TRANS32_DEP_1)
	v_exp_f32_e32 v51, v51
	v_ldexp_f32 v51, v51, v115
	s_wait_alu 0xfffd
	s_delay_alu instid0(VALU_DEP_1) | instskip(SKIP_2) | instid1(VALU_DEP_2)
	v_cndmask_b32_e32 v51, 0, v51, vcc_lo
	v_cmp_nlt_f32_e32 vcc_lo, 0x42b17218, v37
	s_wait_alu 0xfffd
	v_cndmask_b32_e32 v37, 0x7f800000, v51, vcc_lo
	v_dual_mov_b32 v51, v72 :: v_dual_mov_b32 v72, v38
	v_pack_b32_f16 v38, v45, v48
	s_delay_alu instid0(VALU_DEP_2) | instskip(SKIP_1) | instid1(VALU_DEP_1)
	v_fmac_f32_e32 v72, v51, v37
	v_cvt_f16_f32_e32 v37, v37
	v_and_b32_e32 v37, 0xffff, v37
	s_delay_alu instid0(VALU_DEP_1) | instskip(NEXT) | instid1(VALU_DEP_1)
	v_mul_u32_u24_e32 v37, 0x10001, v37
	v_pk_mul_f16 v115, v36, v37
	v_pack_b32_f16 v37, v116, v39
	v_pack_b32_f16 v36, v47, v117
	;; [unrolled: 1-line block ×3, first 2 shown]
	ds_store_2addr_b64 v90, v[36:37], v[38:39] offset1:32
	v_pack_b32_f16 v37, v119, v49
	v_pack_b32_f16 v36, v44, v42
	;; [unrolled: 1-line block ×4, first 2 shown]
	ds_store_2addr_b64 v90, v[36:37], v[38:39] offset0:64 offset1:96
	s_wait_alu 0xfffe
	v_add_co_u32 v36, vcc_lo, s24, v20
	s_wait_alu 0xfffd
	v_add_co_ci_u32_e64 v37, null, s25, v21, vcc_lo
	s_delay_alu instid0(VALU_DEP_2) | instskip(SKIP_1) | instid1(VALU_DEP_2)
	v_add_co_u32 v50, vcc_lo, v36, v89
	s_wait_alu 0xfffd
	v_add_co_ci_u32_e64 v51, null, 0, v37, vcc_lo
	v_add_co_u32 v36, vcc_lo, s24, v22
	s_wait_alu 0xfffd
	v_add_co_ci_u32_e64 v37, null, s25, v23, vcc_lo
	global_load_b128 v[116:119], v[50:51], off
	v_add_co_u32 v48, vcc_lo, v36, v89
	s_wait_alu 0xfffd
	v_add_co_ci_u32_e64 v49, null, 0, v37, vcc_lo
	v_add_co_u32 v36, vcc_lo, s24, v24
	s_wait_alu 0xfffd
	v_add_co_ci_u32_e64 v37, null, s25, v25, vcc_lo
	global_load_b128 v[48:51], v[48:49], off
	v_add_co_u32 v46, vcc_lo, v36, v89
	s_wait_alu 0xfffd
	v_add_co_ci_u32_e64 v47, null, 0, v37, vcc_lo
	v_add_co_u32 v36, vcc_lo, s24, v26
	s_wait_alu 0xfffd
	v_add_co_ci_u32_e64 v37, null, s25, v27, vcc_lo
	s_delay_alu instid0(VALU_DEP_2) | instskip(SKIP_1) | instid1(VALU_DEP_2)
	v_add_co_u32 v44, vcc_lo, v36, v89
	s_wait_alu 0xfffd
	v_add_co_ci_u32_e64 v45, null, 0, v37, vcc_lo
	v_add_co_u32 v36, vcc_lo, s24, v28
	s_wait_alu 0xfffd
	v_add_co_ci_u32_e64 v37, null, s25, v29, vcc_lo
	s_delay_alu instid0(VALU_DEP_2) | instskip(SKIP_1) | instid1(VALU_DEP_2)
	;; [unrolled: 7-line block ×5, first 2 shown]
	v_add_co_u32 v36, vcc_lo, v36, v89
	s_wait_alu 0xfffd
	v_add_co_ci_u32_e64 v37, null, 0, v37, vcc_lo
	s_wait_loadcnt 0x1
	ds_store_b128 v79, v[116:119]
	s_wait_loadcnt 0x0
	ds_store_b128 v82, v[48:51]
	global_load_b128 v[46:49], v[46:47], off
	s_wait_loadcnt 0x0
	ds_store_b128 v83, v[46:49]
	global_load_b128 v[44:47], v[44:45], off
	;; [unrolled: 3-line block ×6, first 2 shown]
	s_wait_loadcnt 0x0
	ds_store_b128 v88, v[36:39]
	s_wait_dscnt 0x0
	s_barrier_signal -1
	s_barrier_wait -1
	global_inv scope:SCOPE_SE
	ds_load_2addr_b32 v[116:117], v61 offset1:32
	ds_load_b128 v[36:39], v81
	ds_load_b128 v[40:43], v81 offset:16
	ds_load_b128 v[44:47], v81 offset:32
	;; [unrolled: 1-line block ×3, first 2 shown]
	s_wait_dscnt 0x3
	v_lshrrev_b32_e32 v118, 16, v36
	v_and_b32_e32 v36, 0xffff, v36
	v_lshrrev_b32_e32 v119, 16, v37
	v_and_b32_e32 v37, 0xffff, v37
	s_delay_alu instid0(VALU_DEP_4) | instskip(NEXT) | instid1(VALU_DEP_4)
	v_mul_u32_u24_e32 v118, 0x10001, v118
	v_mul_u32_u24_e32 v36, 0x10001, v36
	s_delay_alu instid0(VALU_DEP_4) | instskip(NEXT) | instid1(VALU_DEP_4)
	v_mul_u32_u24_e32 v119, 0x10001, v119
	v_mul_u32_u24_e32 v37, 0x10001, v37
	s_delay_alu instid0(VALU_DEP_3) | instskip(NEXT) | instid1(VALU_DEP_2)
	v_pk_mul_f16 v36, v116, v36
	v_pk_mul_f16 v37, v116, v37
	s_delay_alu instid0(VALU_DEP_2)
	v_pk_fma_f16 v36, v111, v112, v36
	v_pk_mul_f16 v111, v116, v118
	v_lshrrev_b32_e32 v112, 16, v39
	v_and_b32_e32 v39, 0xffff, v39
	v_pk_fma_f16 v37, v109, v114, v37
	v_pk_fma_f16 v109, v116, v119, v115
	;; [unrolled: 1-line block ×3, first 2 shown]
	v_lshrrev_b32_e32 v111, 16, v38
	v_and_b32_e32 v38, 0xffff, v38
	v_mul_u32_u24_e32 v39, 0x10001, v39
	v_mul_u32_u24_e32 v112, 0x10001, v112
	s_delay_alu instid0(VALU_DEP_4) | instskip(NEXT) | instid1(VALU_DEP_4)
	v_mul_u32_u24_e32 v111, 0x10001, v111
	v_mul_u32_u24_e32 v38, 0x10001, v38
	s_delay_alu instid0(VALU_DEP_4) | instskip(NEXT) | instid1(VALU_DEP_4)
	v_pk_fma_f16 v39, v117, v39, v37
	v_pk_fma_f16 v109, v117, v112, v109
	s_wait_dscnt 0x2
	v_lshrrev_b32_e32 v112, 16, v41
	v_pk_fma_f16 v110, v117, v111, v110
	v_pk_fma_f16 v38, v117, v38, v36
	ds_load_2addr_b32 v[36:37], v61 offset0:64 offset1:96
	v_lshrrev_b32_e32 v111, 16, v40
	v_and_b32_e32 v40, 0xffff, v40
	v_and_b32_e32 v41, 0xffff, v41
	v_mul_u32_u24_e32 v112, 0x10001, v112
	s_delay_alu instid0(VALU_DEP_4) | instskip(NEXT) | instid1(VALU_DEP_4)
	v_mul_u32_u24_e32 v111, 0x10001, v111
	v_mul_u32_u24_e32 v40, 0x10001, v40
	s_delay_alu instid0(VALU_DEP_4) | instskip(SKIP_1) | instid1(VALU_DEP_2)
	v_mul_u32_u24_e32 v41, 0x10001, v41
	s_wait_dscnt 0x0
	v_pk_fma_f16 v38, v36, v40, v38
	v_pk_fma_f16 v40, v36, v111, v110
	s_delay_alu instid0(VALU_DEP_3)
	v_pk_fma_f16 v39, v36, v41, v39
	v_pk_fma_f16 v36, v36, v112, v109
	v_lshrrev_b32_e32 v41, 16, v42
	v_lshrrev_b32_e32 v109, 16, v43
	v_and_b32_e32 v42, 0xffff, v42
	v_and_b32_e32 v43, 0xffff, v43
	s_delay_alu instid0(VALU_DEP_4) | instskip(NEXT) | instid1(VALU_DEP_4)
	v_mul_u32_u24_e32 v41, 0x10001, v41
	v_mul_u32_u24_e32 v109, 0x10001, v109
	s_delay_alu instid0(VALU_DEP_4) | instskip(NEXT) | instid1(VALU_DEP_4)
	v_mul_u32_u24_e32 v42, 0x10001, v42
	v_mul_u32_u24_e32 v43, 0x10001, v43
	s_delay_alu instid0(VALU_DEP_4) | instskip(NEXT) | instid1(VALU_DEP_4)
	v_pk_fma_f16 v40, v37, v41, v40
	v_pk_fma_f16 v41, v37, v109, v36
	s_delay_alu instid0(VALU_DEP_4) | instskip(NEXT) | instid1(VALU_DEP_4)
	v_pk_fma_f16 v38, v37, v42, v38
	v_pk_fma_f16 v39, v37, v43, v39
	ds_load_2addr_b32 v[36:37], v61 offset0:128 offset1:160
	v_lshrrev_b32_e32 v42, 16, v44
	v_lshrrev_b32_e32 v43, 16, v45
	v_and_b32_e32 v44, 0xffff, v44
	v_and_b32_e32 v45, 0xffff, v45
	s_delay_alu instid0(VALU_DEP_4) | instskip(NEXT) | instid1(VALU_DEP_4)
	v_mul_u32_u24_e32 v42, 0x10001, v42
	v_mul_u32_u24_e32 v43, 0x10001, v43
	s_delay_alu instid0(VALU_DEP_4) | instskip(NEXT) | instid1(VALU_DEP_4)
	v_mul_u32_u24_e32 v44, 0x10001, v44
	v_mul_u32_u24_e32 v45, 0x10001, v45
	s_wait_dscnt 0x0
	s_delay_alu instid0(VALU_DEP_2) | instskip(SKIP_1) | instid1(VALU_DEP_3)
	v_pk_fma_f16 v38, v36, v44, v38
	v_pk_fma_f16 v40, v36, v42, v40
	;; [unrolled: 1-line block ×4, first 2 shown]
	v_lshrrev_b32_e32 v41, 16, v46
	v_lshrrev_b32_e32 v42, 16, v47
	v_and_b32_e32 v43, 0xffff, v46
	v_and_b32_e32 v44, 0xffff, v47
	;; [unrolled: 1-line block ×3, first 2 shown]
	v_mul_u32_u24_e32 v41, 0x10001, v41
	v_mul_u32_u24_e32 v42, 0x10001, v42
	;; [unrolled: 1-line block ×5, first 2 shown]
	v_pk_fma_f16 v40, v37, v41, v40
	v_pk_fma_f16 v41, v37, v42, v36
	;; [unrolled: 1-line block ×4, first 2 shown]
	ds_load_2addr_b32 v[36:37], v61 offset0:192 offset1:224
	v_lshrrev_b32_e32 v42, 16, v48
	v_lshrrev_b32_e32 v43, 16, v49
	v_and_b32_e32 v44, 0xffff, v48
	s_delay_alu instid0(VALU_DEP_3) | instskip(NEXT) | instid1(VALU_DEP_3)
	v_mul_u32_u24_e32 v42, 0x10001, v42
	v_mul_u32_u24_e32 v43, 0x10001, v43
	s_delay_alu instid0(VALU_DEP_3) | instskip(SKIP_1) | instid1(VALU_DEP_1)
	v_mul_u32_u24_e32 v44, 0x10001, v44
	s_wait_dscnt 0x0
	v_pk_fma_f16 v38, v36, v44, v38
	v_pk_fma_f16 v40, v36, v42, v40
	;; [unrolled: 1-line block ×4, first 2 shown]
	v_lshrrev_b32_e32 v41, 16, v50
	v_lshrrev_b32_e32 v42, 16, v51
	v_and_b32_e32 v43, 0xffff, v50
	v_and_b32_e32 v44, 0xffff, v51
	s_delay_alu instid0(VALU_DEP_4) | instskip(NEXT) | instid1(VALU_DEP_4)
	v_mul_u32_u24_e32 v41, 0x10001, v41
	v_mul_u32_u24_e32 v42, 0x10001, v42
	s_delay_alu instid0(VALU_DEP_4) | instskip(NEXT) | instid1(VALU_DEP_4)
	v_mul_u32_u24_e32 v43, 0x10001, v43
	v_mul_u32_u24_e32 v44, 0x10001, v44
	s_delay_alu instid0(VALU_DEP_4) | instskip(NEXT) | instid1(VALU_DEP_4)
	v_pk_fma_f16 v45, v37, v41, v40
	v_pk_fma_f16 v42, v37, v42, v36
	s_delay_alu instid0(VALU_DEP_4) | instskip(NEXT) | instid1(VALU_DEP_4)
	v_pk_fma_f16 v43, v37, v43, v38
	v_pk_fma_f16 v44, v37, v44, v39
	ds_load_2addr_b32 v[40:41], v91 offset1:32
	ds_load_b128 v[36:39], v81 offset:64
	s_wait_dscnt 0x0
	v_lshrrev_b32_e32 v46, 16, v36
	v_lshrrev_b32_e32 v47, 16, v37
	v_and_b32_e32 v36, 0xffff, v36
	v_and_b32_e32 v37, 0xffff, v37
	s_delay_alu instid0(VALU_DEP_4) | instskip(NEXT) | instid1(VALU_DEP_4)
	v_mul_u32_u24_e32 v46, 0x10001, v46
	v_mul_u32_u24_e32 v47, 0x10001, v47
	s_delay_alu instid0(VALU_DEP_4) | instskip(NEXT) | instid1(VALU_DEP_4)
	v_mul_u32_u24_e32 v36, 0x10001, v36
	v_mul_u32_u24_e32 v37, 0x10001, v37
	s_delay_alu instid0(VALU_DEP_2) | instskip(SKIP_1) | instid1(VALU_DEP_3)
	v_pk_fma_f16 v36, v40, v36, v43
	v_pk_fma_f16 v43, v40, v46, v45
	;; [unrolled: 1-line block ×4, first 2 shown]
	v_lshrrev_b32_e32 v42, 16, v38
	v_lshrrev_b32_e32 v44, 16, v39
	v_and_b32_e32 v38, 0xffff, v38
	v_and_b32_e32 v39, 0xffff, v39
	s_delay_alu instid0(VALU_DEP_4) | instskip(NEXT) | instid1(VALU_DEP_4)
	v_mul_u32_u24_e32 v42, 0x10001, v42
	v_mul_u32_u24_e32 v44, 0x10001, v44
	s_delay_alu instid0(VALU_DEP_4) | instskip(NEXT) | instid1(VALU_DEP_4)
	v_mul_u32_u24_e32 v38, 0x10001, v38
	v_mul_u32_u24_e32 v39, 0x10001, v39
	s_delay_alu instid0(VALU_DEP_4) | instskip(NEXT) | instid1(VALU_DEP_4)
	v_pk_fma_f16 v42, v41, v42, v43
	v_pk_fma_f16 v44, v41, v44, v40
	s_delay_alu instid0(VALU_DEP_4) | instskip(NEXT) | instid1(VALU_DEP_4)
	v_pk_fma_f16 v45, v41, v38, v36
	v_pk_fma_f16 v43, v41, v39, v37
	ds_load_2addr_b32 v[40:41], v91 offset0:64 offset1:96
	ds_load_b128 v[36:39], v81 offset:80
	s_wait_dscnt 0x0
	v_lshrrev_b32_e32 v46, 16, v36
	v_lshrrev_b32_e32 v47, 16, v37
	v_and_b32_e32 v36, 0xffff, v36
	v_and_b32_e32 v37, 0xffff, v37
	s_delay_alu instid0(VALU_DEP_4) | instskip(NEXT) | instid1(VALU_DEP_4)
	v_mul_u32_u24_e32 v46, 0x10001, v46
	v_mul_u32_u24_e32 v47, 0x10001, v47
	s_delay_alu instid0(VALU_DEP_4) | instskip(NEXT) | instid1(VALU_DEP_4)
	v_mul_u32_u24_e32 v36, 0x10001, v36
	v_mul_u32_u24_e32 v37, 0x10001, v37
	s_delay_alu instid0(VALU_DEP_4) | instskip(NEXT) | instid1(VALU_DEP_3)
	v_pk_fma_f16 v42, v40, v46, v42
	v_pk_fma_f16 v36, v40, v36, v45
	s_delay_alu instid0(VALU_DEP_3)
	v_pk_fma_f16 v37, v40, v37, v43
	v_pk_fma_f16 v40, v40, v47, v44
	v_lshrrev_b32_e32 v43, 16, v38
	v_lshrrev_b32_e32 v44, 16, v39
	v_and_b32_e32 v38, 0xffff, v38
	v_and_b32_e32 v39, 0xffff, v39
	s_delay_alu instid0(VALU_DEP_4) | instskip(NEXT) | instid1(VALU_DEP_4)
	v_mul_u32_u24_e32 v43, 0x10001, v43
	v_mul_u32_u24_e32 v44, 0x10001, v44
	s_delay_alu instid0(VALU_DEP_4) | instskip(NEXT) | instid1(VALU_DEP_4)
	v_mul_u32_u24_e32 v38, 0x10001, v38
	v_mul_u32_u24_e32 v39, 0x10001, v39
	s_delay_alu instid0(VALU_DEP_4) | instskip(NEXT) | instid1(VALU_DEP_4)
	v_pk_fma_f16 v42, v41, v43, v42
	v_pk_fma_f16 v44, v41, v44, v40
	s_delay_alu instid0(VALU_DEP_4) | instskip(NEXT) | instid1(VALU_DEP_4)
	v_pk_fma_f16 v45, v41, v38, v36
	v_pk_fma_f16 v43, v41, v39, v37
	ds_load_2addr_b32 v[40:41], v91 offset0:128 offset1:160
	ds_load_b128 v[36:39], v81 offset:96
	s_wait_dscnt 0x0
	v_lshrrev_b32_e32 v46, 16, v36
	v_lshrrev_b32_e32 v47, 16, v37
	v_and_b32_e32 v36, 0xffff, v36
	v_and_b32_e32 v37, 0xffff, v37
	s_delay_alu instid0(VALU_DEP_4) | instskip(NEXT) | instid1(VALU_DEP_4)
	v_mul_u32_u24_e32 v46, 0x10001, v46
	v_mul_u32_u24_e32 v47, 0x10001, v47
	s_delay_alu instid0(VALU_DEP_4) | instskip(NEXT) | instid1(VALU_DEP_4)
	v_mul_u32_u24_e32 v36, 0x10001, v36
	v_mul_u32_u24_e32 v37, 0x10001, v37
	s_delay_alu instid0(VALU_DEP_4) | instskip(NEXT) | instid1(VALU_DEP_3)
	v_pk_fma_f16 v42, v40, v46, v42
	v_pk_fma_f16 v36, v40, v36, v45
	s_delay_alu instid0(VALU_DEP_3)
	v_pk_fma_f16 v37, v40, v37, v43
	v_pk_fma_f16 v40, v40, v47, v44
	;; [unrolled: 35-line block ×3, first 2 shown]
	v_lshrrev_b32_e32 v43, 16, v38
	v_lshrrev_b32_e32 v44, 16, v39
	v_and_b32_e32 v38, 0xffff, v38
	v_and_b32_e32 v39, 0xffff, v39
	s_delay_alu instid0(VALU_DEP_4) | instskip(NEXT) | instid1(VALU_DEP_4)
	v_mul_u32_u24_e32 v43, 0x10001, v43
	v_mul_u32_u24_e32 v44, 0x10001, v44
	s_delay_alu instid0(VALU_DEP_4) | instskip(NEXT) | instid1(VALU_DEP_4)
	v_mul_u32_u24_e32 v38, 0x10001, v38
	v_mul_u32_u24_e32 v39, 0x10001, v39
	s_delay_alu instid0(VALU_DEP_4) | instskip(NEXT) | instid1(VALU_DEP_4)
	v_pk_fma_f16 v42, v41, v43, v42
	v_pk_fma_f16 v44, v41, v44, v40
	s_delay_alu instid0(VALU_DEP_4) | instskip(NEXT) | instid1(VALU_DEP_4)
	v_pk_fma_f16 v45, v41, v38, v36
	v_pk_fma_f16 v43, v41, v39, v37
	ds_load_2addr_b32 v[40:41], v92 offset1:32
	ds_load_b128 v[36:39], v81 offset:128
	s_wait_dscnt 0x0
	v_lshrrev_b32_e32 v46, 16, v36
	v_lshrrev_b32_e32 v47, 16, v37
	v_and_b32_e32 v36, 0xffff, v36
	v_and_b32_e32 v37, 0xffff, v37
	s_delay_alu instid0(VALU_DEP_4) | instskip(NEXT) | instid1(VALU_DEP_4)
	v_mul_u32_u24_e32 v46, 0x10001, v46
	v_mul_u32_u24_e32 v47, 0x10001, v47
	s_delay_alu instid0(VALU_DEP_4) | instskip(NEXT) | instid1(VALU_DEP_4)
	v_mul_u32_u24_e32 v36, 0x10001, v36
	v_mul_u32_u24_e32 v37, 0x10001, v37
	s_delay_alu instid0(VALU_DEP_4) | instskip(NEXT) | instid1(VALU_DEP_3)
	v_pk_fma_f16 v42, v40, v46, v42
	v_pk_fma_f16 v36, v40, v36, v45
	s_delay_alu instid0(VALU_DEP_3)
	v_pk_fma_f16 v37, v40, v37, v43
	v_pk_fma_f16 v40, v40, v47, v44
	v_lshrrev_b32_e32 v43, 16, v38
	v_lshrrev_b32_e32 v44, 16, v39
	v_and_b32_e32 v38, 0xffff, v38
	v_and_b32_e32 v39, 0xffff, v39
	s_delay_alu instid0(VALU_DEP_4) | instskip(NEXT) | instid1(VALU_DEP_4)
	v_mul_u32_u24_e32 v43, 0x10001, v43
	v_mul_u32_u24_e32 v44, 0x10001, v44
	s_delay_alu instid0(VALU_DEP_4) | instskip(NEXT) | instid1(VALU_DEP_4)
	v_mul_u32_u24_e32 v38, 0x10001, v38
	v_mul_u32_u24_e32 v39, 0x10001, v39
	s_delay_alu instid0(VALU_DEP_4) | instskip(NEXT) | instid1(VALU_DEP_4)
	v_pk_fma_f16 v42, v41, v43, v42
	v_pk_fma_f16 v44, v41, v44, v40
	s_delay_alu instid0(VALU_DEP_4) | instskip(NEXT) | instid1(VALU_DEP_4)
	v_pk_fma_f16 v45, v41, v38, v36
	v_pk_fma_f16 v43, v41, v39, v37
	ds_load_2addr_b32 v[40:41], v92 offset0:64 offset1:96
	ds_load_b128 v[36:39], v81 offset:144
	s_wait_dscnt 0x0
	v_lshrrev_b32_e32 v46, 16, v36
	v_lshrrev_b32_e32 v47, 16, v37
	v_and_b32_e32 v36, 0xffff, v36
	v_and_b32_e32 v37, 0xffff, v37
	s_delay_alu instid0(VALU_DEP_4) | instskip(NEXT) | instid1(VALU_DEP_4)
	v_mul_u32_u24_e32 v46, 0x10001, v46
	v_mul_u32_u24_e32 v47, 0x10001, v47
	s_delay_alu instid0(VALU_DEP_4) | instskip(NEXT) | instid1(VALU_DEP_4)
	v_mul_u32_u24_e32 v36, 0x10001, v36
	v_mul_u32_u24_e32 v37, 0x10001, v37
	s_delay_alu instid0(VALU_DEP_4) | instskip(NEXT) | instid1(VALU_DEP_3)
	v_pk_fma_f16 v42, v40, v46, v42
	v_pk_fma_f16 v36, v40, v36, v45
	s_delay_alu instid0(VALU_DEP_3)
	v_pk_fma_f16 v37, v40, v37, v43
	v_pk_fma_f16 v40, v40, v47, v44
	v_lshrrev_b32_e32 v43, 16, v38
	v_lshrrev_b32_e32 v44, 16, v39
	v_and_b32_e32 v38, 0xffff, v38
	v_and_b32_e32 v39, 0xffff, v39
	s_delay_alu instid0(VALU_DEP_4) | instskip(NEXT) | instid1(VALU_DEP_4)
	v_mul_u32_u24_e32 v43, 0x10001, v43
	v_mul_u32_u24_e32 v44, 0x10001, v44
	s_delay_alu instid0(VALU_DEP_4) | instskip(NEXT) | instid1(VALU_DEP_4)
	v_mul_u32_u24_e32 v38, 0x10001, v38
	v_mul_u32_u24_e32 v39, 0x10001, v39
	s_delay_alu instid0(VALU_DEP_4) | instskip(NEXT) | instid1(VALU_DEP_4)
	v_pk_fma_f16 v42, v41, v43, v42
	v_pk_fma_f16 v44, v41, v44, v40
	s_delay_alu instid0(VALU_DEP_4) | instskip(NEXT) | instid1(VALU_DEP_4)
	v_pk_fma_f16 v45, v41, v38, v36
	v_pk_fma_f16 v43, v41, v39, v37
	ds_load_2addr_b32 v[40:41], v92 offset0:128 offset1:160
	;; [unrolled: 35-line block ×3, first 2 shown]
	ds_load_b128 v[36:39], v81 offset:176
	s_wait_dscnt 0x0
	v_lshrrev_b32_e32 v46, 16, v36
	v_lshrrev_b32_e32 v47, 16, v37
	v_and_b32_e32 v36, 0xffff, v36
	v_and_b32_e32 v37, 0xffff, v37
	s_delay_alu instid0(VALU_DEP_4) | instskip(NEXT) | instid1(VALU_DEP_4)
	v_mul_u32_u24_e32 v46, 0x10001, v46
	v_mul_u32_u24_e32 v47, 0x10001, v47
	s_delay_alu instid0(VALU_DEP_4) | instskip(NEXT) | instid1(VALU_DEP_4)
	v_mul_u32_u24_e32 v36, 0x10001, v36
	v_mul_u32_u24_e32 v37, 0x10001, v37
	s_delay_alu instid0(VALU_DEP_4) | instskip(NEXT) | instid1(VALU_DEP_3)
	v_pk_fma_f16 v42, v40, v46, v42
	v_pk_fma_f16 v36, v40, v36, v45
	s_delay_alu instid0(VALU_DEP_3)
	v_pk_fma_f16 v37, v40, v37, v43
	v_pk_fma_f16 v40, v40, v47, v44
	v_lshrrev_b32_e32 v43, 16, v38
	v_lshrrev_b32_e32 v44, 16, v39
	v_and_b32_e32 v38, 0xffff, v38
	v_and_b32_e32 v39, 0xffff, v39
	s_delay_alu instid0(VALU_DEP_4) | instskip(NEXT) | instid1(VALU_DEP_4)
	v_mul_u32_u24_e32 v43, 0x10001, v43
	v_mul_u32_u24_e32 v44, 0x10001, v44
	s_delay_alu instid0(VALU_DEP_4) | instskip(NEXT) | instid1(VALU_DEP_4)
	v_mul_u32_u24_e32 v38, 0x10001, v38
	v_mul_u32_u24_e32 v39, 0x10001, v39
	s_delay_alu instid0(VALU_DEP_4) | instskip(NEXT) | instid1(VALU_DEP_4)
	v_pk_fma_f16 v42, v41, v43, v42
	v_pk_fma_f16 v44, v41, v44, v40
	s_delay_alu instid0(VALU_DEP_4) | instskip(NEXT) | instid1(VALU_DEP_4)
	v_pk_fma_f16 v45, v41, v38, v36
	v_pk_fma_f16 v43, v41, v39, v37
	ds_load_2addr_b32 v[40:41], v93 offset1:32
	ds_load_b128 v[36:39], v81 offset:192
	s_wait_dscnt 0x0
	v_lshrrev_b32_e32 v46, 16, v36
	v_lshrrev_b32_e32 v47, 16, v37
	v_and_b32_e32 v36, 0xffff, v36
	v_and_b32_e32 v37, 0xffff, v37
	s_delay_alu instid0(VALU_DEP_4) | instskip(NEXT) | instid1(VALU_DEP_4)
	v_mul_u32_u24_e32 v46, 0x10001, v46
	v_mul_u32_u24_e32 v47, 0x10001, v47
	s_delay_alu instid0(VALU_DEP_4) | instskip(NEXT) | instid1(VALU_DEP_4)
	v_mul_u32_u24_e32 v36, 0x10001, v36
	v_mul_u32_u24_e32 v37, 0x10001, v37
	s_delay_alu instid0(VALU_DEP_4) | instskip(NEXT) | instid1(VALU_DEP_3)
	v_pk_fma_f16 v42, v40, v46, v42
	v_pk_fma_f16 v36, v40, v36, v45
	s_delay_alu instid0(VALU_DEP_3)
	v_pk_fma_f16 v37, v40, v37, v43
	v_pk_fma_f16 v40, v40, v47, v44
	v_lshrrev_b32_e32 v43, 16, v38
	v_lshrrev_b32_e32 v44, 16, v39
	v_and_b32_e32 v38, 0xffff, v38
	v_and_b32_e32 v39, 0xffff, v39
	s_delay_alu instid0(VALU_DEP_4) | instskip(NEXT) | instid1(VALU_DEP_4)
	v_mul_u32_u24_e32 v43, 0x10001, v43
	v_mul_u32_u24_e32 v44, 0x10001, v44
	s_delay_alu instid0(VALU_DEP_4) | instskip(NEXT) | instid1(VALU_DEP_4)
	v_mul_u32_u24_e32 v38, 0x10001, v38
	v_mul_u32_u24_e32 v39, 0x10001, v39
	s_delay_alu instid0(VALU_DEP_4) | instskip(NEXT) | instid1(VALU_DEP_4)
	v_pk_fma_f16 v42, v41, v43, v42
	v_pk_fma_f16 v44, v41, v44, v40
	s_delay_alu instid0(VALU_DEP_4) | instskip(NEXT) | instid1(VALU_DEP_4)
	v_pk_fma_f16 v45, v41, v38, v36
	v_pk_fma_f16 v43, v41, v39, v37
	ds_load_2addr_b32 v[40:41], v93 offset0:64 offset1:96
	ds_load_b128 v[36:39], v81 offset:208
	s_wait_dscnt 0x0
	v_lshrrev_b32_e32 v46, 16, v36
	v_lshrrev_b32_e32 v47, 16, v37
	v_and_b32_e32 v36, 0xffff, v36
	v_and_b32_e32 v37, 0xffff, v37
	s_delay_alu instid0(VALU_DEP_4) | instskip(NEXT) | instid1(VALU_DEP_4)
	v_mul_u32_u24_e32 v46, 0x10001, v46
	v_mul_u32_u24_e32 v47, 0x10001, v47
	s_delay_alu instid0(VALU_DEP_4) | instskip(NEXT) | instid1(VALU_DEP_4)
	v_mul_u32_u24_e32 v36, 0x10001, v36
	v_mul_u32_u24_e32 v37, 0x10001, v37
	s_delay_alu instid0(VALU_DEP_4) | instskip(NEXT) | instid1(VALU_DEP_3)
	v_pk_fma_f16 v42, v40, v46, v42
	v_pk_fma_f16 v36, v40, v36, v45
	s_delay_alu instid0(VALU_DEP_3)
	v_pk_fma_f16 v37, v40, v37, v43
	v_pk_fma_f16 v40, v40, v47, v44
	v_lshrrev_b32_e32 v43, 16, v38
	v_lshrrev_b32_e32 v44, 16, v39
	v_and_b32_e32 v38, 0xffff, v38
	v_and_b32_e32 v39, 0xffff, v39
	s_delay_alu instid0(VALU_DEP_4) | instskip(NEXT) | instid1(VALU_DEP_4)
	v_mul_u32_u24_e32 v43, 0x10001, v43
	v_mul_u32_u24_e32 v44, 0x10001, v44
	s_delay_alu instid0(VALU_DEP_4) | instskip(NEXT) | instid1(VALU_DEP_4)
	v_mul_u32_u24_e32 v38, 0x10001, v38
	v_mul_u32_u24_e32 v39, 0x10001, v39
	s_delay_alu instid0(VALU_DEP_4) | instskip(NEXT) | instid1(VALU_DEP_4)
	v_pk_fma_f16 v42, v41, v43, v42
	v_pk_fma_f16 v44, v41, v44, v40
	s_delay_alu instid0(VALU_DEP_4) | instskip(NEXT) | instid1(VALU_DEP_4)
	v_pk_fma_f16 v45, v41, v38, v36
	v_pk_fma_f16 v43, v41, v39, v37
	ds_load_2addr_b32 v[40:41], v93 offset0:128 offset1:160
	;; [unrolled: 35-line block ×3, first 2 shown]
	ds_load_b128 v[36:39], v81 offset:240
	s_wait_dscnt 0x0
	v_lshrrev_b32_e32 v46, 16, v36
	v_lshrrev_b32_e32 v47, 16, v37
	v_and_b32_e32 v36, 0xffff, v36
	v_and_b32_e32 v37, 0xffff, v37
	s_delay_alu instid0(VALU_DEP_4) | instskip(NEXT) | instid1(VALU_DEP_4)
	v_mul_u32_u24_e32 v46, 0x10001, v46
	v_mul_u32_u24_e32 v47, 0x10001, v47
	s_delay_alu instid0(VALU_DEP_4) | instskip(NEXT) | instid1(VALU_DEP_4)
	v_mul_u32_u24_e32 v36, 0x10001, v36
	v_mul_u32_u24_e32 v37, 0x10001, v37
	s_delay_alu instid0(VALU_DEP_4) | instskip(NEXT) | instid1(VALU_DEP_3)
	v_pk_fma_f16 v42, v40, v46, v42
	v_pk_fma_f16 v36, v40, v36, v45
	s_delay_alu instid0(VALU_DEP_3)
	v_pk_fma_f16 v37, v40, v37, v43
	v_pk_fma_f16 v40, v40, v47, v44
	v_lshrrev_b32_e32 v43, 16, v38
	v_lshrrev_b32_e32 v44, 16, v39
	v_and_b32_e32 v38, 0xffff, v38
	v_and_b32_e32 v39, 0xffff, v39
	s_delay_alu instid0(VALU_DEP_4) | instskip(NEXT) | instid1(VALU_DEP_4)
	v_mul_u32_u24_e32 v43, 0x10001, v43
	v_mul_u32_u24_e32 v44, 0x10001, v44
	s_delay_alu instid0(VALU_DEP_4) | instskip(NEXT) | instid1(VALU_DEP_4)
	v_mul_u32_u24_e32 v38, 0x10001, v38
	v_mul_u32_u24_e32 v39, 0x10001, v39
	s_delay_alu instid0(VALU_DEP_4) | instskip(NEXT) | instid1(VALU_DEP_4)
	v_pk_fma_f16 v42, v41, v43, v42
	v_pk_fma_f16 v44, v41, v44, v40
	s_delay_alu instid0(VALU_DEP_4) | instskip(NEXT) | instid1(VALU_DEP_4)
	v_pk_fma_f16 v45, v41, v38, v36
	v_pk_fma_f16 v43, v41, v39, v37
	ds_load_2addr_b32 v[40:41], v94 offset1:32
	ds_load_b128 v[36:39], v81 offset:256
	s_wait_dscnt 0x0
	v_lshrrev_b32_e32 v46, 16, v36
	v_lshrrev_b32_e32 v47, 16, v37
	v_and_b32_e32 v36, 0xffff, v36
	v_and_b32_e32 v37, 0xffff, v37
	s_delay_alu instid0(VALU_DEP_4) | instskip(NEXT) | instid1(VALU_DEP_4)
	v_mul_u32_u24_e32 v46, 0x10001, v46
	v_mul_u32_u24_e32 v47, 0x10001, v47
	s_delay_alu instid0(VALU_DEP_4) | instskip(NEXT) | instid1(VALU_DEP_4)
	v_mul_u32_u24_e32 v36, 0x10001, v36
	v_mul_u32_u24_e32 v37, 0x10001, v37
	s_delay_alu instid0(VALU_DEP_4) | instskip(NEXT) | instid1(VALU_DEP_3)
	v_pk_fma_f16 v42, v40, v46, v42
	v_pk_fma_f16 v36, v40, v36, v45
	s_delay_alu instid0(VALU_DEP_3)
	v_pk_fma_f16 v37, v40, v37, v43
	v_pk_fma_f16 v40, v40, v47, v44
	v_lshrrev_b32_e32 v43, 16, v38
	v_lshrrev_b32_e32 v44, 16, v39
	v_and_b32_e32 v38, 0xffff, v38
	v_and_b32_e32 v39, 0xffff, v39
	s_delay_alu instid0(VALU_DEP_4) | instskip(NEXT) | instid1(VALU_DEP_4)
	v_mul_u32_u24_e32 v43, 0x10001, v43
	v_mul_u32_u24_e32 v44, 0x10001, v44
	s_delay_alu instid0(VALU_DEP_4) | instskip(NEXT) | instid1(VALU_DEP_4)
	v_mul_u32_u24_e32 v38, 0x10001, v38
	v_mul_u32_u24_e32 v39, 0x10001, v39
	s_delay_alu instid0(VALU_DEP_4) | instskip(NEXT) | instid1(VALU_DEP_4)
	v_pk_fma_f16 v42, v41, v43, v42
	v_pk_fma_f16 v44, v41, v44, v40
	s_delay_alu instid0(VALU_DEP_4) | instskip(NEXT) | instid1(VALU_DEP_4)
	v_pk_fma_f16 v45, v41, v38, v36
	v_pk_fma_f16 v43, v41, v39, v37
	ds_load_2addr_b32 v[40:41], v94 offset0:64 offset1:96
	ds_load_b128 v[36:39], v81 offset:272
	s_wait_dscnt 0x0
	v_lshrrev_b32_e32 v46, 16, v36
	v_lshrrev_b32_e32 v47, 16, v37
	v_and_b32_e32 v36, 0xffff, v36
	v_and_b32_e32 v37, 0xffff, v37
	s_delay_alu instid0(VALU_DEP_4) | instskip(NEXT) | instid1(VALU_DEP_4)
	v_mul_u32_u24_e32 v46, 0x10001, v46
	v_mul_u32_u24_e32 v47, 0x10001, v47
	s_delay_alu instid0(VALU_DEP_4) | instskip(NEXT) | instid1(VALU_DEP_4)
	v_mul_u32_u24_e32 v36, 0x10001, v36
	v_mul_u32_u24_e32 v37, 0x10001, v37
	s_delay_alu instid0(VALU_DEP_4) | instskip(NEXT) | instid1(VALU_DEP_3)
	v_pk_fma_f16 v42, v40, v46, v42
	v_pk_fma_f16 v36, v40, v36, v45
	s_delay_alu instid0(VALU_DEP_3)
	v_pk_fma_f16 v37, v40, v37, v43
	v_pk_fma_f16 v40, v40, v47, v44
	v_lshrrev_b32_e32 v43, 16, v38
	v_lshrrev_b32_e32 v44, 16, v39
	v_and_b32_e32 v38, 0xffff, v38
	v_and_b32_e32 v39, 0xffff, v39
	s_delay_alu instid0(VALU_DEP_4) | instskip(NEXT) | instid1(VALU_DEP_4)
	v_mul_u32_u24_e32 v43, 0x10001, v43
	v_mul_u32_u24_e32 v44, 0x10001, v44
	s_delay_alu instid0(VALU_DEP_4) | instskip(NEXT) | instid1(VALU_DEP_4)
	v_mul_u32_u24_e32 v38, 0x10001, v38
	v_mul_u32_u24_e32 v39, 0x10001, v39
	s_delay_alu instid0(VALU_DEP_4) | instskip(NEXT) | instid1(VALU_DEP_4)
	v_pk_fma_f16 v42, v41, v43, v42
	v_pk_fma_f16 v44, v41, v44, v40
	s_delay_alu instid0(VALU_DEP_4) | instskip(NEXT) | instid1(VALU_DEP_4)
	v_pk_fma_f16 v45, v41, v38, v36
	v_pk_fma_f16 v43, v41, v39, v37
	ds_load_2addr_b32 v[40:41], v94 offset0:128 offset1:160
	;; [unrolled: 35-line block ×3, first 2 shown]
	ds_load_b128 v[36:39], v81 offset:304
	s_wait_dscnt 0x0
	v_lshrrev_b32_e32 v46, 16, v36
	v_lshrrev_b32_e32 v47, 16, v37
	v_and_b32_e32 v36, 0xffff, v36
	v_and_b32_e32 v37, 0xffff, v37
	s_delay_alu instid0(VALU_DEP_4) | instskip(NEXT) | instid1(VALU_DEP_4)
	v_mul_u32_u24_e32 v46, 0x10001, v46
	v_mul_u32_u24_e32 v47, 0x10001, v47
	s_delay_alu instid0(VALU_DEP_4) | instskip(NEXT) | instid1(VALU_DEP_4)
	v_mul_u32_u24_e32 v36, 0x10001, v36
	v_mul_u32_u24_e32 v37, 0x10001, v37
	s_delay_alu instid0(VALU_DEP_4) | instskip(NEXT) | instid1(VALU_DEP_3)
	v_pk_fma_f16 v42, v40, v46, v42
	v_pk_fma_f16 v36, v40, v36, v45
	s_delay_alu instid0(VALU_DEP_3)
	v_pk_fma_f16 v37, v40, v37, v43
	v_pk_fma_f16 v40, v40, v47, v44
	v_lshrrev_b32_e32 v43, 16, v38
	v_lshrrev_b32_e32 v44, 16, v39
	v_and_b32_e32 v38, 0xffff, v38
	v_and_b32_e32 v39, 0xffff, v39
	s_delay_alu instid0(VALU_DEP_4) | instskip(NEXT) | instid1(VALU_DEP_4)
	v_mul_u32_u24_e32 v43, 0x10001, v43
	v_mul_u32_u24_e32 v44, 0x10001, v44
	s_delay_alu instid0(VALU_DEP_4) | instskip(NEXT) | instid1(VALU_DEP_4)
	v_mul_u32_u24_e32 v38, 0x10001, v38
	v_mul_u32_u24_e32 v39, 0x10001, v39
	s_delay_alu instid0(VALU_DEP_4) | instskip(NEXT) | instid1(VALU_DEP_4)
	v_pk_fma_f16 v42, v41, v43, v42
	v_pk_fma_f16 v44, v41, v44, v40
	s_delay_alu instid0(VALU_DEP_4) | instskip(NEXT) | instid1(VALU_DEP_4)
	v_pk_fma_f16 v45, v41, v38, v36
	v_pk_fma_f16 v43, v41, v39, v37
	ds_load_2addr_b32 v[40:41], v95 offset1:32
	ds_load_b128 v[36:39], v81 offset:320
	s_wait_dscnt 0x0
	v_lshrrev_b32_e32 v46, 16, v36
	v_lshrrev_b32_e32 v47, 16, v37
	v_and_b32_e32 v36, 0xffff, v36
	v_and_b32_e32 v37, 0xffff, v37
	s_delay_alu instid0(VALU_DEP_4) | instskip(NEXT) | instid1(VALU_DEP_4)
	v_mul_u32_u24_e32 v46, 0x10001, v46
	v_mul_u32_u24_e32 v47, 0x10001, v47
	s_delay_alu instid0(VALU_DEP_4) | instskip(NEXT) | instid1(VALU_DEP_4)
	v_mul_u32_u24_e32 v36, 0x10001, v36
	v_mul_u32_u24_e32 v37, 0x10001, v37
	s_delay_alu instid0(VALU_DEP_4) | instskip(NEXT) | instid1(VALU_DEP_3)
	v_pk_fma_f16 v42, v40, v46, v42
	v_pk_fma_f16 v36, v40, v36, v45
	s_delay_alu instid0(VALU_DEP_3)
	v_pk_fma_f16 v37, v40, v37, v43
	v_pk_fma_f16 v40, v40, v47, v44
	v_lshrrev_b32_e32 v43, 16, v38
	v_lshrrev_b32_e32 v44, 16, v39
	v_and_b32_e32 v38, 0xffff, v38
	v_and_b32_e32 v39, 0xffff, v39
	s_delay_alu instid0(VALU_DEP_4) | instskip(NEXT) | instid1(VALU_DEP_4)
	v_mul_u32_u24_e32 v43, 0x10001, v43
	v_mul_u32_u24_e32 v44, 0x10001, v44
	s_delay_alu instid0(VALU_DEP_4) | instskip(NEXT) | instid1(VALU_DEP_4)
	v_mul_u32_u24_e32 v38, 0x10001, v38
	v_mul_u32_u24_e32 v39, 0x10001, v39
	s_delay_alu instid0(VALU_DEP_4) | instskip(NEXT) | instid1(VALU_DEP_4)
	v_pk_fma_f16 v42, v41, v43, v42
	v_pk_fma_f16 v44, v41, v44, v40
	s_delay_alu instid0(VALU_DEP_4) | instskip(NEXT) | instid1(VALU_DEP_4)
	v_pk_fma_f16 v45, v41, v38, v36
	v_pk_fma_f16 v43, v41, v39, v37
	ds_load_2addr_b32 v[40:41], v95 offset0:64 offset1:96
	ds_load_b128 v[36:39], v81 offset:336
	s_wait_dscnt 0x0
	v_lshrrev_b32_e32 v46, 16, v36
	v_lshrrev_b32_e32 v47, 16, v37
	v_and_b32_e32 v36, 0xffff, v36
	v_and_b32_e32 v37, 0xffff, v37
	s_delay_alu instid0(VALU_DEP_4) | instskip(NEXT) | instid1(VALU_DEP_4)
	v_mul_u32_u24_e32 v46, 0x10001, v46
	v_mul_u32_u24_e32 v47, 0x10001, v47
	s_delay_alu instid0(VALU_DEP_4) | instskip(NEXT) | instid1(VALU_DEP_4)
	v_mul_u32_u24_e32 v36, 0x10001, v36
	v_mul_u32_u24_e32 v37, 0x10001, v37
	s_delay_alu instid0(VALU_DEP_4) | instskip(NEXT) | instid1(VALU_DEP_3)
	v_pk_fma_f16 v42, v40, v46, v42
	v_pk_fma_f16 v36, v40, v36, v45
	s_delay_alu instid0(VALU_DEP_3)
	v_pk_fma_f16 v37, v40, v37, v43
	v_pk_fma_f16 v40, v40, v47, v44
	v_lshrrev_b32_e32 v43, 16, v38
	v_lshrrev_b32_e32 v44, 16, v39
	v_and_b32_e32 v38, 0xffff, v38
	v_and_b32_e32 v39, 0xffff, v39
	s_delay_alu instid0(VALU_DEP_4) | instskip(NEXT) | instid1(VALU_DEP_4)
	v_mul_u32_u24_e32 v43, 0x10001, v43
	v_mul_u32_u24_e32 v44, 0x10001, v44
	s_delay_alu instid0(VALU_DEP_4) | instskip(NEXT) | instid1(VALU_DEP_4)
	v_mul_u32_u24_e32 v38, 0x10001, v38
	v_mul_u32_u24_e32 v39, 0x10001, v39
	s_delay_alu instid0(VALU_DEP_4) | instskip(NEXT) | instid1(VALU_DEP_4)
	v_pk_fma_f16 v42, v41, v43, v42
	v_pk_fma_f16 v44, v41, v44, v40
	s_delay_alu instid0(VALU_DEP_4) | instskip(NEXT) | instid1(VALU_DEP_4)
	v_pk_fma_f16 v45, v41, v38, v36
	v_pk_fma_f16 v43, v41, v39, v37
	ds_load_2addr_b32 v[40:41], v95 offset0:128 offset1:160
	;; [unrolled: 35-line block ×3, first 2 shown]
	ds_load_b128 v[36:39], v81 offset:368
	s_wait_dscnt 0x0
	v_lshrrev_b32_e32 v46, 16, v36
	v_lshrrev_b32_e32 v47, 16, v37
	v_and_b32_e32 v36, 0xffff, v36
	v_and_b32_e32 v37, 0xffff, v37
	s_delay_alu instid0(VALU_DEP_4) | instskip(NEXT) | instid1(VALU_DEP_4)
	v_mul_u32_u24_e32 v46, 0x10001, v46
	v_mul_u32_u24_e32 v47, 0x10001, v47
	s_delay_alu instid0(VALU_DEP_4) | instskip(NEXT) | instid1(VALU_DEP_4)
	v_mul_u32_u24_e32 v36, 0x10001, v36
	v_mul_u32_u24_e32 v37, 0x10001, v37
	s_delay_alu instid0(VALU_DEP_4) | instskip(NEXT) | instid1(VALU_DEP_3)
	v_pk_fma_f16 v42, v40, v46, v42
	v_pk_fma_f16 v36, v40, v36, v45
	s_delay_alu instid0(VALU_DEP_3)
	v_pk_fma_f16 v37, v40, v37, v43
	v_pk_fma_f16 v40, v40, v47, v44
	v_lshrrev_b32_e32 v43, 16, v38
	v_lshrrev_b32_e32 v44, 16, v39
	v_and_b32_e32 v38, 0xffff, v38
	v_and_b32_e32 v39, 0xffff, v39
	s_delay_alu instid0(VALU_DEP_4) | instskip(NEXT) | instid1(VALU_DEP_4)
	v_mul_u32_u24_e32 v43, 0x10001, v43
	v_mul_u32_u24_e32 v44, 0x10001, v44
	s_delay_alu instid0(VALU_DEP_4) | instskip(NEXT) | instid1(VALU_DEP_4)
	v_mul_u32_u24_e32 v38, 0x10001, v38
	v_mul_u32_u24_e32 v39, 0x10001, v39
	s_delay_alu instid0(VALU_DEP_4) | instskip(NEXT) | instid1(VALU_DEP_4)
	v_pk_fma_f16 v42, v41, v43, v42
	v_pk_fma_f16 v44, v41, v44, v40
	s_delay_alu instid0(VALU_DEP_4) | instskip(NEXT) | instid1(VALU_DEP_4)
	v_pk_fma_f16 v45, v41, v38, v36
	v_pk_fma_f16 v43, v41, v39, v37
	ds_load_2addr_b32 v[40:41], v96 offset1:32
	ds_load_b128 v[36:39], v81 offset:384
	s_wait_dscnt 0x0
	v_lshrrev_b32_e32 v46, 16, v36
	v_lshrrev_b32_e32 v47, 16, v37
	v_and_b32_e32 v36, 0xffff, v36
	v_and_b32_e32 v37, 0xffff, v37
	s_delay_alu instid0(VALU_DEP_4) | instskip(NEXT) | instid1(VALU_DEP_4)
	v_mul_u32_u24_e32 v46, 0x10001, v46
	v_mul_u32_u24_e32 v47, 0x10001, v47
	s_delay_alu instid0(VALU_DEP_4) | instskip(NEXT) | instid1(VALU_DEP_4)
	v_mul_u32_u24_e32 v36, 0x10001, v36
	v_mul_u32_u24_e32 v37, 0x10001, v37
	s_delay_alu instid0(VALU_DEP_4) | instskip(NEXT) | instid1(VALU_DEP_3)
	v_pk_fma_f16 v42, v40, v46, v42
	v_pk_fma_f16 v36, v40, v36, v45
	s_delay_alu instid0(VALU_DEP_3)
	v_pk_fma_f16 v37, v40, v37, v43
	v_pk_fma_f16 v40, v40, v47, v44
	v_lshrrev_b32_e32 v43, 16, v38
	v_lshrrev_b32_e32 v44, 16, v39
	v_and_b32_e32 v38, 0xffff, v38
	v_and_b32_e32 v39, 0xffff, v39
	s_delay_alu instid0(VALU_DEP_4) | instskip(NEXT) | instid1(VALU_DEP_4)
	v_mul_u32_u24_e32 v43, 0x10001, v43
	v_mul_u32_u24_e32 v44, 0x10001, v44
	s_delay_alu instid0(VALU_DEP_4) | instskip(NEXT) | instid1(VALU_DEP_4)
	v_mul_u32_u24_e32 v38, 0x10001, v38
	v_mul_u32_u24_e32 v39, 0x10001, v39
	s_delay_alu instid0(VALU_DEP_4) | instskip(NEXT) | instid1(VALU_DEP_4)
	v_pk_fma_f16 v42, v41, v43, v42
	v_pk_fma_f16 v44, v41, v44, v40
	s_delay_alu instid0(VALU_DEP_4) | instskip(NEXT) | instid1(VALU_DEP_4)
	v_pk_fma_f16 v45, v41, v38, v36
	v_pk_fma_f16 v43, v41, v39, v37
	ds_load_2addr_b32 v[40:41], v96 offset0:64 offset1:96
	ds_load_b128 v[36:39], v81 offset:400
	s_wait_dscnt 0x0
	v_lshrrev_b32_e32 v46, 16, v36
	v_lshrrev_b32_e32 v47, 16, v37
	v_and_b32_e32 v36, 0xffff, v36
	v_and_b32_e32 v37, 0xffff, v37
	s_delay_alu instid0(VALU_DEP_4) | instskip(NEXT) | instid1(VALU_DEP_4)
	v_mul_u32_u24_e32 v46, 0x10001, v46
	v_mul_u32_u24_e32 v47, 0x10001, v47
	s_delay_alu instid0(VALU_DEP_4) | instskip(NEXT) | instid1(VALU_DEP_4)
	v_mul_u32_u24_e32 v36, 0x10001, v36
	v_mul_u32_u24_e32 v37, 0x10001, v37
	s_delay_alu instid0(VALU_DEP_4) | instskip(NEXT) | instid1(VALU_DEP_3)
	v_pk_fma_f16 v42, v40, v46, v42
	v_pk_fma_f16 v36, v40, v36, v45
	s_delay_alu instid0(VALU_DEP_3)
	v_pk_fma_f16 v37, v40, v37, v43
	v_pk_fma_f16 v40, v40, v47, v44
	v_lshrrev_b32_e32 v43, 16, v38
	v_lshrrev_b32_e32 v44, 16, v39
	v_and_b32_e32 v38, 0xffff, v38
	v_and_b32_e32 v39, 0xffff, v39
	s_delay_alu instid0(VALU_DEP_4) | instskip(NEXT) | instid1(VALU_DEP_4)
	v_mul_u32_u24_e32 v43, 0x10001, v43
	v_mul_u32_u24_e32 v44, 0x10001, v44
	s_delay_alu instid0(VALU_DEP_4) | instskip(NEXT) | instid1(VALU_DEP_4)
	v_mul_u32_u24_e32 v38, 0x10001, v38
	v_mul_u32_u24_e32 v39, 0x10001, v39
	s_delay_alu instid0(VALU_DEP_4) | instskip(NEXT) | instid1(VALU_DEP_4)
	v_pk_fma_f16 v42, v41, v43, v42
	v_pk_fma_f16 v44, v41, v44, v40
	s_delay_alu instid0(VALU_DEP_4) | instskip(NEXT) | instid1(VALU_DEP_4)
	v_pk_fma_f16 v45, v41, v38, v36
	v_pk_fma_f16 v43, v41, v39, v37
	ds_load_2addr_b32 v[40:41], v96 offset0:128 offset1:160
	;; [unrolled: 35-line block ×3, first 2 shown]
	ds_load_b128 v[36:39], v81 offset:432
	s_wait_dscnt 0x0
	v_lshrrev_b32_e32 v46, 16, v36
	v_lshrrev_b32_e32 v47, 16, v37
	v_and_b32_e32 v36, 0xffff, v36
	v_and_b32_e32 v37, 0xffff, v37
	s_delay_alu instid0(VALU_DEP_4) | instskip(NEXT) | instid1(VALU_DEP_4)
	v_mul_u32_u24_e32 v46, 0x10001, v46
	v_mul_u32_u24_e32 v47, 0x10001, v47
	s_delay_alu instid0(VALU_DEP_4) | instskip(NEXT) | instid1(VALU_DEP_4)
	v_mul_u32_u24_e32 v36, 0x10001, v36
	v_mul_u32_u24_e32 v37, 0x10001, v37
	s_delay_alu instid0(VALU_DEP_4) | instskip(NEXT) | instid1(VALU_DEP_3)
	v_pk_fma_f16 v42, v40, v46, v42
	v_pk_fma_f16 v36, v40, v36, v45
	s_delay_alu instid0(VALU_DEP_3)
	v_pk_fma_f16 v37, v40, v37, v43
	v_pk_fma_f16 v40, v40, v47, v44
	v_lshrrev_b32_e32 v43, 16, v38
	v_lshrrev_b32_e32 v44, 16, v39
	v_and_b32_e32 v38, 0xffff, v38
	v_and_b32_e32 v39, 0xffff, v39
	s_delay_alu instid0(VALU_DEP_4) | instskip(NEXT) | instid1(VALU_DEP_4)
	v_mul_u32_u24_e32 v43, 0x10001, v43
	v_mul_u32_u24_e32 v44, 0x10001, v44
	s_delay_alu instid0(VALU_DEP_4) | instskip(NEXT) | instid1(VALU_DEP_4)
	v_mul_u32_u24_e32 v38, 0x10001, v38
	v_mul_u32_u24_e32 v39, 0x10001, v39
	s_delay_alu instid0(VALU_DEP_4) | instskip(NEXT) | instid1(VALU_DEP_4)
	v_pk_fma_f16 v42, v41, v43, v42
	v_pk_fma_f16 v44, v41, v44, v40
	s_delay_alu instid0(VALU_DEP_4) | instskip(NEXT) | instid1(VALU_DEP_4)
	v_pk_fma_f16 v45, v41, v38, v36
	v_pk_fma_f16 v43, v41, v39, v37
	ds_load_2addr_b32 v[40:41], v97 offset1:32
	ds_load_b128 v[36:39], v81 offset:448
	s_wait_dscnt 0x0
	v_lshrrev_b32_e32 v46, 16, v36
	v_lshrrev_b32_e32 v47, 16, v37
	v_and_b32_e32 v36, 0xffff, v36
	v_and_b32_e32 v37, 0xffff, v37
	s_delay_alu instid0(VALU_DEP_4) | instskip(NEXT) | instid1(VALU_DEP_4)
	v_mul_u32_u24_e32 v46, 0x10001, v46
	v_mul_u32_u24_e32 v47, 0x10001, v47
	s_delay_alu instid0(VALU_DEP_4) | instskip(NEXT) | instid1(VALU_DEP_4)
	v_mul_u32_u24_e32 v36, 0x10001, v36
	v_mul_u32_u24_e32 v37, 0x10001, v37
	s_delay_alu instid0(VALU_DEP_4) | instskip(NEXT) | instid1(VALU_DEP_3)
	v_pk_fma_f16 v42, v40, v46, v42
	v_pk_fma_f16 v36, v40, v36, v45
	s_delay_alu instid0(VALU_DEP_3)
	v_pk_fma_f16 v37, v40, v37, v43
	v_pk_fma_f16 v40, v40, v47, v44
	v_lshrrev_b32_e32 v43, 16, v38
	v_lshrrev_b32_e32 v44, 16, v39
	v_and_b32_e32 v38, 0xffff, v38
	v_and_b32_e32 v39, 0xffff, v39
	s_delay_alu instid0(VALU_DEP_4) | instskip(NEXT) | instid1(VALU_DEP_4)
	v_mul_u32_u24_e32 v43, 0x10001, v43
	v_mul_u32_u24_e32 v44, 0x10001, v44
	s_delay_alu instid0(VALU_DEP_4) | instskip(NEXT) | instid1(VALU_DEP_4)
	v_mul_u32_u24_e32 v38, 0x10001, v38
	v_mul_u32_u24_e32 v39, 0x10001, v39
	s_delay_alu instid0(VALU_DEP_4) | instskip(NEXT) | instid1(VALU_DEP_4)
	v_pk_fma_f16 v42, v41, v43, v42
	v_pk_fma_f16 v44, v41, v44, v40
	s_delay_alu instid0(VALU_DEP_4) | instskip(NEXT) | instid1(VALU_DEP_4)
	v_pk_fma_f16 v45, v41, v38, v36
	v_pk_fma_f16 v43, v41, v39, v37
	ds_load_2addr_b32 v[40:41], v97 offset0:64 offset1:96
	ds_load_b128 v[36:39], v81 offset:464
	s_wait_dscnt 0x0
	v_lshrrev_b32_e32 v46, 16, v36
	v_lshrrev_b32_e32 v47, 16, v37
	v_and_b32_e32 v36, 0xffff, v36
	v_and_b32_e32 v37, 0xffff, v37
	s_delay_alu instid0(VALU_DEP_4) | instskip(NEXT) | instid1(VALU_DEP_4)
	v_mul_u32_u24_e32 v46, 0x10001, v46
	v_mul_u32_u24_e32 v47, 0x10001, v47
	s_delay_alu instid0(VALU_DEP_4) | instskip(NEXT) | instid1(VALU_DEP_4)
	v_mul_u32_u24_e32 v36, 0x10001, v36
	v_mul_u32_u24_e32 v37, 0x10001, v37
	s_delay_alu instid0(VALU_DEP_4) | instskip(NEXT) | instid1(VALU_DEP_3)
	v_pk_fma_f16 v42, v40, v46, v42
	v_pk_fma_f16 v36, v40, v36, v45
	s_delay_alu instid0(VALU_DEP_3)
	v_pk_fma_f16 v37, v40, v37, v43
	v_pk_fma_f16 v40, v40, v47, v44
	v_lshrrev_b32_e32 v43, 16, v38
	v_lshrrev_b32_e32 v44, 16, v39
	v_and_b32_e32 v38, 0xffff, v38
	v_and_b32_e32 v39, 0xffff, v39
	s_delay_alu instid0(VALU_DEP_4) | instskip(NEXT) | instid1(VALU_DEP_4)
	v_mul_u32_u24_e32 v43, 0x10001, v43
	v_mul_u32_u24_e32 v44, 0x10001, v44
	s_delay_alu instid0(VALU_DEP_4) | instskip(NEXT) | instid1(VALU_DEP_4)
	v_mul_u32_u24_e32 v38, 0x10001, v38
	v_mul_u32_u24_e32 v39, 0x10001, v39
	s_delay_alu instid0(VALU_DEP_4) | instskip(NEXT) | instid1(VALU_DEP_4)
	v_pk_fma_f16 v42, v41, v43, v42
	v_pk_fma_f16 v44, v41, v44, v40
	s_delay_alu instid0(VALU_DEP_4) | instskip(NEXT) | instid1(VALU_DEP_4)
	v_pk_fma_f16 v45, v41, v38, v36
	v_pk_fma_f16 v43, v41, v39, v37
	ds_load_2addr_b32 v[40:41], v97 offset0:128 offset1:160
	;; [unrolled: 35-line block ×3, first 2 shown]
	ds_load_b128 v[36:39], v81 offset:496
	s_wait_dscnt 0x0
	v_lshrrev_b32_e32 v46, 16, v36
	v_lshrrev_b32_e32 v47, 16, v37
	v_and_b32_e32 v36, 0xffff, v36
	v_and_b32_e32 v37, 0xffff, v37
	s_delay_alu instid0(VALU_DEP_4) | instskip(NEXT) | instid1(VALU_DEP_4)
	v_mul_u32_u24_e32 v46, 0x10001, v46
	v_mul_u32_u24_e32 v47, 0x10001, v47
	s_delay_alu instid0(VALU_DEP_4) | instskip(NEXT) | instid1(VALU_DEP_4)
	v_mul_u32_u24_e32 v36, 0x10001, v36
	v_mul_u32_u24_e32 v37, 0x10001, v37
	s_delay_alu instid0(VALU_DEP_4) | instskip(NEXT) | instid1(VALU_DEP_3)
	v_pk_fma_f16 v42, v40, v46, v42
	v_pk_fma_f16 v36, v40, v36, v45
	s_delay_alu instid0(VALU_DEP_3)
	v_pk_fma_f16 v37, v40, v37, v43
	v_pk_fma_f16 v40, v40, v47, v44
	v_lshrrev_b32_e32 v43, 16, v38
	v_lshrrev_b32_e32 v44, 16, v39
	v_and_b32_e32 v38, 0xffff, v38
	v_and_b32_e32 v39, 0xffff, v39
	s_delay_alu instid0(VALU_DEP_4) | instskip(NEXT) | instid1(VALU_DEP_4)
	v_mul_u32_u24_e32 v43, 0x10001, v43
	v_mul_u32_u24_e32 v44, 0x10001, v44
	s_delay_alu instid0(VALU_DEP_4) | instskip(NEXT) | instid1(VALU_DEP_4)
	v_mul_u32_u24_e32 v38, 0x10001, v38
	v_mul_u32_u24_e32 v39, 0x10001, v39
	s_delay_alu instid0(VALU_DEP_4) | instskip(NEXT) | instid1(VALU_DEP_4)
	v_pk_fma_f16 v42, v41, v43, v42
	v_pk_fma_f16 v44, v41, v44, v40
	s_delay_alu instid0(VALU_DEP_4) | instskip(NEXT) | instid1(VALU_DEP_4)
	v_pk_fma_f16 v45, v41, v38, v36
	v_pk_fma_f16 v43, v41, v39, v37
	ds_load_2addr_b32 v[40:41], v98 offset1:32
	ds_load_b128 v[36:39], v81 offset:512
	s_wait_dscnt 0x0
	v_lshrrev_b32_e32 v46, 16, v36
	v_lshrrev_b32_e32 v47, 16, v37
	v_and_b32_e32 v36, 0xffff, v36
	v_and_b32_e32 v37, 0xffff, v37
	s_delay_alu instid0(VALU_DEP_4) | instskip(NEXT) | instid1(VALU_DEP_4)
	v_mul_u32_u24_e32 v46, 0x10001, v46
	v_mul_u32_u24_e32 v47, 0x10001, v47
	s_delay_alu instid0(VALU_DEP_4) | instskip(NEXT) | instid1(VALU_DEP_4)
	v_mul_u32_u24_e32 v36, 0x10001, v36
	v_mul_u32_u24_e32 v37, 0x10001, v37
	s_delay_alu instid0(VALU_DEP_4) | instskip(NEXT) | instid1(VALU_DEP_3)
	v_pk_fma_f16 v42, v40, v46, v42
	v_pk_fma_f16 v36, v40, v36, v45
	s_delay_alu instid0(VALU_DEP_3)
	v_pk_fma_f16 v37, v40, v37, v43
	v_pk_fma_f16 v40, v40, v47, v44
	v_lshrrev_b32_e32 v43, 16, v38
	v_lshrrev_b32_e32 v44, 16, v39
	v_and_b32_e32 v38, 0xffff, v38
	v_and_b32_e32 v39, 0xffff, v39
	s_delay_alu instid0(VALU_DEP_4) | instskip(NEXT) | instid1(VALU_DEP_4)
	v_mul_u32_u24_e32 v43, 0x10001, v43
	v_mul_u32_u24_e32 v44, 0x10001, v44
	s_delay_alu instid0(VALU_DEP_4) | instskip(NEXT) | instid1(VALU_DEP_4)
	v_mul_u32_u24_e32 v38, 0x10001, v38
	v_mul_u32_u24_e32 v39, 0x10001, v39
	s_delay_alu instid0(VALU_DEP_4) | instskip(NEXT) | instid1(VALU_DEP_4)
	v_pk_fma_f16 v42, v41, v43, v42
	v_pk_fma_f16 v44, v41, v44, v40
	s_delay_alu instid0(VALU_DEP_4) | instskip(NEXT) | instid1(VALU_DEP_4)
	v_pk_fma_f16 v45, v41, v38, v36
	v_pk_fma_f16 v43, v41, v39, v37
	ds_load_2addr_b32 v[40:41], v98 offset0:64 offset1:96
	ds_load_b128 v[36:39], v81 offset:528
	s_wait_dscnt 0x0
	v_lshrrev_b32_e32 v46, 16, v36
	v_lshrrev_b32_e32 v47, 16, v37
	v_and_b32_e32 v36, 0xffff, v36
	v_and_b32_e32 v37, 0xffff, v37
	s_delay_alu instid0(VALU_DEP_4) | instskip(NEXT) | instid1(VALU_DEP_4)
	v_mul_u32_u24_e32 v46, 0x10001, v46
	v_mul_u32_u24_e32 v47, 0x10001, v47
	s_delay_alu instid0(VALU_DEP_4) | instskip(NEXT) | instid1(VALU_DEP_4)
	v_mul_u32_u24_e32 v36, 0x10001, v36
	v_mul_u32_u24_e32 v37, 0x10001, v37
	s_delay_alu instid0(VALU_DEP_4) | instskip(NEXT) | instid1(VALU_DEP_3)
	v_pk_fma_f16 v42, v40, v46, v42
	v_pk_fma_f16 v36, v40, v36, v45
	s_delay_alu instid0(VALU_DEP_3)
	v_pk_fma_f16 v37, v40, v37, v43
	v_pk_fma_f16 v40, v40, v47, v44
	v_lshrrev_b32_e32 v43, 16, v38
	v_lshrrev_b32_e32 v44, 16, v39
	v_and_b32_e32 v38, 0xffff, v38
	v_and_b32_e32 v39, 0xffff, v39
	s_delay_alu instid0(VALU_DEP_4) | instskip(NEXT) | instid1(VALU_DEP_4)
	v_mul_u32_u24_e32 v43, 0x10001, v43
	v_mul_u32_u24_e32 v44, 0x10001, v44
	s_delay_alu instid0(VALU_DEP_4) | instskip(NEXT) | instid1(VALU_DEP_4)
	v_mul_u32_u24_e32 v38, 0x10001, v38
	v_mul_u32_u24_e32 v39, 0x10001, v39
	s_delay_alu instid0(VALU_DEP_4) | instskip(NEXT) | instid1(VALU_DEP_4)
	v_pk_fma_f16 v42, v41, v43, v42
	v_pk_fma_f16 v44, v41, v44, v40
	s_delay_alu instid0(VALU_DEP_4) | instskip(NEXT) | instid1(VALU_DEP_4)
	v_pk_fma_f16 v45, v41, v38, v36
	v_pk_fma_f16 v43, v41, v39, v37
	ds_load_2addr_b32 v[40:41], v98 offset0:128 offset1:160
	;; [unrolled: 35-line block ×3, first 2 shown]
	ds_load_b128 v[36:39], v81 offset:560
	s_wait_dscnt 0x0
	v_lshrrev_b32_e32 v46, 16, v36
	v_lshrrev_b32_e32 v47, 16, v37
	v_and_b32_e32 v36, 0xffff, v36
	v_and_b32_e32 v37, 0xffff, v37
	s_delay_alu instid0(VALU_DEP_4) | instskip(NEXT) | instid1(VALU_DEP_4)
	v_mul_u32_u24_e32 v46, 0x10001, v46
	v_mul_u32_u24_e32 v47, 0x10001, v47
	s_delay_alu instid0(VALU_DEP_4) | instskip(NEXT) | instid1(VALU_DEP_4)
	v_mul_u32_u24_e32 v36, 0x10001, v36
	v_mul_u32_u24_e32 v37, 0x10001, v37
	s_delay_alu instid0(VALU_DEP_4) | instskip(NEXT) | instid1(VALU_DEP_3)
	v_pk_fma_f16 v42, v40, v46, v42
	v_pk_fma_f16 v36, v40, v36, v45
	s_delay_alu instid0(VALU_DEP_3)
	v_pk_fma_f16 v37, v40, v37, v43
	v_pk_fma_f16 v40, v40, v47, v44
	v_lshrrev_b32_e32 v43, 16, v38
	v_lshrrev_b32_e32 v44, 16, v39
	v_and_b32_e32 v38, 0xffff, v38
	v_and_b32_e32 v39, 0xffff, v39
	s_delay_alu instid0(VALU_DEP_4) | instskip(NEXT) | instid1(VALU_DEP_4)
	v_mul_u32_u24_e32 v43, 0x10001, v43
	v_mul_u32_u24_e32 v44, 0x10001, v44
	s_delay_alu instid0(VALU_DEP_4) | instskip(NEXT) | instid1(VALU_DEP_4)
	v_mul_u32_u24_e32 v38, 0x10001, v38
	v_mul_u32_u24_e32 v39, 0x10001, v39
	s_delay_alu instid0(VALU_DEP_4) | instskip(NEXT) | instid1(VALU_DEP_4)
	v_pk_fma_f16 v42, v41, v43, v42
	v_pk_fma_f16 v44, v41, v44, v40
	s_delay_alu instid0(VALU_DEP_4) | instskip(NEXT) | instid1(VALU_DEP_4)
	v_pk_fma_f16 v45, v41, v38, v36
	v_pk_fma_f16 v43, v41, v39, v37
	ds_load_2addr_b32 v[40:41], v99 offset1:32
	ds_load_b128 v[36:39], v81 offset:576
	s_wait_dscnt 0x0
	v_lshrrev_b32_e32 v46, 16, v36
	v_lshrrev_b32_e32 v47, 16, v37
	v_and_b32_e32 v36, 0xffff, v36
	v_and_b32_e32 v37, 0xffff, v37
	s_delay_alu instid0(VALU_DEP_4) | instskip(NEXT) | instid1(VALU_DEP_4)
	v_mul_u32_u24_e32 v46, 0x10001, v46
	v_mul_u32_u24_e32 v47, 0x10001, v47
	s_delay_alu instid0(VALU_DEP_4) | instskip(NEXT) | instid1(VALU_DEP_4)
	v_mul_u32_u24_e32 v36, 0x10001, v36
	v_mul_u32_u24_e32 v37, 0x10001, v37
	s_delay_alu instid0(VALU_DEP_4) | instskip(NEXT) | instid1(VALU_DEP_3)
	v_pk_fma_f16 v42, v40, v46, v42
	v_pk_fma_f16 v36, v40, v36, v45
	s_delay_alu instid0(VALU_DEP_3)
	v_pk_fma_f16 v37, v40, v37, v43
	v_pk_fma_f16 v40, v40, v47, v44
	v_lshrrev_b32_e32 v43, 16, v38
	v_lshrrev_b32_e32 v44, 16, v39
	v_and_b32_e32 v38, 0xffff, v38
	v_and_b32_e32 v39, 0xffff, v39
	s_delay_alu instid0(VALU_DEP_4) | instskip(NEXT) | instid1(VALU_DEP_4)
	v_mul_u32_u24_e32 v43, 0x10001, v43
	v_mul_u32_u24_e32 v44, 0x10001, v44
	s_delay_alu instid0(VALU_DEP_4) | instskip(NEXT) | instid1(VALU_DEP_4)
	v_mul_u32_u24_e32 v38, 0x10001, v38
	v_mul_u32_u24_e32 v39, 0x10001, v39
	s_delay_alu instid0(VALU_DEP_4) | instskip(NEXT) | instid1(VALU_DEP_4)
	v_pk_fma_f16 v42, v41, v43, v42
	v_pk_fma_f16 v44, v41, v44, v40
	s_delay_alu instid0(VALU_DEP_4) | instskip(NEXT) | instid1(VALU_DEP_4)
	v_pk_fma_f16 v45, v41, v38, v36
	v_pk_fma_f16 v43, v41, v39, v37
	ds_load_2addr_b32 v[40:41], v99 offset0:64 offset1:96
	ds_load_b128 v[36:39], v81 offset:592
	s_wait_dscnt 0x0
	v_lshrrev_b32_e32 v46, 16, v36
	v_lshrrev_b32_e32 v47, 16, v37
	v_and_b32_e32 v36, 0xffff, v36
	v_and_b32_e32 v37, 0xffff, v37
	s_delay_alu instid0(VALU_DEP_4) | instskip(NEXT) | instid1(VALU_DEP_4)
	v_mul_u32_u24_e32 v46, 0x10001, v46
	v_mul_u32_u24_e32 v47, 0x10001, v47
	s_delay_alu instid0(VALU_DEP_4) | instskip(NEXT) | instid1(VALU_DEP_4)
	v_mul_u32_u24_e32 v36, 0x10001, v36
	v_mul_u32_u24_e32 v37, 0x10001, v37
	s_delay_alu instid0(VALU_DEP_4) | instskip(NEXT) | instid1(VALU_DEP_3)
	v_pk_fma_f16 v42, v40, v46, v42
	v_pk_fma_f16 v36, v40, v36, v45
	s_delay_alu instid0(VALU_DEP_3)
	v_pk_fma_f16 v37, v40, v37, v43
	v_pk_fma_f16 v40, v40, v47, v44
	v_lshrrev_b32_e32 v43, 16, v38
	v_lshrrev_b32_e32 v44, 16, v39
	v_and_b32_e32 v38, 0xffff, v38
	v_and_b32_e32 v39, 0xffff, v39
	s_delay_alu instid0(VALU_DEP_4) | instskip(NEXT) | instid1(VALU_DEP_4)
	v_mul_u32_u24_e32 v43, 0x10001, v43
	v_mul_u32_u24_e32 v44, 0x10001, v44
	s_delay_alu instid0(VALU_DEP_4) | instskip(NEXT) | instid1(VALU_DEP_4)
	v_mul_u32_u24_e32 v38, 0x10001, v38
	v_mul_u32_u24_e32 v39, 0x10001, v39
	s_delay_alu instid0(VALU_DEP_4) | instskip(NEXT) | instid1(VALU_DEP_4)
	v_pk_fma_f16 v42, v41, v43, v42
	v_pk_fma_f16 v44, v41, v44, v40
	s_delay_alu instid0(VALU_DEP_4) | instskip(NEXT) | instid1(VALU_DEP_4)
	v_pk_fma_f16 v45, v41, v38, v36
	v_pk_fma_f16 v43, v41, v39, v37
	ds_load_2addr_b32 v[40:41], v99 offset0:128 offset1:160
	;; [unrolled: 35-line block ×3, first 2 shown]
	ds_load_b128 v[36:39], v81 offset:624
	s_wait_dscnt 0x0
	v_lshrrev_b32_e32 v46, 16, v36
	v_lshrrev_b32_e32 v47, 16, v37
	v_and_b32_e32 v36, 0xffff, v36
	v_and_b32_e32 v37, 0xffff, v37
	s_delay_alu instid0(VALU_DEP_4) | instskip(NEXT) | instid1(VALU_DEP_4)
	v_mul_u32_u24_e32 v46, 0x10001, v46
	v_mul_u32_u24_e32 v47, 0x10001, v47
	s_delay_alu instid0(VALU_DEP_4) | instskip(NEXT) | instid1(VALU_DEP_4)
	v_mul_u32_u24_e32 v36, 0x10001, v36
	v_mul_u32_u24_e32 v37, 0x10001, v37
	s_delay_alu instid0(VALU_DEP_4) | instskip(NEXT) | instid1(VALU_DEP_3)
	v_pk_fma_f16 v42, v40, v46, v42
	v_pk_fma_f16 v36, v40, v36, v45
	s_delay_alu instid0(VALU_DEP_3)
	v_pk_fma_f16 v37, v40, v37, v43
	v_pk_fma_f16 v40, v40, v47, v44
	v_lshrrev_b32_e32 v43, 16, v38
	v_lshrrev_b32_e32 v44, 16, v39
	v_and_b32_e32 v38, 0xffff, v38
	v_and_b32_e32 v39, 0xffff, v39
	s_delay_alu instid0(VALU_DEP_4) | instskip(NEXT) | instid1(VALU_DEP_4)
	v_mul_u32_u24_e32 v43, 0x10001, v43
	v_mul_u32_u24_e32 v44, 0x10001, v44
	s_delay_alu instid0(VALU_DEP_4) | instskip(NEXT) | instid1(VALU_DEP_4)
	v_mul_u32_u24_e32 v38, 0x10001, v38
	v_mul_u32_u24_e32 v39, 0x10001, v39
	s_delay_alu instid0(VALU_DEP_4) | instskip(NEXT) | instid1(VALU_DEP_4)
	v_pk_fma_f16 v42, v41, v43, v42
	v_pk_fma_f16 v44, v41, v44, v40
	s_delay_alu instid0(VALU_DEP_4) | instskip(NEXT) | instid1(VALU_DEP_4)
	v_pk_fma_f16 v45, v41, v38, v36
	v_pk_fma_f16 v43, v41, v39, v37
	ds_load_2addr_b32 v[40:41], v100 offset1:32
	ds_load_b128 v[36:39], v81 offset:640
	s_wait_dscnt 0x0
	v_lshrrev_b32_e32 v46, 16, v36
	v_lshrrev_b32_e32 v47, 16, v37
	v_and_b32_e32 v36, 0xffff, v36
	v_and_b32_e32 v37, 0xffff, v37
	s_delay_alu instid0(VALU_DEP_4) | instskip(NEXT) | instid1(VALU_DEP_4)
	v_mul_u32_u24_e32 v46, 0x10001, v46
	v_mul_u32_u24_e32 v47, 0x10001, v47
	s_delay_alu instid0(VALU_DEP_4) | instskip(NEXT) | instid1(VALU_DEP_4)
	v_mul_u32_u24_e32 v36, 0x10001, v36
	v_mul_u32_u24_e32 v37, 0x10001, v37
	s_delay_alu instid0(VALU_DEP_4) | instskip(NEXT) | instid1(VALU_DEP_3)
	v_pk_fma_f16 v42, v40, v46, v42
	v_pk_fma_f16 v36, v40, v36, v45
	s_delay_alu instid0(VALU_DEP_3)
	v_pk_fma_f16 v37, v40, v37, v43
	v_pk_fma_f16 v40, v40, v47, v44
	v_lshrrev_b32_e32 v43, 16, v38
	v_lshrrev_b32_e32 v44, 16, v39
	v_and_b32_e32 v38, 0xffff, v38
	v_and_b32_e32 v39, 0xffff, v39
	s_delay_alu instid0(VALU_DEP_4) | instskip(NEXT) | instid1(VALU_DEP_4)
	v_mul_u32_u24_e32 v43, 0x10001, v43
	v_mul_u32_u24_e32 v44, 0x10001, v44
	s_delay_alu instid0(VALU_DEP_4) | instskip(NEXT) | instid1(VALU_DEP_4)
	v_mul_u32_u24_e32 v38, 0x10001, v38
	v_mul_u32_u24_e32 v39, 0x10001, v39
	s_delay_alu instid0(VALU_DEP_4) | instskip(NEXT) | instid1(VALU_DEP_4)
	v_pk_fma_f16 v42, v41, v43, v42
	v_pk_fma_f16 v44, v41, v44, v40
	s_delay_alu instid0(VALU_DEP_4) | instskip(NEXT) | instid1(VALU_DEP_4)
	v_pk_fma_f16 v45, v41, v38, v36
	v_pk_fma_f16 v43, v41, v39, v37
	ds_load_2addr_b32 v[40:41], v100 offset0:64 offset1:96
	ds_load_b128 v[36:39], v81 offset:656
	s_wait_dscnt 0x0
	v_lshrrev_b32_e32 v46, 16, v36
	v_lshrrev_b32_e32 v47, 16, v37
	v_and_b32_e32 v36, 0xffff, v36
	v_and_b32_e32 v37, 0xffff, v37
	s_delay_alu instid0(VALU_DEP_4) | instskip(NEXT) | instid1(VALU_DEP_4)
	v_mul_u32_u24_e32 v46, 0x10001, v46
	v_mul_u32_u24_e32 v47, 0x10001, v47
	s_delay_alu instid0(VALU_DEP_4) | instskip(NEXT) | instid1(VALU_DEP_4)
	v_mul_u32_u24_e32 v36, 0x10001, v36
	v_mul_u32_u24_e32 v37, 0x10001, v37
	s_delay_alu instid0(VALU_DEP_4) | instskip(NEXT) | instid1(VALU_DEP_3)
	v_pk_fma_f16 v42, v40, v46, v42
	v_pk_fma_f16 v36, v40, v36, v45
	s_delay_alu instid0(VALU_DEP_3)
	v_pk_fma_f16 v37, v40, v37, v43
	v_pk_fma_f16 v40, v40, v47, v44
	v_lshrrev_b32_e32 v43, 16, v38
	v_lshrrev_b32_e32 v44, 16, v39
	v_and_b32_e32 v38, 0xffff, v38
	v_and_b32_e32 v39, 0xffff, v39
	s_delay_alu instid0(VALU_DEP_4) | instskip(NEXT) | instid1(VALU_DEP_4)
	v_mul_u32_u24_e32 v43, 0x10001, v43
	v_mul_u32_u24_e32 v44, 0x10001, v44
	s_delay_alu instid0(VALU_DEP_4) | instskip(NEXT) | instid1(VALU_DEP_4)
	v_mul_u32_u24_e32 v38, 0x10001, v38
	v_mul_u32_u24_e32 v39, 0x10001, v39
	s_delay_alu instid0(VALU_DEP_4) | instskip(NEXT) | instid1(VALU_DEP_4)
	v_pk_fma_f16 v42, v41, v43, v42
	v_pk_fma_f16 v44, v41, v44, v40
	s_delay_alu instid0(VALU_DEP_4) | instskip(NEXT) | instid1(VALU_DEP_4)
	v_pk_fma_f16 v45, v41, v38, v36
	v_pk_fma_f16 v43, v41, v39, v37
	ds_load_2addr_b32 v[40:41], v100 offset0:128 offset1:160
	;; [unrolled: 35-line block ×3, first 2 shown]
	ds_load_b128 v[36:39], v81 offset:688
	s_wait_dscnt 0x0
	v_lshrrev_b32_e32 v46, 16, v36
	v_lshrrev_b32_e32 v47, 16, v37
	v_and_b32_e32 v36, 0xffff, v36
	v_and_b32_e32 v37, 0xffff, v37
	s_delay_alu instid0(VALU_DEP_4) | instskip(NEXT) | instid1(VALU_DEP_4)
	v_mul_u32_u24_e32 v46, 0x10001, v46
	v_mul_u32_u24_e32 v47, 0x10001, v47
	s_delay_alu instid0(VALU_DEP_4) | instskip(NEXT) | instid1(VALU_DEP_4)
	v_mul_u32_u24_e32 v36, 0x10001, v36
	v_mul_u32_u24_e32 v37, 0x10001, v37
	s_delay_alu instid0(VALU_DEP_4) | instskip(NEXT) | instid1(VALU_DEP_3)
	v_pk_fma_f16 v42, v40, v46, v42
	v_pk_fma_f16 v36, v40, v36, v45
	s_delay_alu instid0(VALU_DEP_3)
	v_pk_fma_f16 v37, v40, v37, v43
	v_pk_fma_f16 v40, v40, v47, v44
	v_lshrrev_b32_e32 v43, 16, v38
	v_lshrrev_b32_e32 v44, 16, v39
	v_and_b32_e32 v38, 0xffff, v38
	v_and_b32_e32 v39, 0xffff, v39
	s_delay_alu instid0(VALU_DEP_4) | instskip(NEXT) | instid1(VALU_DEP_4)
	v_mul_u32_u24_e32 v43, 0x10001, v43
	v_mul_u32_u24_e32 v44, 0x10001, v44
	s_delay_alu instid0(VALU_DEP_4) | instskip(NEXT) | instid1(VALU_DEP_4)
	v_mul_u32_u24_e32 v38, 0x10001, v38
	v_mul_u32_u24_e32 v39, 0x10001, v39
	s_delay_alu instid0(VALU_DEP_4) | instskip(NEXT) | instid1(VALU_DEP_4)
	v_pk_fma_f16 v42, v41, v43, v42
	v_pk_fma_f16 v44, v41, v44, v40
	s_delay_alu instid0(VALU_DEP_4) | instskip(NEXT) | instid1(VALU_DEP_4)
	v_pk_fma_f16 v45, v41, v38, v36
	v_pk_fma_f16 v43, v41, v39, v37
	ds_load_2addr_b32 v[40:41], v101 offset1:32
	ds_load_b128 v[36:39], v81 offset:704
	s_wait_dscnt 0x0
	v_lshrrev_b32_e32 v46, 16, v36
	v_lshrrev_b32_e32 v47, 16, v37
	v_and_b32_e32 v36, 0xffff, v36
	v_and_b32_e32 v37, 0xffff, v37
	s_delay_alu instid0(VALU_DEP_4) | instskip(NEXT) | instid1(VALU_DEP_4)
	v_mul_u32_u24_e32 v46, 0x10001, v46
	v_mul_u32_u24_e32 v47, 0x10001, v47
	s_delay_alu instid0(VALU_DEP_4) | instskip(NEXT) | instid1(VALU_DEP_4)
	v_mul_u32_u24_e32 v36, 0x10001, v36
	v_mul_u32_u24_e32 v37, 0x10001, v37
	s_delay_alu instid0(VALU_DEP_4) | instskip(NEXT) | instid1(VALU_DEP_3)
	v_pk_fma_f16 v42, v40, v46, v42
	v_pk_fma_f16 v36, v40, v36, v45
	s_delay_alu instid0(VALU_DEP_3)
	v_pk_fma_f16 v37, v40, v37, v43
	v_pk_fma_f16 v40, v40, v47, v44
	v_lshrrev_b32_e32 v43, 16, v38
	v_lshrrev_b32_e32 v44, 16, v39
	v_and_b32_e32 v38, 0xffff, v38
	v_and_b32_e32 v39, 0xffff, v39
	s_delay_alu instid0(VALU_DEP_4) | instskip(NEXT) | instid1(VALU_DEP_4)
	v_mul_u32_u24_e32 v43, 0x10001, v43
	v_mul_u32_u24_e32 v44, 0x10001, v44
	s_delay_alu instid0(VALU_DEP_4) | instskip(NEXT) | instid1(VALU_DEP_4)
	v_mul_u32_u24_e32 v38, 0x10001, v38
	v_mul_u32_u24_e32 v39, 0x10001, v39
	s_delay_alu instid0(VALU_DEP_4) | instskip(NEXT) | instid1(VALU_DEP_4)
	v_pk_fma_f16 v42, v41, v43, v42
	v_pk_fma_f16 v44, v41, v44, v40
	s_delay_alu instid0(VALU_DEP_4) | instskip(NEXT) | instid1(VALU_DEP_4)
	v_pk_fma_f16 v45, v41, v38, v36
	v_pk_fma_f16 v43, v41, v39, v37
	ds_load_2addr_b32 v[40:41], v101 offset0:64 offset1:96
	ds_load_b128 v[36:39], v81 offset:720
	s_wait_dscnt 0x0
	v_lshrrev_b32_e32 v46, 16, v36
	v_lshrrev_b32_e32 v47, 16, v37
	v_and_b32_e32 v36, 0xffff, v36
	v_and_b32_e32 v37, 0xffff, v37
	s_delay_alu instid0(VALU_DEP_4) | instskip(NEXT) | instid1(VALU_DEP_4)
	v_mul_u32_u24_e32 v46, 0x10001, v46
	v_mul_u32_u24_e32 v47, 0x10001, v47
	s_delay_alu instid0(VALU_DEP_4) | instskip(NEXT) | instid1(VALU_DEP_4)
	v_mul_u32_u24_e32 v36, 0x10001, v36
	v_mul_u32_u24_e32 v37, 0x10001, v37
	s_delay_alu instid0(VALU_DEP_4) | instskip(NEXT) | instid1(VALU_DEP_3)
	v_pk_fma_f16 v42, v40, v46, v42
	v_pk_fma_f16 v36, v40, v36, v45
	s_delay_alu instid0(VALU_DEP_3)
	v_pk_fma_f16 v37, v40, v37, v43
	v_pk_fma_f16 v40, v40, v47, v44
	v_lshrrev_b32_e32 v43, 16, v38
	v_lshrrev_b32_e32 v44, 16, v39
	v_and_b32_e32 v38, 0xffff, v38
	v_and_b32_e32 v39, 0xffff, v39
	s_delay_alu instid0(VALU_DEP_4) | instskip(NEXT) | instid1(VALU_DEP_4)
	v_mul_u32_u24_e32 v43, 0x10001, v43
	v_mul_u32_u24_e32 v44, 0x10001, v44
	s_delay_alu instid0(VALU_DEP_4) | instskip(NEXT) | instid1(VALU_DEP_4)
	v_mul_u32_u24_e32 v38, 0x10001, v38
	v_mul_u32_u24_e32 v39, 0x10001, v39
	s_delay_alu instid0(VALU_DEP_4) | instskip(NEXT) | instid1(VALU_DEP_4)
	v_pk_fma_f16 v42, v41, v43, v42
	v_pk_fma_f16 v44, v41, v44, v40
	s_delay_alu instid0(VALU_DEP_4) | instskip(NEXT) | instid1(VALU_DEP_4)
	v_pk_fma_f16 v45, v41, v38, v36
	v_pk_fma_f16 v43, v41, v39, v37
	ds_load_2addr_b32 v[40:41], v101 offset0:128 offset1:160
	;; [unrolled: 35-line block ×3, first 2 shown]
	ds_load_b128 v[36:39], v81 offset:752
	s_wait_dscnt 0x0
	v_lshrrev_b32_e32 v46, 16, v36
	v_lshrrev_b32_e32 v47, 16, v37
	v_and_b32_e32 v36, 0xffff, v36
	v_and_b32_e32 v37, 0xffff, v37
	s_delay_alu instid0(VALU_DEP_4) | instskip(NEXT) | instid1(VALU_DEP_4)
	v_mul_u32_u24_e32 v46, 0x10001, v46
	v_mul_u32_u24_e32 v47, 0x10001, v47
	s_delay_alu instid0(VALU_DEP_4) | instskip(NEXT) | instid1(VALU_DEP_4)
	v_mul_u32_u24_e32 v36, 0x10001, v36
	v_mul_u32_u24_e32 v37, 0x10001, v37
	s_delay_alu instid0(VALU_DEP_4) | instskip(NEXT) | instid1(VALU_DEP_3)
	v_pk_fma_f16 v42, v40, v46, v42
	v_pk_fma_f16 v36, v40, v36, v45
	s_delay_alu instid0(VALU_DEP_3)
	v_pk_fma_f16 v37, v40, v37, v43
	v_pk_fma_f16 v40, v40, v47, v44
	v_lshrrev_b32_e32 v43, 16, v38
	v_lshrrev_b32_e32 v44, 16, v39
	v_and_b32_e32 v38, 0xffff, v38
	v_and_b32_e32 v39, 0xffff, v39
	s_delay_alu instid0(VALU_DEP_4) | instskip(NEXT) | instid1(VALU_DEP_4)
	v_mul_u32_u24_e32 v43, 0x10001, v43
	v_mul_u32_u24_e32 v44, 0x10001, v44
	s_delay_alu instid0(VALU_DEP_4) | instskip(NEXT) | instid1(VALU_DEP_4)
	v_mul_u32_u24_e32 v38, 0x10001, v38
	v_mul_u32_u24_e32 v39, 0x10001, v39
	s_delay_alu instid0(VALU_DEP_4) | instskip(NEXT) | instid1(VALU_DEP_4)
	v_pk_fma_f16 v42, v41, v43, v42
	v_pk_fma_f16 v44, v41, v44, v40
	s_delay_alu instid0(VALU_DEP_4) | instskip(NEXT) | instid1(VALU_DEP_4)
	v_pk_fma_f16 v45, v41, v38, v36
	v_pk_fma_f16 v43, v41, v39, v37
	ds_load_2addr_b32 v[40:41], v102 offset1:32
	ds_load_b128 v[36:39], v81 offset:768
	s_wait_dscnt 0x0
	v_lshrrev_b32_e32 v46, 16, v36
	v_lshrrev_b32_e32 v47, 16, v37
	v_and_b32_e32 v36, 0xffff, v36
	v_and_b32_e32 v37, 0xffff, v37
	s_delay_alu instid0(VALU_DEP_4) | instskip(NEXT) | instid1(VALU_DEP_4)
	v_mul_u32_u24_e32 v46, 0x10001, v46
	v_mul_u32_u24_e32 v47, 0x10001, v47
	s_delay_alu instid0(VALU_DEP_4) | instskip(NEXT) | instid1(VALU_DEP_4)
	v_mul_u32_u24_e32 v36, 0x10001, v36
	v_mul_u32_u24_e32 v37, 0x10001, v37
	s_delay_alu instid0(VALU_DEP_4) | instskip(NEXT) | instid1(VALU_DEP_3)
	v_pk_fma_f16 v42, v40, v46, v42
	v_pk_fma_f16 v36, v40, v36, v45
	s_delay_alu instid0(VALU_DEP_3)
	v_pk_fma_f16 v37, v40, v37, v43
	v_pk_fma_f16 v40, v40, v47, v44
	v_lshrrev_b32_e32 v43, 16, v38
	v_lshrrev_b32_e32 v44, 16, v39
	v_and_b32_e32 v38, 0xffff, v38
	v_and_b32_e32 v39, 0xffff, v39
	s_delay_alu instid0(VALU_DEP_4) | instskip(NEXT) | instid1(VALU_DEP_4)
	v_mul_u32_u24_e32 v43, 0x10001, v43
	v_mul_u32_u24_e32 v44, 0x10001, v44
	s_delay_alu instid0(VALU_DEP_4) | instskip(NEXT) | instid1(VALU_DEP_4)
	v_mul_u32_u24_e32 v38, 0x10001, v38
	v_mul_u32_u24_e32 v39, 0x10001, v39
	s_delay_alu instid0(VALU_DEP_4) | instskip(NEXT) | instid1(VALU_DEP_4)
	v_pk_fma_f16 v42, v41, v43, v42
	v_pk_fma_f16 v44, v41, v44, v40
	s_delay_alu instid0(VALU_DEP_4) | instskip(NEXT) | instid1(VALU_DEP_4)
	v_pk_fma_f16 v45, v41, v38, v36
	v_pk_fma_f16 v43, v41, v39, v37
	ds_load_2addr_b32 v[40:41], v102 offset0:64 offset1:96
	ds_load_b128 v[36:39], v81 offset:784
	s_wait_dscnt 0x0
	v_lshrrev_b32_e32 v46, 16, v36
	v_lshrrev_b32_e32 v47, 16, v37
	v_and_b32_e32 v36, 0xffff, v36
	v_and_b32_e32 v37, 0xffff, v37
	s_delay_alu instid0(VALU_DEP_4) | instskip(NEXT) | instid1(VALU_DEP_4)
	v_mul_u32_u24_e32 v46, 0x10001, v46
	v_mul_u32_u24_e32 v47, 0x10001, v47
	s_delay_alu instid0(VALU_DEP_4) | instskip(NEXT) | instid1(VALU_DEP_4)
	v_mul_u32_u24_e32 v36, 0x10001, v36
	v_mul_u32_u24_e32 v37, 0x10001, v37
	s_delay_alu instid0(VALU_DEP_4) | instskip(NEXT) | instid1(VALU_DEP_3)
	v_pk_fma_f16 v42, v40, v46, v42
	v_pk_fma_f16 v36, v40, v36, v45
	s_delay_alu instid0(VALU_DEP_3)
	v_pk_fma_f16 v37, v40, v37, v43
	v_pk_fma_f16 v40, v40, v47, v44
	v_lshrrev_b32_e32 v43, 16, v38
	v_lshrrev_b32_e32 v44, 16, v39
	v_and_b32_e32 v38, 0xffff, v38
	v_and_b32_e32 v39, 0xffff, v39
	s_delay_alu instid0(VALU_DEP_4) | instskip(NEXT) | instid1(VALU_DEP_4)
	v_mul_u32_u24_e32 v43, 0x10001, v43
	v_mul_u32_u24_e32 v44, 0x10001, v44
	s_delay_alu instid0(VALU_DEP_4) | instskip(NEXT) | instid1(VALU_DEP_4)
	v_mul_u32_u24_e32 v38, 0x10001, v38
	v_mul_u32_u24_e32 v39, 0x10001, v39
	s_delay_alu instid0(VALU_DEP_4) | instskip(NEXT) | instid1(VALU_DEP_4)
	v_pk_fma_f16 v42, v41, v43, v42
	v_pk_fma_f16 v44, v41, v44, v40
	s_delay_alu instid0(VALU_DEP_4) | instskip(NEXT) | instid1(VALU_DEP_4)
	v_pk_fma_f16 v45, v41, v38, v36
	v_pk_fma_f16 v43, v41, v39, v37
	ds_load_2addr_b32 v[40:41], v102 offset0:128 offset1:160
	;; [unrolled: 35-line block ×3, first 2 shown]
	ds_load_b128 v[36:39], v81 offset:816
	s_wait_dscnt 0x0
	v_lshrrev_b32_e32 v46, 16, v36
	v_lshrrev_b32_e32 v47, 16, v37
	v_and_b32_e32 v36, 0xffff, v36
	v_and_b32_e32 v37, 0xffff, v37
	s_delay_alu instid0(VALU_DEP_4) | instskip(NEXT) | instid1(VALU_DEP_4)
	v_mul_u32_u24_e32 v46, 0x10001, v46
	v_mul_u32_u24_e32 v47, 0x10001, v47
	s_delay_alu instid0(VALU_DEP_4) | instskip(NEXT) | instid1(VALU_DEP_4)
	v_mul_u32_u24_e32 v36, 0x10001, v36
	v_mul_u32_u24_e32 v37, 0x10001, v37
	s_delay_alu instid0(VALU_DEP_4) | instskip(NEXT) | instid1(VALU_DEP_3)
	v_pk_fma_f16 v42, v40, v46, v42
	v_pk_fma_f16 v36, v40, v36, v45
	s_delay_alu instid0(VALU_DEP_3)
	v_pk_fma_f16 v37, v40, v37, v43
	v_pk_fma_f16 v40, v40, v47, v44
	v_lshrrev_b32_e32 v43, 16, v38
	v_lshrrev_b32_e32 v44, 16, v39
	v_and_b32_e32 v38, 0xffff, v38
	v_and_b32_e32 v39, 0xffff, v39
	s_delay_alu instid0(VALU_DEP_4) | instskip(NEXT) | instid1(VALU_DEP_4)
	v_mul_u32_u24_e32 v43, 0x10001, v43
	v_mul_u32_u24_e32 v44, 0x10001, v44
	s_delay_alu instid0(VALU_DEP_4) | instskip(NEXT) | instid1(VALU_DEP_4)
	v_mul_u32_u24_e32 v38, 0x10001, v38
	v_mul_u32_u24_e32 v39, 0x10001, v39
	s_delay_alu instid0(VALU_DEP_4) | instskip(NEXT) | instid1(VALU_DEP_4)
	v_pk_fma_f16 v42, v41, v43, v42
	v_pk_fma_f16 v44, v41, v44, v40
	s_delay_alu instid0(VALU_DEP_4) | instskip(NEXT) | instid1(VALU_DEP_4)
	v_pk_fma_f16 v45, v41, v38, v36
	v_pk_fma_f16 v43, v41, v39, v37
	ds_load_2addr_b32 v[40:41], v103 offset1:32
	ds_load_b128 v[36:39], v81 offset:832
	s_wait_dscnt 0x0
	v_lshrrev_b32_e32 v46, 16, v36
	v_lshrrev_b32_e32 v47, 16, v37
	v_and_b32_e32 v36, 0xffff, v36
	v_and_b32_e32 v37, 0xffff, v37
	s_delay_alu instid0(VALU_DEP_4) | instskip(NEXT) | instid1(VALU_DEP_4)
	v_mul_u32_u24_e32 v46, 0x10001, v46
	v_mul_u32_u24_e32 v47, 0x10001, v47
	s_delay_alu instid0(VALU_DEP_4) | instskip(NEXT) | instid1(VALU_DEP_4)
	v_mul_u32_u24_e32 v36, 0x10001, v36
	v_mul_u32_u24_e32 v37, 0x10001, v37
	s_delay_alu instid0(VALU_DEP_4) | instskip(NEXT) | instid1(VALU_DEP_3)
	v_pk_fma_f16 v42, v40, v46, v42
	v_pk_fma_f16 v36, v40, v36, v45
	s_delay_alu instid0(VALU_DEP_3)
	v_pk_fma_f16 v37, v40, v37, v43
	v_pk_fma_f16 v40, v40, v47, v44
	v_lshrrev_b32_e32 v43, 16, v38
	v_lshrrev_b32_e32 v44, 16, v39
	v_and_b32_e32 v38, 0xffff, v38
	v_and_b32_e32 v39, 0xffff, v39
	s_delay_alu instid0(VALU_DEP_4) | instskip(NEXT) | instid1(VALU_DEP_4)
	v_mul_u32_u24_e32 v43, 0x10001, v43
	v_mul_u32_u24_e32 v44, 0x10001, v44
	s_delay_alu instid0(VALU_DEP_4) | instskip(NEXT) | instid1(VALU_DEP_4)
	v_mul_u32_u24_e32 v38, 0x10001, v38
	v_mul_u32_u24_e32 v39, 0x10001, v39
	s_delay_alu instid0(VALU_DEP_4) | instskip(NEXT) | instid1(VALU_DEP_4)
	v_pk_fma_f16 v42, v41, v43, v42
	v_pk_fma_f16 v44, v41, v44, v40
	s_delay_alu instid0(VALU_DEP_4) | instskip(NEXT) | instid1(VALU_DEP_4)
	v_pk_fma_f16 v45, v41, v38, v36
	v_pk_fma_f16 v43, v41, v39, v37
	ds_load_2addr_b32 v[40:41], v103 offset0:64 offset1:96
	ds_load_b128 v[36:39], v81 offset:848
	s_wait_dscnt 0x0
	v_lshrrev_b32_e32 v46, 16, v36
	v_lshrrev_b32_e32 v47, 16, v37
	v_and_b32_e32 v36, 0xffff, v36
	v_and_b32_e32 v37, 0xffff, v37
	s_delay_alu instid0(VALU_DEP_4) | instskip(NEXT) | instid1(VALU_DEP_4)
	v_mul_u32_u24_e32 v46, 0x10001, v46
	v_mul_u32_u24_e32 v47, 0x10001, v47
	s_delay_alu instid0(VALU_DEP_4) | instskip(NEXT) | instid1(VALU_DEP_4)
	v_mul_u32_u24_e32 v36, 0x10001, v36
	v_mul_u32_u24_e32 v37, 0x10001, v37
	s_delay_alu instid0(VALU_DEP_4) | instskip(NEXT) | instid1(VALU_DEP_3)
	v_pk_fma_f16 v42, v40, v46, v42
	v_pk_fma_f16 v36, v40, v36, v45
	s_delay_alu instid0(VALU_DEP_3)
	v_pk_fma_f16 v37, v40, v37, v43
	v_pk_fma_f16 v40, v40, v47, v44
	v_lshrrev_b32_e32 v43, 16, v38
	v_lshrrev_b32_e32 v44, 16, v39
	v_and_b32_e32 v38, 0xffff, v38
	v_and_b32_e32 v39, 0xffff, v39
	s_delay_alu instid0(VALU_DEP_4) | instskip(NEXT) | instid1(VALU_DEP_4)
	v_mul_u32_u24_e32 v43, 0x10001, v43
	v_mul_u32_u24_e32 v44, 0x10001, v44
	s_delay_alu instid0(VALU_DEP_4) | instskip(NEXT) | instid1(VALU_DEP_4)
	v_mul_u32_u24_e32 v38, 0x10001, v38
	v_mul_u32_u24_e32 v39, 0x10001, v39
	s_delay_alu instid0(VALU_DEP_4) | instskip(NEXT) | instid1(VALU_DEP_4)
	v_pk_fma_f16 v42, v41, v43, v42
	v_pk_fma_f16 v44, v41, v44, v40
	s_delay_alu instid0(VALU_DEP_4) | instskip(NEXT) | instid1(VALU_DEP_4)
	v_pk_fma_f16 v45, v41, v38, v36
	v_pk_fma_f16 v43, v41, v39, v37
	ds_load_2addr_b32 v[40:41], v103 offset0:128 offset1:160
	;; [unrolled: 35-line block ×3, first 2 shown]
	ds_load_b128 v[36:39], v81 offset:880
	s_wait_dscnt 0x0
	v_lshrrev_b32_e32 v46, 16, v36
	v_lshrrev_b32_e32 v47, 16, v37
	v_and_b32_e32 v36, 0xffff, v36
	v_and_b32_e32 v37, 0xffff, v37
	s_delay_alu instid0(VALU_DEP_4) | instskip(NEXT) | instid1(VALU_DEP_4)
	v_mul_u32_u24_e32 v46, 0x10001, v46
	v_mul_u32_u24_e32 v47, 0x10001, v47
	s_delay_alu instid0(VALU_DEP_4) | instskip(NEXT) | instid1(VALU_DEP_4)
	v_mul_u32_u24_e32 v36, 0x10001, v36
	v_mul_u32_u24_e32 v37, 0x10001, v37
	s_delay_alu instid0(VALU_DEP_4) | instskip(NEXT) | instid1(VALU_DEP_3)
	v_pk_fma_f16 v42, v40, v46, v42
	v_pk_fma_f16 v36, v40, v36, v45
	s_delay_alu instid0(VALU_DEP_3)
	v_pk_fma_f16 v37, v40, v37, v43
	v_pk_fma_f16 v40, v40, v47, v44
	v_lshrrev_b32_e32 v43, 16, v38
	v_lshrrev_b32_e32 v44, 16, v39
	v_and_b32_e32 v38, 0xffff, v38
	v_and_b32_e32 v39, 0xffff, v39
	s_delay_alu instid0(VALU_DEP_4) | instskip(NEXT) | instid1(VALU_DEP_4)
	v_mul_u32_u24_e32 v43, 0x10001, v43
	v_mul_u32_u24_e32 v44, 0x10001, v44
	s_delay_alu instid0(VALU_DEP_4) | instskip(NEXT) | instid1(VALU_DEP_4)
	v_mul_u32_u24_e32 v38, 0x10001, v38
	v_mul_u32_u24_e32 v39, 0x10001, v39
	s_delay_alu instid0(VALU_DEP_4) | instskip(NEXT) | instid1(VALU_DEP_4)
	v_pk_fma_f16 v42, v41, v43, v42
	v_pk_fma_f16 v44, v41, v44, v40
	s_delay_alu instid0(VALU_DEP_4) | instskip(NEXT) | instid1(VALU_DEP_4)
	v_pk_fma_f16 v45, v41, v38, v36
	v_pk_fma_f16 v43, v41, v39, v37
	ds_load_2addr_b32 v[40:41], v104 offset1:32
	ds_load_b128 v[36:39], v81 offset:896
	s_wait_dscnt 0x0
	v_lshrrev_b32_e32 v46, 16, v36
	v_lshrrev_b32_e32 v47, 16, v37
	v_and_b32_e32 v36, 0xffff, v36
	v_and_b32_e32 v37, 0xffff, v37
	s_delay_alu instid0(VALU_DEP_4) | instskip(NEXT) | instid1(VALU_DEP_4)
	v_mul_u32_u24_e32 v46, 0x10001, v46
	v_mul_u32_u24_e32 v47, 0x10001, v47
	s_delay_alu instid0(VALU_DEP_4) | instskip(NEXT) | instid1(VALU_DEP_4)
	v_mul_u32_u24_e32 v36, 0x10001, v36
	v_mul_u32_u24_e32 v37, 0x10001, v37
	s_delay_alu instid0(VALU_DEP_4) | instskip(NEXT) | instid1(VALU_DEP_3)
	v_pk_fma_f16 v42, v40, v46, v42
	v_pk_fma_f16 v36, v40, v36, v45
	s_delay_alu instid0(VALU_DEP_3)
	v_pk_fma_f16 v37, v40, v37, v43
	v_pk_fma_f16 v40, v40, v47, v44
	v_lshrrev_b32_e32 v43, 16, v38
	v_lshrrev_b32_e32 v44, 16, v39
	v_and_b32_e32 v38, 0xffff, v38
	v_and_b32_e32 v39, 0xffff, v39
	s_delay_alu instid0(VALU_DEP_4) | instskip(NEXT) | instid1(VALU_DEP_4)
	v_mul_u32_u24_e32 v43, 0x10001, v43
	v_mul_u32_u24_e32 v44, 0x10001, v44
	s_delay_alu instid0(VALU_DEP_4) | instskip(NEXT) | instid1(VALU_DEP_4)
	v_mul_u32_u24_e32 v38, 0x10001, v38
	v_mul_u32_u24_e32 v39, 0x10001, v39
	s_delay_alu instid0(VALU_DEP_4) | instskip(NEXT) | instid1(VALU_DEP_4)
	v_pk_fma_f16 v42, v41, v43, v42
	v_pk_fma_f16 v44, v41, v44, v40
	s_delay_alu instid0(VALU_DEP_4) | instskip(NEXT) | instid1(VALU_DEP_4)
	v_pk_fma_f16 v45, v41, v38, v36
	v_pk_fma_f16 v43, v41, v39, v37
	ds_load_2addr_b32 v[40:41], v104 offset0:64 offset1:96
	ds_load_b128 v[36:39], v81 offset:912
	s_wait_dscnt 0x0
	v_lshrrev_b32_e32 v46, 16, v36
	v_lshrrev_b32_e32 v47, 16, v37
	v_and_b32_e32 v36, 0xffff, v36
	v_and_b32_e32 v37, 0xffff, v37
	s_delay_alu instid0(VALU_DEP_4) | instskip(NEXT) | instid1(VALU_DEP_4)
	v_mul_u32_u24_e32 v46, 0x10001, v46
	v_mul_u32_u24_e32 v47, 0x10001, v47
	s_delay_alu instid0(VALU_DEP_4) | instskip(NEXT) | instid1(VALU_DEP_4)
	v_mul_u32_u24_e32 v36, 0x10001, v36
	v_mul_u32_u24_e32 v37, 0x10001, v37
	s_delay_alu instid0(VALU_DEP_4) | instskip(NEXT) | instid1(VALU_DEP_3)
	v_pk_fma_f16 v42, v40, v46, v42
	v_pk_fma_f16 v36, v40, v36, v45
	s_delay_alu instid0(VALU_DEP_3)
	v_pk_fma_f16 v37, v40, v37, v43
	v_pk_fma_f16 v40, v40, v47, v44
	v_lshrrev_b32_e32 v43, 16, v38
	v_lshrrev_b32_e32 v44, 16, v39
	v_and_b32_e32 v38, 0xffff, v38
	v_and_b32_e32 v39, 0xffff, v39
	s_delay_alu instid0(VALU_DEP_4) | instskip(NEXT) | instid1(VALU_DEP_4)
	v_mul_u32_u24_e32 v43, 0x10001, v43
	v_mul_u32_u24_e32 v44, 0x10001, v44
	s_delay_alu instid0(VALU_DEP_4) | instskip(NEXT) | instid1(VALU_DEP_4)
	v_mul_u32_u24_e32 v38, 0x10001, v38
	v_mul_u32_u24_e32 v39, 0x10001, v39
	s_delay_alu instid0(VALU_DEP_4) | instskip(NEXT) | instid1(VALU_DEP_4)
	v_pk_fma_f16 v42, v41, v43, v42
	v_pk_fma_f16 v44, v41, v44, v40
	s_delay_alu instid0(VALU_DEP_4) | instskip(NEXT) | instid1(VALU_DEP_4)
	v_pk_fma_f16 v45, v41, v38, v36
	v_pk_fma_f16 v43, v41, v39, v37
	ds_load_2addr_b32 v[40:41], v104 offset0:128 offset1:160
	;; [unrolled: 35-line block ×3, first 2 shown]
	ds_load_b128 v[36:39], v81 offset:944
	s_wait_dscnt 0x0
	v_lshrrev_b32_e32 v46, 16, v36
	v_lshrrev_b32_e32 v47, 16, v37
	v_and_b32_e32 v36, 0xffff, v36
	v_and_b32_e32 v37, 0xffff, v37
	s_delay_alu instid0(VALU_DEP_4) | instskip(NEXT) | instid1(VALU_DEP_4)
	v_mul_u32_u24_e32 v46, 0x10001, v46
	v_mul_u32_u24_e32 v47, 0x10001, v47
	s_delay_alu instid0(VALU_DEP_4) | instskip(NEXT) | instid1(VALU_DEP_4)
	v_mul_u32_u24_e32 v36, 0x10001, v36
	v_mul_u32_u24_e32 v37, 0x10001, v37
	s_delay_alu instid0(VALU_DEP_4) | instskip(NEXT) | instid1(VALU_DEP_3)
	v_pk_fma_f16 v42, v40, v46, v42
	v_pk_fma_f16 v36, v40, v36, v45
	s_delay_alu instid0(VALU_DEP_3)
	v_pk_fma_f16 v37, v40, v37, v43
	v_pk_fma_f16 v40, v40, v47, v44
	v_lshrrev_b32_e32 v43, 16, v38
	v_lshrrev_b32_e32 v44, 16, v39
	v_and_b32_e32 v38, 0xffff, v38
	v_and_b32_e32 v39, 0xffff, v39
	s_delay_alu instid0(VALU_DEP_4) | instskip(NEXT) | instid1(VALU_DEP_4)
	v_mul_u32_u24_e32 v43, 0x10001, v43
	v_mul_u32_u24_e32 v44, 0x10001, v44
	s_delay_alu instid0(VALU_DEP_4) | instskip(NEXT) | instid1(VALU_DEP_4)
	v_mul_u32_u24_e32 v38, 0x10001, v38
	v_mul_u32_u24_e32 v39, 0x10001, v39
	s_delay_alu instid0(VALU_DEP_4) | instskip(NEXT) | instid1(VALU_DEP_4)
	v_pk_fma_f16 v42, v41, v43, v42
	v_pk_fma_f16 v44, v41, v44, v40
	s_delay_alu instid0(VALU_DEP_4) | instskip(NEXT) | instid1(VALU_DEP_4)
	v_pk_fma_f16 v45, v41, v38, v36
	v_pk_fma_f16 v43, v41, v39, v37
	ds_load_2addr_b32 v[40:41], v105 offset1:32
	ds_load_b128 v[36:39], v81 offset:960
	s_wait_dscnt 0x0
	v_lshrrev_b32_e32 v46, 16, v36
	v_lshrrev_b32_e32 v47, 16, v37
	v_and_b32_e32 v36, 0xffff, v36
	v_and_b32_e32 v37, 0xffff, v37
	s_delay_alu instid0(VALU_DEP_4) | instskip(NEXT) | instid1(VALU_DEP_4)
	v_mul_u32_u24_e32 v46, 0x10001, v46
	v_mul_u32_u24_e32 v47, 0x10001, v47
	s_delay_alu instid0(VALU_DEP_4) | instskip(NEXT) | instid1(VALU_DEP_4)
	v_mul_u32_u24_e32 v36, 0x10001, v36
	v_mul_u32_u24_e32 v37, 0x10001, v37
	s_delay_alu instid0(VALU_DEP_4) | instskip(NEXT) | instid1(VALU_DEP_3)
	v_pk_fma_f16 v42, v40, v46, v42
	v_pk_fma_f16 v36, v40, v36, v45
	s_delay_alu instid0(VALU_DEP_3)
	v_pk_fma_f16 v37, v40, v37, v43
	v_pk_fma_f16 v40, v40, v47, v44
	v_lshrrev_b32_e32 v43, 16, v38
	v_lshrrev_b32_e32 v44, 16, v39
	v_and_b32_e32 v38, 0xffff, v38
	v_and_b32_e32 v39, 0xffff, v39
	s_delay_alu instid0(VALU_DEP_4) | instskip(NEXT) | instid1(VALU_DEP_4)
	v_mul_u32_u24_e32 v43, 0x10001, v43
	v_mul_u32_u24_e32 v44, 0x10001, v44
	s_delay_alu instid0(VALU_DEP_4) | instskip(NEXT) | instid1(VALU_DEP_4)
	v_mul_u32_u24_e32 v38, 0x10001, v38
	v_mul_u32_u24_e32 v39, 0x10001, v39
	s_delay_alu instid0(VALU_DEP_4) | instskip(NEXT) | instid1(VALU_DEP_4)
	v_pk_fma_f16 v42, v41, v43, v42
	v_pk_fma_f16 v44, v41, v44, v40
	s_delay_alu instid0(VALU_DEP_4) | instskip(NEXT) | instid1(VALU_DEP_4)
	v_pk_fma_f16 v45, v41, v38, v36
	v_pk_fma_f16 v43, v41, v39, v37
	ds_load_2addr_b32 v[40:41], v105 offset0:64 offset1:96
	ds_load_b128 v[36:39], v81 offset:976
	s_wait_dscnt 0x0
	v_lshrrev_b32_e32 v46, 16, v36
	v_lshrrev_b32_e32 v47, 16, v37
	v_and_b32_e32 v36, 0xffff, v36
	v_and_b32_e32 v37, 0xffff, v37
	s_delay_alu instid0(VALU_DEP_4) | instskip(NEXT) | instid1(VALU_DEP_4)
	v_mul_u32_u24_e32 v46, 0x10001, v46
	v_mul_u32_u24_e32 v47, 0x10001, v47
	s_delay_alu instid0(VALU_DEP_4) | instskip(NEXT) | instid1(VALU_DEP_4)
	v_mul_u32_u24_e32 v36, 0x10001, v36
	v_mul_u32_u24_e32 v37, 0x10001, v37
	s_delay_alu instid0(VALU_DEP_4) | instskip(NEXT) | instid1(VALU_DEP_3)
	v_pk_fma_f16 v42, v40, v46, v42
	v_pk_fma_f16 v36, v40, v36, v45
	s_delay_alu instid0(VALU_DEP_3)
	v_pk_fma_f16 v37, v40, v37, v43
	v_pk_fma_f16 v40, v40, v47, v44
	v_lshrrev_b32_e32 v43, 16, v38
	v_lshrrev_b32_e32 v44, 16, v39
	v_and_b32_e32 v38, 0xffff, v38
	v_and_b32_e32 v39, 0xffff, v39
	s_delay_alu instid0(VALU_DEP_4) | instskip(NEXT) | instid1(VALU_DEP_4)
	v_mul_u32_u24_e32 v43, 0x10001, v43
	v_mul_u32_u24_e32 v44, 0x10001, v44
	s_delay_alu instid0(VALU_DEP_4) | instskip(NEXT) | instid1(VALU_DEP_4)
	v_mul_u32_u24_e32 v38, 0x10001, v38
	v_mul_u32_u24_e32 v39, 0x10001, v39
	s_delay_alu instid0(VALU_DEP_4) | instskip(NEXT) | instid1(VALU_DEP_4)
	v_pk_fma_f16 v42, v41, v43, v42
	v_pk_fma_f16 v44, v41, v44, v40
	s_delay_alu instid0(VALU_DEP_4) | instskip(NEXT) | instid1(VALU_DEP_4)
	v_pk_fma_f16 v45, v41, v38, v36
	v_pk_fma_f16 v43, v41, v39, v37
	ds_load_2addr_b32 v[40:41], v105 offset0:128 offset1:160
	;; [unrolled: 35-line block ×3, first 2 shown]
	ds_load_b128 v[41:44], v81 offset:1008
	s_wait_loadcnt_dscnt 0x0
	s_barrier_signal -1
	s_barrier_wait -1
	global_inv scope:SCOPE_SE
	s_load_b32 s3, s[20:21], 0x4
	v_lshrrev_b32_e32 v39, 16, v41
	v_lshrrev_b32_e32 v40, 16, v42
	v_and_b32_e32 v41, 0xffff, v41
	v_and_b32_e32 v42, 0xffff, v42
	s_delay_alu instid0(VALU_DEP_4) | instskip(NEXT) | instid1(VALU_DEP_4)
	v_mul_u32_u24_e32 v39, 0x10001, v39
	v_mul_u32_u24_e32 v48, 0x10001, v40
	s_delay_alu instid0(VALU_DEP_4) | instskip(NEXT) | instid1(VALU_DEP_4)
	v_mul_u32_u24_e32 v41, 0x10001, v41
	v_mul_u32_u24_e32 v42, 0x10001, v42
	s_wait_kmcnt 0x0
	s_lshl_b32 s3, s3, 7
	v_pk_fma_f16 v39, v36, v39, v45
	v_lshrrev_b32_e32 v45, 16, v43
	v_pk_fma_f16 v38, v36, v41, v38
	v_pk_fma_f16 v40, v36, v42, v46
	v_lshrrev_b32_e32 v41, 16, v44
	v_and_b32_e32 v42, 0xffff, v43
	v_and_b32_e32 v44, 0xffff, v44
	v_pk_fma_f16 v36, v36, v48, v47
	v_mul_u32_u24_e32 v43, 0x10001, v45
	v_mul_u32_u24_e32 v41, 0x10001, v41
	;; [unrolled: 1-line block ×4, first 2 shown]
	s_wait_alu 0xfffe
	s_add_co_i32 s10, s3, s10
	v_pk_fma_f16 v110, v37, v43, v39
	v_pk_fma_f16 v36, v37, v41, v36
	;; [unrolled: 1-line block ×4, first 2 shown]
	s_wait_alu 0xfffe
	s_cmp_ge_i32 s10, s30
	s_cbranch_scc0 .LBB40_9
; %bb.10:
	v_mov_b32_e32 v5, v59
.LBB40_11:
	v_lshlrev_b32_e32 v14, 1, v58
	v_cmp_lt_i32_e32 vcc_lo, v67, v60
	s_cmp_lg_u64 s[12:13], 0
	s_cselect_b32 s3, -1, 0
	s_cmp_eq_u32 s4, 0
	s_wait_alu 0xfffd
	v_cndmask_b32_e32 v4, v5, v67, vcc_lo
	v_cmp_lt_i32_e32 vcc_lo, v65, v60
	s_cselect_b32 s5, -1, 0
	s_wait_alu 0xfffe
	s_and_b32 s3, s5, s3
	s_wait_alu 0xfffd
	v_cndmask_b32_e32 v9, v5, v65, vcc_lo
	v_cmp_lt_i32_e32 vcc_lo, v64, v60
	s_delay_alu instid0(VALU_DEP_2)
	v_lshlrev_b32_e32 v9, 2, v9
	v_lshlrev_b32_e32 v4, 2, v4
	ds_bpermute_b32 v7, v4, v107
	s_wait_dscnt 0x0
	v_add_f32_e32 v7, v107, v7
	ds_bpermute_b32 v6, v4, v106
	ds_bpermute_b32 v8, v4, v108
	;; [unrolled: 1-line block ×4, first 2 shown]
	s_wait_dscnt 0x3
	v_add_f32_e32 v6, v106, v6
	s_wait_dscnt 0x0
	v_dual_add_f32 v4, v72, v4 :: v_dual_add_f32 v7, v7, v11
	ds_bpermute_b32 v10, v9, v6
	s_wait_alu 0xfffd
	v_cndmask_b32_e32 v13, v5, v64, vcc_lo
	v_cmp_lt_i32_e32 vcc_lo, v63, v60
	s_wait_dscnt 0x0
	v_add_f32_e32 v6, v6, v10
	s_delay_alu instid0(VALU_DEP_3)
	v_dual_add_f32 v8, v108, v8 :: v_dual_lshlrev_b32 v13, 2, v13
	ds_bpermute_b32 v12, v9, v8
	ds_bpermute_b32 v9, v9, v4
	;; [unrolled: 1-line block ×3, first 2 shown]
	s_wait_dscnt 0x2
	v_add_f32_e32 v8, v8, v12
	s_wait_dscnt 0x0
	v_dual_add_f32 v4, v4, v9 :: v_dual_add_f32 v7, v7, v10
	ds_bpermute_b32 v9, v13, v6
	ds_bpermute_b32 v11, v13, v8
	;; [unrolled: 1-line block ×3, first 2 shown]
	s_wait_alu 0xfffd
	v_cndmask_b32_e32 v13, v5, v63, vcc_lo
	v_cmp_lt_i32_e32 vcc_lo, v62, v60
	s_delay_alu instid0(VALU_DEP_2) | instskip(SKIP_4) | instid1(VALU_DEP_1)
	v_lshlrev_b32_e32 v13, 2, v13
	s_wait_alu 0xfffd
	v_cndmask_b32_e32 v5, v5, v62, vcc_lo
	s_wait_alu 0xfffe
	s_and_b32 vcc_lo, exec_lo, s3
	v_lshlrev_b32_e32 v5, 2, v5
	s_wait_dscnt 0x2
	v_add_f32_e32 v6, v6, v9
	s_wait_dscnt 0x1
	v_add_f32_e32 v8, v8, v11
	;; [unrolled: 2-line block ×3, first 2 shown]
	ds_bpermute_b32 v10, v13, v7
	ds_bpermute_b32 v9, v13, v6
	;; [unrolled: 1-line block ×4, first 2 shown]
	s_wait_dscnt 0x2
	v_dual_add_f32 v7, v7, v10 :: v_dual_add_f32 v6, v6, v9
	s_wait_dscnt 0x0
	v_add_f32_e32 v9, v4, v12
	ds_bpermute_b32 v10, v5, v7
	v_add_f32_e32 v8, v8, v11
	ds_bpermute_b32 v4, v5, v6
	ds_bpermute_b32 v12, v5, v9
	;; [unrolled: 1-line block ×3, first 2 shown]
	s_wait_dscnt 0x2
	v_dual_add_f32 v5, v7, v10 :: v_dual_add_f32 v4, v6, v4
	s_wait_dscnt 0x0
	v_dual_add_f32 v7, v9, v12 :: v_dual_add_f32 v6, v8, v11
	s_wait_alu 0xfffe
	s_cbranch_vccz .LBB40_13
; %bb.12:
	s_ashr_i32 s3, s2, 31
	v_dual_mov_b32 v8, 0 :: v_dual_max_num_f32 v9, v1, v1
	s_wait_alu 0xfffe
	s_lshl_b64 s[6:7], s[2:3], 2
	v_max_num_f32_e32 v15, v2, v2
	s_add_nc_u64 s[6:7], s[12:13], s[6:7]
	global_load_b64 v[12:13], v8, s[6:7]
	s_wait_loadcnt 0x0
	v_dual_max_num_f32 v8, v0, v0 :: v_dual_max_num_f32 v11, v13, v13
	s_delay_alu instid0(VALU_DEP_1) | instskip(NEXT) | instid1(VALU_DEP_1)
	v_dual_max_num_f32 v10, v12, v12 :: v_dual_max_num_f32 v9, v9, v11
	v_max_num_f32_e32 v8, v8, v10
	v_max_num_f32_e32 v16, v3, v3
	s_delay_alu instid0(VALU_DEP_3) | instskip(NEXT) | instid1(VALU_DEP_3)
	v_dual_max_num_f32 v10, v15, v10 :: v_dual_sub_f32 v17, v1, v9
	v_sub_f32_e32 v15, v0, v8
	s_delay_alu instid0(VALU_DEP_3) | instskip(SKIP_1) | instid1(VALU_DEP_4)
	v_max_num_f32_e32 v11, v16, v11
	v_sub_f32_e32 v16, v12, v8
	v_dual_sub_f32 v18, v13, v9 :: v_dual_sub_f32 v19, v2, v10
	s_delay_alu instid0(VALU_DEP_3)
	v_dual_sub_f32 v12, v12, v10 :: v_dual_sub_f32 v13, v13, v11
	v_sub_f32_e32 v20, v3, v11
	v_dual_mov_b32 v0, v8 :: v_dual_mov_b32 v3, v11
	v_dual_mov_b32 v1, v9 :: v_dual_mov_b32 v2, v10
	v_dual_mul_f32 v9, 0x3fb8aa3b, v16 :: v_dual_mul_f32 v8, 0x3fb8aa3b, v15
	v_dual_mul_f32 v11, 0x3fb8aa3b, v18 :: v_dual_mul_f32 v10, 0x3fb8aa3b, v17
	v_mul_f32_e32 v21, 0x3fb8aa3b, v19
	v_dual_mul_f32 v23, 0x3fb8aa3b, v20 :: v_dual_mul_f32 v24, 0x3fb8aa3b, v13
	s_delay_alu instid0(VALU_DEP_4) | instskip(SKIP_1) | instid1(VALU_DEP_4)
	v_fma_f32 v25, 0x3fb8aa3b, v15, -v8
	v_rndne_f32_e32 v26, v8
	v_fma_f32 v33, 0x3fb8aa3b, v19, -v21
	v_fma_f32 v27, 0x3fb8aa3b, v16, -v9
	v_rndne_f32_e32 v28, v9
	s_delay_alu instid0(VALU_DEP_4) | instskip(NEXT) | instid1(VALU_DEP_4)
	v_dual_fmac_f32 v25, 0x32a5705f, v15 :: v_dual_sub_f32 v8, v8, v26
	v_fmac_f32_e32 v33, 0x32a5705f, v19
	v_rndne_f32_e32 v34, v21
	v_mul_f32_e32 v22, 0x3fb8aa3b, v12
	v_fma_f32 v29, 0x3fb8aa3b, v17, -v10
	v_add_f32_e32 v8, v8, v25
	v_rndne_f32_e32 v30, v10
	v_fma_f32 v38, 0x3fb8aa3b, v20, -v23
	v_cvt_i32_f32_e32 v26, v26
	v_fmac_f32_e32 v27, 0x32a5705f, v16
	v_exp_f32_e32 v8, v8
	v_sub_f32_e32 v21, v21, v34
	v_fma_f32 v35, 0x3fb8aa3b, v12, -v22
	v_rndne_f32_e32 v37, v22
	v_sub_f32_e32 v9, v9, v28
	v_dual_fmac_f32 v29, 0x32a5705f, v17 :: v_dual_fmac_f32 v38, 0x32a5705f, v20
	s_delay_alu instid0(VALU_DEP_4) | instskip(NEXT) | instid1(VALU_DEP_4)
	v_dual_sub_f32 v10, v10, v30 :: v_dual_fmac_f32 v35, 0x32a5705f, v12
	v_sub_f32_e32 v22, v22, v37
	s_delay_alu instid0(TRANS32_DEP_1) | instskip(SKIP_1) | instid1(VALU_DEP_4)
	v_ldexp_f32 v8, v8, v26
	v_cmp_ngt_f32_e32 vcc_lo, 0xc2ce8ed0, v15
	v_dual_add_f32 v9, v9, v27 :: v_dual_add_f32 v10, v10, v29
	s_delay_alu instid0(VALU_DEP_4) | instskip(SKIP_2) | instid1(VALU_DEP_3)
	v_dual_add_f32 v21, v21, v33 :: v_dual_add_f32 v22, v22, v35
	s_wait_alu 0xfffd
	v_cndmask_b32_e32 v8, 0, v8, vcc_lo
	v_exp_f32_e32 v9, v9
	v_fma_f32 v31, 0x3fb8aa3b, v18, -v11
	v_rndne_f32_e32 v32, v11
	v_fma_f32 v40, 0x3fb8aa3b, v13, -v24
	v_rndne_f32_e32 v41, v24
	v_cvt_i32_f32_e32 v28, v28
	v_exp_f32_e32 v10, v10
	v_exp_f32_e32 v22, v22
	v_rndne_f32_e32 v39, v23
	v_cvt_i32_f32_e32 v30, v30
	v_dual_fmac_f32 v31, 0x32a5705f, v18 :: v_dual_fmac_f32 v40, 0x32a5705f, v13
	v_dual_sub_f32 v11, v11, v32 :: v_dual_sub_f32 v24, v24, v41
	v_cvt_i32_f32_e32 v37, v37
	v_ldexp_f32 v9, v9, v28
	v_cmp_ngt_f32_e32 vcc_lo, 0xc2ce8ed0, v16
	s_delay_alu instid0(VALU_DEP_4)
	v_dual_sub_f32 v23, v23, v39 :: v_dual_add_f32 v24, v24, v40
	v_ldexp_f32 v10, v10, v30
	v_ldexp_f32 v22, v22, v37
	s_wait_alu 0xfffd
	v_cndmask_b32_e32 v9, 0, v9, vcc_lo
	v_cmp_ngt_f32_e32 vcc_lo, 0xc2ce8ed0, v17
	v_add_f32_e32 v11, v11, v31
	v_exp_f32_e32 v24, v24
	v_cvt_i32_f32_e32 v32, v32
	v_exp_f32_e32 v21, v21
	s_wait_alu 0xfffd
	v_cndmask_b32_e32 v10, 0, v10, vcc_lo
	v_exp_f32_e32 v11, v11
	v_cvt_i32_f32_e32 v27, v41
	v_cvt_i32_f32_e32 v34, v34
	v_cmp_ngt_f32_e32 vcc_lo, 0xc2ce8ed0, v18
	v_cvt_i32_f32_e32 v25, v39
	s_delay_alu instid0(VALU_DEP_4) | instskip(SKIP_2) | instid1(TRANS32_DEP_1)
	v_ldexp_f32 v24, v24, v27
	v_add_f32_e32 v23, v23, v38
	v_ldexp_f32 v21, v21, v34
	v_ldexp_f32 v11, v11, v32
	s_delay_alu instid0(VALU_DEP_3) | instskip(SKIP_1) | instid1(VALU_DEP_1)
	v_exp_f32_e32 v23, v23
	s_wait_alu 0xfffd
	v_cndmask_b32_e32 v11, 0, v11, vcc_lo
	v_cmp_ngt_f32_e32 vcc_lo, 0xc2ce8ed0, v19
	s_wait_alu 0xfffd
	v_cndmask_b32_e32 v21, 0, v21, vcc_lo
	v_cmp_ngt_f32_e32 vcc_lo, 0xc2ce8ed0, v12
	s_delay_alu instid0(TRANS32_DEP_1)
	v_ldexp_f32 v23, v23, v25
	s_wait_alu 0xfffd
	v_cndmask_b32_e32 v22, 0, v22, vcc_lo
	v_cmp_ngt_f32_e32 vcc_lo, 0xc2ce8ed0, v20
	s_wait_alu 0xfffd
	v_cndmask_b32_e32 v23, 0, v23, vcc_lo
	v_cmp_ngt_f32_e32 vcc_lo, 0xc2ce8ed0, v13
	s_wait_alu 0xfffd
	v_cndmask_b32_e32 v24, 0, v24, vcc_lo
	v_cmp_nlt_f32_e32 vcc_lo, 0x42b17218, v15
	s_wait_alu 0xfffd
	v_cndmask_b32_e32 v15, 0x7f800000, v8, vcc_lo
	v_cmp_nlt_f32_e32 vcc_lo, 0x42b17218, v16
	;; [unrolled: 3-line block ×5, first 2 shown]
	s_delay_alu instid0(VALU_DEP_2)
	v_dual_fmac_f32 v9, v5, v16 :: v_dual_fmac_f32 v8, v4, v15
	s_wait_alu 0xfffd
	v_cndmask_b32_e32 v17, 0x7f800000, v21, vcc_lo
	v_cmp_nlt_f32_e32 vcc_lo, 0x42b17218, v12
	v_cvt_f16_f32_e32 v4, v15
	s_wait_alu 0xfffd
	v_cndmask_b32_e32 v10, 0x7f800000, v22, vcc_lo
	v_cmp_nlt_f32_e32 vcc_lo, 0x42b17218, v20
	s_wait_alu 0xfffd
	v_cndmask_b32_e32 v12, 0x7f800000, v23, vcc_lo
	v_cmp_nlt_f32_e32 vcc_lo, 0x42b17218, v13
	s_wait_alu 0xfffd
	v_cndmask_b32_e32 v11, 0x7f800000, v24, vcc_lo
	s_delay_alu instid0(VALU_DEP_1) | instskip(SKIP_3) | instid1(VALU_DEP_3)
	v_fmac_f32_e32 v11, v7, v12
	v_and_b32_e32 v7, 0xffff, v4
	v_cvt_f16_f32_e32 v5, v16
	v_mov_b32_e32 v4, v8
	v_mul_u32_u24_e32 v7, 0x10001, v7
	s_delay_alu instid0(VALU_DEP_1)
	v_pk_mul_f16 v111, v111, v7
	v_mov_b32_e32 v7, v11
	v_cvt_f16_f32_e32 v13, v12
	v_dual_mov_b32 v5, v9 :: v_dual_and_b32 v12, 0xffff, v5
	v_fmac_f32_e32 v10, v6, v17
	v_cvt_f16_f32_e32 v6, v17
	s_delay_alu instid0(VALU_DEP_4) | instskip(NEXT) | instid1(VALU_DEP_4)
	v_and_b32_e32 v13, 0xffff, v13
	v_mul_u32_u24_e32 v12, 0x10001, v12
	s_delay_alu instid0(VALU_DEP_3) | instskip(NEXT) | instid1(VALU_DEP_3)
	v_and_b32_e32 v6, 0xffff, v6
	v_mul_u32_u24_e32 v13, 0x10001, v13
	s_delay_alu instid0(VALU_DEP_3) | instskip(NEXT) | instid1(VALU_DEP_3)
	v_pk_mul_f16 v110, v110, v12
	v_mul_u32_u24_e32 v15, 0x10001, v6
	v_mov_b32_e32 v6, v10
	s_delay_alu instid0(VALU_DEP_4) | instskip(NEXT) | instid1(VALU_DEP_3)
	v_pk_mul_f16 v36, v36, v13
	v_pk_mul_f16 v109, v109, v15
	s_mov_b32 s3, exec_lo
	v_cmpx_gt_i32_e64 s22, v57
	s_cbranch_execnz .LBB40_14
	s_branch .LBB40_32
.LBB40_13:
	s_delay_alu instid0(VALU_DEP_1)
	v_dual_mov_b32 v11, v7 :: v_dual_mov_b32 v10, v6
	v_dual_mov_b32 v9, v5 :: v_dual_mov_b32 v8, v4
	s_mov_b32 s3, exec_lo
	v_cmpx_gt_i32_e64 s22, v57
	s_cbranch_execz .LBB40_32
.LBB40_14:
	s_load_b32 s1, s[0:1], 0xd4
	v_mov_b32_e32 v15, 1.0
	s_wait_kmcnt 0x0
	s_cmp_lg_u32 s1, 1
	s_cselect_b32 s5, -1, 0
	s_cmp_eq_u32 s1, 1
	s_cselect_b32 s6, -1, 0
	s_wait_alu 0xfffe
	s_and_b32 vcc_lo, exec_lo, s5
	s_wait_alu 0xfffe
	s_cbranch_vccnz .LBB40_16
; %bb.15:
	v_div_scale_f32 v12, null, v4, v4, 1.0
	s_delay_alu instid0(VALU_DEP_1) | instskip(NEXT) | instid1(TRANS32_DEP_1)
	v_rcp_f32_e32 v13, v12
	v_fma_f32 v15, -v12, v13, 1.0
	s_delay_alu instid0(VALU_DEP_1) | instskip(SKIP_1) | instid1(VALU_DEP_1)
	v_fmac_f32_e32 v13, v15, v13
	v_div_scale_f32 v15, vcc_lo, 1.0, v4, 1.0
	v_mul_f32_e32 v16, v15, v13
	s_delay_alu instid0(VALU_DEP_1) | instskip(NEXT) | instid1(VALU_DEP_1)
	v_fma_f32 v17, -v12, v16, v15
	v_fmac_f32_e32 v16, v17, v13
	s_delay_alu instid0(VALU_DEP_1) | instskip(SKIP_1) | instid1(VALU_DEP_1)
	v_fma_f32 v12, -v12, v16, v15
	s_wait_alu 0xfffd
	v_div_fmas_f32 v12, v12, v13, v16
	s_delay_alu instid0(VALU_DEP_1)
	v_div_fixup_f32 v15, v12, v4, 1.0
.LBB40_16:
	s_mul_i32 s3, s28, s22
	v_cvt_f32_f16_e32 v18, v111
	s_wait_alu 0xfffe
	s_add_co_i32 s3, s3, s31
	v_cmp_eq_u32_e32 vcc_lo, 0, v58
	s_wait_alu 0xfffe
	v_dual_mov_b32 v17, 0 :: v_dual_add_nc_u32 v4, s3, v56
	v_mul_f32_e32 v18, v15, v18
	s_delay_alu instid0(VALU_DEP_2) | instskip(NEXT) | instid1(VALU_DEP_1)
	v_mul_lo_u32 v4, v4, s23
	v_add_nc_u32_e32 v12, s2, v4
	s_delay_alu instid0(VALU_DEP_1) | instskip(SKIP_2) | instid1(VALU_DEP_1)
	v_mad_co_u64_u32 v[12:13], null, s1, v12, s[4:5]
	v_lshrrev_b32_e32 v13, 16, v111
	s_and_b32 s5, vcc_lo, s5
	v_cvt_f32_f16_e32 v13, v13
	s_delay_alu instid0(VALU_DEP_3) | instskip(NEXT) | instid1(VALU_DEP_2)
	v_lshl_add_u32 v16, v12, 6, v14
	v_mul_f32_e32 v19, v15, v13
	s_delay_alu instid0(VALU_DEP_2) | instskip(NEXT) | instid1(VALU_DEP_1)
	v_lshlrev_b64_e32 v[16:17], 2, v[16:17]
	v_add_co_u32 v15, s0, s16, v16
	s_wait_alu 0xf1ff
	s_delay_alu instid0(VALU_DEP_2)
	v_add_co_ci_u32_e64 v16, null, s17, v17, s0
	global_store_b64 v[15:16], v[18:19], off
	s_wait_alu 0xfffe
	s_and_saveexec_b32 s0, s5
	s_cbranch_execz .LBB40_18
; %bb.17:
	v_ashrrev_i32_e32 v13, 31, v12
	v_dual_mov_b32 v15, v0 :: v_dual_mov_b32 v16, v8
	s_delay_alu instid0(VALU_DEP_2) | instskip(NEXT) | instid1(VALU_DEP_1)
	v_lshlrev_b64_e32 v[12:13], 3, v[12:13]
	v_add_co_u32 v12, vcc_lo, s18, v12
	s_wait_alu 0xfffd
	s_delay_alu instid0(VALU_DEP_2)
	v_add_co_ci_u32_e64 v13, null, s19, v13, vcc_lo
	global_store_b64 v[12:13], v[15:16], off
.LBB40_18:
	s_wait_alu 0xfffe
	s_or_b32 exec_lo, exec_lo, s0
	v_cndmask_b32_e64 v12, 0, 1, s6
	v_mov_b32_e32 v0, 1.0
	s_and_not1_b32 vcc_lo, exec_lo, s6
	s_wait_alu 0xfffe
	s_cbranch_vccnz .LBB40_20
; %bb.19:
	v_div_scale_f32 v0, null, v5, v5, 1.0
	s_delay_alu instid0(VALU_DEP_1) | instskip(NEXT) | instid1(TRANS32_DEP_1)
	v_rcp_f32_e32 v8, v0
	v_fma_f32 v13, -v0, v8, 1.0
	s_delay_alu instid0(VALU_DEP_1) | instskip(SKIP_1) | instid1(VALU_DEP_1)
	v_fmac_f32_e32 v8, v13, v8
	v_div_scale_f32 v13, vcc_lo, 1.0, v5, 1.0
	v_mul_f32_e32 v15, v13, v8
	s_delay_alu instid0(VALU_DEP_1) | instskip(NEXT) | instid1(VALU_DEP_1)
	v_fma_f32 v16, -v0, v15, v13
	v_fmac_f32_e32 v15, v16, v8
	s_delay_alu instid0(VALU_DEP_1) | instskip(SKIP_1) | instid1(VALU_DEP_1)
	v_fma_f32 v0, -v0, v15, v13
	s_wait_alu 0xfffd
	v_div_fmas_f32 v0, v0, v8, v15
	s_delay_alu instid0(VALU_DEP_1)
	v_div_fixup_f32 v0, v0, v5, 1.0
.LBB40_20:
	s_add_co_i32 s0, s2, 1
	v_cvt_f32_f16_e32 v8, v110
	s_wait_alu 0xfffe
	v_add_nc_u32_e32 v4, s0, v4
	s_delay_alu instid0(VALU_DEP_2) | instskip(NEXT) | instid1(VALU_DEP_2)
	v_dual_mov_b32 v16, 0 :: v_dual_mul_f32 v17, v0, v8
	v_mad_co_u64_u32 v[4:5], null, s1, v4, s[4:5]
	v_lshrrev_b32_e32 v5, 16, v110
	s_delay_alu instid0(VALU_DEP_1) | instskip(NEXT) | instid1(VALU_DEP_3)
	v_cvt_f32_f16_e32 v5, v5
	v_lshl_add_u32 v15, v4, 6, v14
	s_delay_alu instid0(VALU_DEP_2) | instskip(NEXT) | instid1(VALU_DEP_2)
	v_mul_f32_e32 v18, v0, v5
	v_lshlrev_b64_e32 v[15:16], 2, v[15:16]
	s_delay_alu instid0(VALU_DEP_1) | instskip(SKIP_1) | instid1(VALU_DEP_2)
	v_add_co_u32 v15, vcc_lo, s16, v15
	s_wait_alu 0xfffd
	v_add_co_ci_u32_e64 v16, null, s17, v16, vcc_lo
	global_store_b64 v[15:16], v[17:18], off
	s_and_saveexec_b32 s6, s5
	s_cbranch_execz .LBB40_22
; %bb.21:
	v_ashrrev_i32_e32 v5, 31, v4
	v_mov_b32_e32 v8, v1
	s_delay_alu instid0(VALU_DEP_2) | instskip(NEXT) | instid1(VALU_DEP_1)
	v_lshlrev_b64_e32 v[4:5], 3, v[4:5]
	v_add_co_u32 v4, vcc_lo, s18, v4
	s_wait_alu 0xfffd
	s_delay_alu instid0(VALU_DEP_2)
	v_add_co_ci_u32_e64 v5, null, s19, v5, vcc_lo
	global_store_b64 v[4:5], v[8:9], off
.LBB40_22:
	s_wait_alu 0xfffe
	s_or_b32 exec_lo, exec_lo, s6
	v_cmp_gt_i32_e32 vcc_lo, s22, v55
	s_and_b32 exec_lo, exec_lo, vcc_lo
	s_cbranch_execz .LBB40_32
; %bb.23:
	v_cmp_ne_u32_e32 vcc_lo, 1, v12
	v_mov_b32_e32 v4, 1.0
	s_cbranch_vccnz .LBB40_25
; %bb.24:
	v_div_scale_f32 v0, null, v6, v6, 1.0
	s_delay_alu instid0(VALU_DEP_1) | instskip(NEXT) | instid1(TRANS32_DEP_1)
	v_rcp_f32_e32 v1, v0
	v_fma_f32 v4, -v0, v1, 1.0
	s_delay_alu instid0(VALU_DEP_1) | instskip(SKIP_1) | instid1(VALU_DEP_1)
	v_fmac_f32_e32 v1, v4, v1
	v_div_scale_f32 v4, vcc_lo, 1.0, v6, 1.0
	v_mul_f32_e32 v5, v4, v1
	s_delay_alu instid0(VALU_DEP_1) | instskip(NEXT) | instid1(VALU_DEP_1)
	v_fma_f32 v8, -v0, v5, v4
	v_fmac_f32_e32 v5, v8, v1
	s_delay_alu instid0(VALU_DEP_1) | instskip(SKIP_1) | instid1(VALU_DEP_1)
	v_fma_f32 v0, -v0, v5, v4
	s_wait_alu 0xfffd
	v_div_fmas_f32 v0, v0, v1, v5
	s_delay_alu instid0(VALU_DEP_1)
	v_div_fixup_f32 v4, v0, v6, 1.0
.LBB40_25:
	v_add_nc_u32_e32 v0, s3, v54
	v_mov_b32_e32 v6, 0
	v_cvt_f32_f16_e32 v8, v109
	s_delay_alu instid0(VALU_DEP_3) | instskip(NEXT) | instid1(VALU_DEP_2)
	v_mad_co_u64_u32 v[0:1], null, v0, s23, s[2:3]
	v_mul_f32_e32 v8, v4, v8
	s_delay_alu instid0(VALU_DEP_2) | instskip(SKIP_1) | instid1(VALU_DEP_1)
	v_mad_co_u64_u32 v[0:1], null, s1, v0, s[4:5]
	v_lshrrev_b32_e32 v1, 16, v109
	v_cvt_f32_f16_e32 v1, v1
	s_delay_alu instid0(VALU_DEP_3) | instskip(NEXT) | instid1(VALU_DEP_2)
	v_lshl_add_u32 v5, v0, 6, v14
	v_mul_f32_e32 v9, v4, v1
	s_delay_alu instid0(VALU_DEP_2) | instskip(NEXT) | instid1(VALU_DEP_1)
	v_lshlrev_b64_e32 v[5:6], 2, v[5:6]
	v_add_co_u32 v4, vcc_lo, s16, v5
	s_wait_alu 0xfffd
	s_delay_alu instid0(VALU_DEP_2)
	v_add_co_ci_u32_e64 v5, null, s17, v6, vcc_lo
	global_store_b64 v[4:5], v[8:9], off
	s_and_saveexec_b32 s2, s5
	s_cbranch_execz .LBB40_27
; %bb.26:
	v_ashrrev_i32_e32 v1, 31, v0
	v_mov_b32_e32 v9, v2
	s_delay_alu instid0(VALU_DEP_2) | instskip(NEXT) | instid1(VALU_DEP_1)
	v_lshlrev_b64_e32 v[0:1], 3, v[0:1]
	v_add_co_u32 v0, vcc_lo, s18, v0
	s_wait_alu 0xfffd
	s_delay_alu instid0(VALU_DEP_2)
	v_add_co_ci_u32_e64 v1, null, s19, v1, vcc_lo
	global_store_b64 v[0:1], v[9:10], off
.LBB40_27:
	s_wait_alu 0xfffe
	s_or_b32 exec_lo, exec_lo, s2
	v_cmp_gt_i32_e32 vcc_lo, s22, v53
	s_and_b32 exec_lo, exec_lo, vcc_lo
	s_cbranch_execz .LBB40_32
; %bb.28:
	v_cmp_ne_u32_e32 vcc_lo, 1, v12
	v_mov_b32_e32 v2, 1.0
	s_cbranch_vccnz .LBB40_30
; %bb.29:
	v_div_scale_f32 v0, null, v7, v7, 1.0
	s_delay_alu instid0(VALU_DEP_1) | instskip(NEXT) | instid1(TRANS32_DEP_1)
	v_rcp_f32_e32 v1, v0
	v_fma_f32 v2, -v0, v1, 1.0
	s_delay_alu instid0(VALU_DEP_1) | instskip(SKIP_1) | instid1(VALU_DEP_1)
	v_fmac_f32_e32 v1, v2, v1
	v_div_scale_f32 v2, vcc_lo, 1.0, v7, 1.0
	v_mul_f32_e32 v4, v2, v1
	s_delay_alu instid0(VALU_DEP_1) | instskip(NEXT) | instid1(VALU_DEP_1)
	v_fma_f32 v5, -v0, v4, v2
	v_fmac_f32_e32 v4, v5, v1
	s_delay_alu instid0(VALU_DEP_1) | instskip(SKIP_1) | instid1(VALU_DEP_1)
	v_fma_f32 v0, -v0, v4, v2
	s_wait_alu 0xfffd
	v_div_fmas_f32 v0, v0, v1, v4
	s_delay_alu instid0(VALU_DEP_1)
	v_div_fixup_f32 v2, v0, v7, 1.0
.LBB40_30:
	v_dual_mov_b32 v5, 0 :: v_dual_add_nc_u32 v0, s3, v52
	v_cvt_f32_f16_e32 v6, v36
	s_delay_alu instid0(VALU_DEP_2) | instskip(NEXT) | instid1(VALU_DEP_1)
	v_mad_co_u64_u32 v[0:1], null, v0, s23, s[0:1]
	v_mad_co_u64_u32 v[0:1], null, s1, v0, s[4:5]
	v_lshrrev_b32_e32 v1, 16, v36
	s_delay_alu instid0(VALU_DEP_1) | instskip(NEXT) | instid1(VALU_DEP_3)
	v_cvt_f32_f16_e32 v7, v1
	v_lshl_add_u32 v4, v0, 6, v14
	v_mul_f32_e32 v1, v2, v6
	s_delay_alu instid0(VALU_DEP_3) | instskip(NEXT) | instid1(VALU_DEP_3)
	v_mul_f32_e32 v2, v2, v7
	v_lshlrev_b64_e32 v[4:5], 2, v[4:5]
	s_delay_alu instid0(VALU_DEP_1) | instskip(SKIP_1) | instid1(VALU_DEP_2)
	v_add_co_u32 v4, vcc_lo, s16, v4
	s_wait_alu 0xfffd
	v_add_co_ci_u32_e64 v5, null, s17, v5, vcc_lo
	global_store_b64 v[4:5], v[1:2], off
	s_and_b32 exec_lo, exec_lo, s5
	s_cbranch_execz .LBB40_32
; %bb.31:
	v_ashrrev_i32_e32 v1, 31, v0
	v_mov_b32_e32 v10, v3
	s_delay_alu instid0(VALU_DEP_2) | instskip(NEXT) | instid1(VALU_DEP_1)
	v_lshlrev_b64_e32 v[0:1], 3, v[0:1]
	v_add_co_u32 v0, vcc_lo, s18, v0
	s_wait_alu 0xfffd
	s_delay_alu instid0(VALU_DEP_2)
	v_add_co_ci_u32_e64 v1, null, s19, v1, vcc_lo
	global_store_b64 v[0:1], v[10:11], off
	s_nop 0
	s_sendmsg sendmsg(MSG_DEALLOC_VGPRS)
	s_endpgm
.LBB40_32:
	s_nop 0
	s_sendmsg sendmsg(MSG_DEALLOC_VGPRS)
	s_endpgm
	.section	.rodata,"a",@progbits
	.p2align	6, 0x0
	.amdhsa_kernel _ZL15flash_attn_tileILi64ELi64ELi8ELi2ELb0EEvPKcS1_S1_S1_S1_PKiPfP15HIP_vector_typeIfLj2EEffffjfiS5_IjLj3EEiiiiiiiiiiiliiliiiiil
		.amdhsa_group_segment_fixed_size 24576
		.amdhsa_private_segment_fixed_size 0
		.amdhsa_kernarg_size 464
		.amdhsa_user_sgpr_count 2
		.amdhsa_user_sgpr_dispatch_ptr 0
		.amdhsa_user_sgpr_queue_ptr 0
		.amdhsa_user_sgpr_kernarg_segment_ptr 1
		.amdhsa_user_sgpr_dispatch_id 0
		.amdhsa_user_sgpr_private_segment_size 0
		.amdhsa_wavefront_size32 1
		.amdhsa_uses_dynamic_stack 0
		.amdhsa_enable_private_segment 0
		.amdhsa_system_sgpr_workgroup_id_x 1
		.amdhsa_system_sgpr_workgroup_id_y 1
		.amdhsa_system_sgpr_workgroup_id_z 1
		.amdhsa_system_sgpr_workgroup_info 0
		.amdhsa_system_vgpr_workitem_id 1
		.amdhsa_next_free_vgpr 241
		.amdhsa_next_free_sgpr 44
		.amdhsa_reserve_vcc 1
		.amdhsa_float_round_mode_32 0
		.amdhsa_float_round_mode_16_64 0
		.amdhsa_float_denorm_mode_32 3
		.amdhsa_float_denorm_mode_16_64 3
		.amdhsa_fp16_overflow 0
		.amdhsa_workgroup_processor_mode 1
		.amdhsa_memory_ordered 1
		.amdhsa_forward_progress 1
		.amdhsa_inst_pref_size 199
		.amdhsa_round_robin_scheduling 0
		.amdhsa_exception_fp_ieee_invalid_op 0
		.amdhsa_exception_fp_denorm_src 0
		.amdhsa_exception_fp_ieee_div_zero 0
		.amdhsa_exception_fp_ieee_overflow 0
		.amdhsa_exception_fp_ieee_underflow 0
		.amdhsa_exception_fp_ieee_inexact 0
		.amdhsa_exception_int_div_zero 0
	.end_amdhsa_kernel
	.section	.text._ZL15flash_attn_tileILi64ELi64ELi8ELi2ELb0EEvPKcS1_S1_S1_S1_PKiPfP15HIP_vector_typeIfLj2EEffffjfiS5_IjLj3EEiiiiiiiiiiiliiliiiiil,"axG",@progbits,_ZL15flash_attn_tileILi64ELi64ELi8ELi2ELb0EEvPKcS1_S1_S1_S1_PKiPfP15HIP_vector_typeIfLj2EEffffjfiS5_IjLj3EEiiiiiiiiiiiliiliiiiil,comdat
.Lfunc_end40:
	.size	_ZL15flash_attn_tileILi64ELi64ELi8ELi2ELb0EEvPKcS1_S1_S1_S1_PKiPfP15HIP_vector_typeIfLj2EEffffjfiS5_IjLj3EEiiiiiiiiiiiliiliiiiil, .Lfunc_end40-_ZL15flash_attn_tileILi64ELi64ELi8ELi2ELb0EEvPKcS1_S1_S1_S1_PKiPfP15HIP_vector_typeIfLj2EEffffjfiS5_IjLj3EEiiiiiiiiiiiliiliiiiil
                                        ; -- End function
	.set _ZL15flash_attn_tileILi64ELi64ELi8ELi2ELb0EEvPKcS1_S1_S1_S1_PKiPfP15HIP_vector_typeIfLj2EEffffjfiS5_IjLj3EEiiiiiiiiiiiliiliiiiil.num_vgpr, 145
	.set _ZL15flash_attn_tileILi64ELi64ELi8ELi2ELb0EEvPKcS1_S1_S1_S1_PKiPfP15HIP_vector_typeIfLj2EEffffjfiS5_IjLj3EEiiiiiiiiiiiliiliiiiil.num_agpr, 0
	.set _ZL15flash_attn_tileILi64ELi64ELi8ELi2ELb0EEvPKcS1_S1_S1_S1_PKiPfP15HIP_vector_typeIfLj2EEffffjfiS5_IjLj3EEiiiiiiiiiiiliiliiiiil.numbered_sgpr, 44
	.set _ZL15flash_attn_tileILi64ELi64ELi8ELi2ELb0EEvPKcS1_S1_S1_S1_PKiPfP15HIP_vector_typeIfLj2EEffffjfiS5_IjLj3EEiiiiiiiiiiiliiliiiiil.num_named_barrier, 0
	.set _ZL15flash_attn_tileILi64ELi64ELi8ELi2ELb0EEvPKcS1_S1_S1_S1_PKiPfP15HIP_vector_typeIfLj2EEffffjfiS5_IjLj3EEiiiiiiiiiiiliiliiiiil.private_seg_size, 0
	.set _ZL15flash_attn_tileILi64ELi64ELi8ELi2ELb0EEvPKcS1_S1_S1_S1_PKiPfP15HIP_vector_typeIfLj2EEffffjfiS5_IjLj3EEiiiiiiiiiiiliiliiiiil.uses_vcc, 1
	.set _ZL15flash_attn_tileILi64ELi64ELi8ELi2ELb0EEvPKcS1_S1_S1_S1_PKiPfP15HIP_vector_typeIfLj2EEffffjfiS5_IjLj3EEiiiiiiiiiiiliiliiiiil.uses_flat_scratch, 0
	.set _ZL15flash_attn_tileILi64ELi64ELi8ELi2ELb0EEvPKcS1_S1_S1_S1_PKiPfP15HIP_vector_typeIfLj2EEffffjfiS5_IjLj3EEiiiiiiiiiiiliiliiiiil.has_dyn_sized_stack, 0
	.set _ZL15flash_attn_tileILi64ELi64ELi8ELi2ELb0EEvPKcS1_S1_S1_S1_PKiPfP15HIP_vector_typeIfLj2EEffffjfiS5_IjLj3EEiiiiiiiiiiiliiliiiiil.has_recursion, 0
	.set _ZL15flash_attn_tileILi64ELi64ELi8ELi2ELb0EEvPKcS1_S1_S1_S1_PKiPfP15HIP_vector_typeIfLj2EEffffjfiS5_IjLj3EEiiiiiiiiiiiliiliiiiil.has_indirect_call, 0
	.section	.AMDGPU.csdata,"",@progbits
; Kernel info:
; codeLenInByte = 25456
; TotalNumSgprs: 46
; NumVgprs: 145
; ScratchSize: 0
; MemoryBound: 0
; FloatMode: 240
; IeeeMode: 1
; LDSByteSize: 24576 bytes/workgroup (compile time only)
; SGPRBlocks: 0
; VGPRBlocks: 30
; NumSGPRsForWavesPerEU: 46
; NumVGPRsForWavesPerEU: 241
; Occupancy: 5
; WaveLimiterHint : 1
; COMPUTE_PGM_RSRC2:SCRATCH_EN: 0
; COMPUTE_PGM_RSRC2:USER_SGPR: 2
; COMPUTE_PGM_RSRC2:TRAP_HANDLER: 0
; COMPUTE_PGM_RSRC2:TGID_X_EN: 1
; COMPUTE_PGM_RSRC2:TGID_Y_EN: 1
; COMPUTE_PGM_RSRC2:TGID_Z_EN: 1
; COMPUTE_PGM_RSRC2:TIDIG_COMP_CNT: 1
	.section	.text._ZL33flash_attn_stream_k_fixup_uniformILi64ELi8ELi2EEvPfPK15HIP_vector_typeIfLj2EEiiiiiiS1_IjLj3EES5_S5_,"axG",@progbits,_ZL33flash_attn_stream_k_fixup_uniformILi64ELi8ELi2EEvPfPK15HIP_vector_typeIfLj2EEiiiiiiS1_IjLj3EES5_S5_,comdat
	.globl	_ZL33flash_attn_stream_k_fixup_uniformILi64ELi8ELi2EEvPfPK15HIP_vector_typeIfLj2EEiiiiiiS1_IjLj3EES5_S5_ ; -- Begin function _ZL33flash_attn_stream_k_fixup_uniformILi64ELi8ELi2EEvPfPK15HIP_vector_typeIfLj2EEiiiiiiS1_IjLj3EES5_S5_
	.p2align	8
	.type	_ZL33flash_attn_stream_k_fixup_uniformILi64ELi8ELi2EEvPfPK15HIP_vector_typeIfLj2EEiiiiiiS1_IjLj3EES5_S5_,@function
_ZL33flash_attn_stream_k_fixup_uniformILi64ELi8ELi2EEvPfPK15HIP_vector_typeIfLj2EEiiiiiiS1_IjLj3EES5_S5_: ; @_ZL33flash_attn_stream_k_fixup_uniformILi64ELi8ELi2EEvPfPK15HIP_vector_typeIfLj2EEiiiiiiS1_IjLj3EES5_S5_
; %bb.0:
	s_clause 0x1
	s_load_b256 s[4:11], s[0:1], 0x1c
	s_load_b128 s[12:15], s[0:1], 0x3c
	s_wait_kmcnt 0x0
	s_mul_hi_u32 s2, s7, ttmp9
	s_delay_alu instid0(SALU_CYCLE_1) | instskip(NEXT) | instid1(SALU_CYCLE_1)
	s_add_co_i32 s2, ttmp9, s2
	s_lshr_b32 s2, s2, s8
	s_delay_alu instid0(SALU_CYCLE_1) | instskip(SKIP_2) | instid1(SALU_CYCLE_1)
	s_mul_i32 s3, s2, s9
	s_load_b64 s[8:9], s[0:1], 0x10
	s_sub_co_i32 s7, ttmp9, s3
	s_mul_hi_u32 s3, s7, s10
	s_delay_alu instid0(SALU_CYCLE_1) | instskip(NEXT) | instid1(SALU_CYCLE_1)
	s_add_co_i32 s3, s7, s3
	s_lshr_b32 s3, s3, s11
	s_delay_alu instid0(SALU_CYCLE_1) | instskip(NEXT) | instid1(SALU_CYCLE_1)
	s_mul_i32 s10, s3, s12
	s_sub_co_i32 s7, s7, s10
	s_delay_alu instid0(SALU_CYCLE_1) | instskip(NEXT) | instid1(SALU_CYCLE_1)
	s_mul_hi_u32 s10, s7, s13
	s_add_co_i32 s10, s7, s10
	s_delay_alu instid0(SALU_CYCLE_1) | instskip(NEXT) | instid1(SALU_CYCLE_1)
	s_lshr_b32 s12, s10, s14
	s_mul_i32 s10, s12, s15
	s_lshl_b32 s12, s12, 1
	s_sub_co_i32 s11, s7, s10
	s_and_b32 s7, ttmp7, 0xffff
	s_lshl_b32 s13, s11, 3
	s_lshr_b32 s10, ttmp7, 16
	s_add_co_i32 s13, s13, s7
	s_wait_kmcnt 0x0
	s_cmp_lt_i32 s13, s8
	s_cselect_b32 s13, -1, 0
	s_add_co_i32 s14, s12, s10
	s_delay_alu instid0(SALU_CYCLE_1) | instskip(SKIP_1) | instid1(SALU_CYCLE_1)
	s_cmp_lt_i32 s14, s5
	s_cselect_b32 s14, -1, 0
	s_and_b32 s13, s13, s14
	s_delay_alu instid0(SALU_CYCLE_1)
	s_and_not1_b32 vcc_lo, exec_lo, s13
	s_cbranch_vccnz .LBB41_6
; %bb.1:
	s_mul_i32 s2, s2, s8
	s_mul_i32 s5, s3, s5
	s_add_co_i32 s2, s2, s7
	s_delay_alu instid0(SALU_CYCLE_1) | instskip(NEXT) | instid1(SALU_CYCLE_1)
	s_mul_i32 s2, s2, s9
	s_add_co_i32 s8, s2, s10
	s_load_b128 s[0:3], s[0:1], 0x0
	s_add_co_i32 s5, s8, s5
	s_mul_i32 s8, s9, s11
	s_add_co_i32 s5, s5, s12
	s_lshl_b32 s8, s8, 9
	s_lshl_b32 s5, s5, 6
	s_delay_alu instid0(SALU_CYCLE_1)
	s_add_co_i32 s8, s8, s5
	s_lshl_b32 s5, s7, 1
	v_or_b32_e32 v1, s8, v0
	s_mul_i32 s8, s6, ttmp9
	s_wait_alu 0xfffe
	s_add_co_i32 s9, s8, s6
	s_wait_alu 0xfffe
	s_add_co_i32 s12, s9, -2
	v_ashrrev_i32_e32 v2, 31, v1
	s_delay_alu instid0(VALU_DEP_1) | instskip(SKIP_1) | instid1(VALU_DEP_1)
	v_lshlrev_b64_e32 v[1:2], 2, v[1:2]
	s_wait_kmcnt 0x0
	v_add_co_u32 v1, vcc_lo, s0, v1
	s_delay_alu instid0(VALU_DEP_1)
	v_add_co_ci_u32_e64 v2, null, s1, v2, vcc_lo
	s_add_co_i32 s0, s5, s10
	s_lshl_b32 s1, s9, 4
	global_load_b32 v5, v[1:2], off
	s_wait_alu 0xfffe
	s_add_co_i32 s0, s0, s1
	s_wait_alu 0xfffe
	s_add_co_i32 s0, s0, -16
	s_wait_alu 0xfffe
	s_ashr_i32 s1, s0, 31
	s_wait_alu 0xfffe
	s_lshl_b64 s[0:1], s[0:1], 3
	s_cmp_lt_i32 s12, s8
	s_wait_alu 0xfffe
	s_add_nc_u64 s[0:1], s[2:3], s[0:1]
	s_load_b32 s11, s[0:1], 0x4
	s_cbranch_scc1 .LBB41_4
; %bb.2:
	s_load_b32 s0, s[0:1], 0x0
	s_add_co_i32 s13, ttmp9, 1
	s_lshl_b32 s12, s4, 6
	s_mul_i32 s1, s6, s13
	s_lshl_b32 s6, s7, 7
	s_lshl_b32 s7, s10, 6
	s_wait_alu 0xfffe
	s_lshl_b32 s14, s1, 10
	s_add_co_i32 s6, s7, s6
	s_lshl_b32 s1, s1, 4
	s_add_co_i32 s14, s6, s14
	s_wait_alu 0xfffe
	s_add_co_i32 s1, s10, s1
	v_or_b32_e32 v0, s14, v0
	s_lshl_b32 s4, s4, 4
	s_ashr_i32 s13, s12, 31
	s_wait_alu 0xfffe
	s_add_co_i32 s1, s1, s4
	s_wait_kmcnt 0x0
	v_dual_mov_b32 v6, s11 :: v_dual_add_nc_u32 v3, 0xfffff800, v0
	s_lshl_b64 s[6:7], s[12:13], 2
	s_wait_alu 0xfffe
	s_add_co_i32 s4, s1, s5
	s_add_nc_u64 s[6:7], s[2:3], s[6:7]
	s_add_co_i32 s1, s9, -1
	s_sub_co_i32 s4, s4, 32
.LBB41_3:                               ; =>This Inner Loop Header: Depth=1
	v_ashrrev_i32_e32 v4, 31, v3
	s_ashr_i32 s5, s4, 31
	v_mov_b32_e32 v10, v6
	s_lshl_b64 s[10:11], s[4:5], 3
	s_wait_loadcnt 0x0
	v_mov_b32_e32 v9, v5
	v_lshlrev_b64_e32 v[7:8], 2, v[3:4]
	s_wait_alu 0xfffe
	s_add_nc_u64 s[10:11], s[2:3], s[10:11]
	v_max_num_f32_e64 v4, s0, s0
	s_load_b64 s[10:11], s[10:11], 0x0
	v_add_nc_u32_e32 v3, 0xfffffc00, v3
	v_add_co_u32 v7, vcc_lo, s6, v7
	s_wait_alu 0xfffd
	v_add_co_ci_u32_e64 v8, null, s7, v8, vcc_lo
	v_readfirstlane_b32 s5, v4
	global_load_b32 v0, v[7:8], off
	s_wait_kmcnt 0x0
	v_max_num_f32_e64 v4, s10, s10
	s_delay_alu instid0(VALU_DEP_1) | instskip(SKIP_1) | instid1(SALU_CYCLE_3)
	v_readfirstlane_b32 s9, v4
	s_max_num_f32 s5, s5, s9
	s_sub_f32 s0, s0, s5
	s_sub_f32 s9, s10, s5
	s_wait_alu 0xfffe
	s_delay_alu instid0(SALU_CYCLE_1) | instskip(NEXT) | instid1(SALU_CYCLE_1)
	s_mul_f32 s10, s0, 0x3fb8aa3b
	s_mul_f32 s12, s9, 0x3fb8aa3b
	s_wait_alu 0xfffe
	s_delay_alu instid0(SALU_CYCLE_1)
	s_xor_b32 s13, s10, 0x80000000
	s_rndne_f32 s14, s10
	s_fmamk_f32 s13, s0, 0x3fb8aa3b, s13
	s_cmp_nlt_f32 s0, 0xc2ce8ed0
	s_rndne_f32 s15, s12
	s_wait_alu 0xfffe
	s_sub_f32 s10, s10, s14
	s_fmamk_f32 s13, s0, 0x32a5705f, s13
	s_cvt_i32_f32 s14, s14
	s_cselect_b32 vcc_lo, -1, 0
	s_cmp_ngt_f32 s0, 0x42b17218
	s_wait_alu 0xfffe
	s_add_f32 s10, s10, s13
	s_sub_f32 s13, s12, s15
	s_wait_alu 0xfffe
	s_delay_alu instid0(SALU_CYCLE_1) | instskip(SKIP_1) | instid1(TRANS32_DEP_1)
	v_s_exp_f32 s10, s10
	s_wait_alu 0xf1ff
	v_ldexp_f32 v4, s10, s14
	s_cvt_i32_f32 s10, s15
	s_delay_alu instid0(VALU_DEP_1) | instskip(SKIP_3) | instid1(VALU_DEP_1)
	v_cndmask_b32_e32 v4, 0, v4, vcc_lo
	s_cselect_b32 vcc_lo, -1, 0
	s_cmp_ge_f32 s0, 0xc1a00000
	s_wait_alu 0xfffe
	v_cndmask_b32_e32 v4, 0x7f800000, v4, vcc_lo
	s_cselect_b32 vcc_lo, -1, 0
	s_xor_b32 s0, s12, 0x80000000
	s_cmp_nlt_f32 s9, 0xc2ce8ed0
	s_wait_alu 0xfffe
	s_fmamk_f32 s0, s9, 0x3fb8aa3b, s0
	s_wait_alu 0xfffe
	s_delay_alu instid0(SALU_CYCLE_2) | instskip(SKIP_1) | instid1(SALU_CYCLE_2)
	s_fmamk_f32 s0, s9, 0x32a5705f, s0
	s_wait_alu 0xfffe
	s_add_f32 s0, s13, s0
	s_wait_alu 0xfffe
	s_delay_alu instid0(SALU_CYCLE_2) | instskip(SKIP_1) | instid1(TRANS32_DEP_1)
	v_s_exp_f32 s0, s0
	s_wait_alu 0xf1ff
	v_ldexp_f32 v7, s0, s10
	s_cselect_b32 s0, -1, 0
	s_cmp_ngt_f32 s9, 0x42b17218
	s_wait_alu 0xfffe
	s_delay_alu instid0(VALU_DEP_1) | instskip(SKIP_3) | instid1(VALU_DEP_1)
	v_cndmask_b32_e64 v7, 0, v7, s0
	s_cselect_b32 s0, -1, 0
	s_cmp_ge_f32 s9, 0xc1a00000
	s_wait_alu 0xfffe
	v_cndmask_b32_e64 v7, 0x7f800000, v7, s0
	s_cselect_b32 s0, -1, 0
	s_add_co_i32 s1, s1, -1
	s_add_co_i32 s4, s4, -16
	s_wait_alu 0xfffe
	s_cmp_le_i32 s1, s8
	v_cndmask_b32_e64 v7, 0, v7, s0
	s_mov_b32 s0, s5
	s_wait_loadcnt 0x0
	s_delay_alu instid0(VALU_DEP_1) | instskip(NEXT) | instid1(VALU_DEP_1)
	v_dual_mul_f32 v5, v0, v7 :: v_dual_cndmask_b32 v4, 0, v4
	v_dual_mul_f32 v8, s11, v7 :: v_dual_fmac_f32 v5, v9, v4
	s_delay_alu instid0(VALU_DEP_1) | instskip(NEXT) | instid1(VALU_DEP_1)
	v_mov_b32_e32 v6, v8
	v_fmac_f32_e32 v6, v10, v4
	s_cbranch_scc0 .LBB41_3
	s_branch .LBB41_5
.LBB41_4:
	s_wait_kmcnt 0x0
	v_mov_b32_e32 v6, s11
.LBB41_5:
	s_wait_loadcnt 0x0
	s_delay_alu instid0(VALU_DEP_1) | instskip(NEXT) | instid1(VALU_DEP_1)
	v_div_scale_f32 v0, null, v6, v6, v5
	v_rcp_f32_e32 v3, v0
	s_delay_alu instid0(TRANS32_DEP_1) | instskip(NEXT) | instid1(VALU_DEP_1)
	v_fma_f32 v4, -v0, v3, 1.0
	v_fmac_f32_e32 v3, v4, v3
	v_div_scale_f32 v4, vcc_lo, v5, v6, v5
	s_delay_alu instid0(VALU_DEP_1) | instskip(NEXT) | instid1(VALU_DEP_1)
	v_mul_f32_e32 v7, v4, v3
	v_fma_f32 v8, -v0, v7, v4
	s_delay_alu instid0(VALU_DEP_1) | instskip(NEXT) | instid1(VALU_DEP_1)
	v_fmac_f32_e32 v7, v8, v3
	v_fma_f32 v0, -v0, v7, v4
	s_wait_alu 0xfffd
	s_delay_alu instid0(VALU_DEP_1) | instskip(NEXT) | instid1(VALU_DEP_1)
	v_div_fmas_f32 v0, v0, v3, v7
	v_div_fixup_f32 v0, v0, v6, v5
	global_store_b32 v[1:2], v0, off
.LBB41_6:
	s_endpgm
	.section	.rodata,"a",@progbits
	.p2align	6, 0x0
	.amdhsa_kernel _ZL33flash_attn_stream_k_fixup_uniformILi64ELi8ELi2EEvPfPK15HIP_vector_typeIfLj2EEiiiiiiS1_IjLj3EES5_S5_
		.amdhsa_group_segment_fixed_size 0
		.amdhsa_private_segment_fixed_size 0
		.amdhsa_kernarg_size 76
		.amdhsa_user_sgpr_count 2
		.amdhsa_user_sgpr_dispatch_ptr 0
		.amdhsa_user_sgpr_queue_ptr 0
		.amdhsa_user_sgpr_kernarg_segment_ptr 1
		.amdhsa_user_sgpr_dispatch_id 0
		.amdhsa_user_sgpr_private_segment_size 0
		.amdhsa_wavefront_size32 1
		.amdhsa_uses_dynamic_stack 0
		.amdhsa_enable_private_segment 0
		.amdhsa_system_sgpr_workgroup_id_x 1
		.amdhsa_system_sgpr_workgroup_id_y 1
		.amdhsa_system_sgpr_workgroup_id_z 1
		.amdhsa_system_sgpr_workgroup_info 0
		.amdhsa_system_vgpr_workitem_id 0
		.amdhsa_next_free_vgpr 11
		.amdhsa_next_free_sgpr 16
		.amdhsa_reserve_vcc 1
		.amdhsa_float_round_mode_32 0
		.amdhsa_float_round_mode_16_64 0
		.amdhsa_float_denorm_mode_32 3
		.amdhsa_float_denorm_mode_16_64 3
		.amdhsa_fp16_overflow 0
		.amdhsa_workgroup_processor_mode 1
		.amdhsa_memory_ordered 1
		.amdhsa_forward_progress 1
		.amdhsa_inst_pref_size 9
		.amdhsa_round_robin_scheduling 0
		.amdhsa_exception_fp_ieee_invalid_op 0
		.amdhsa_exception_fp_denorm_src 0
		.amdhsa_exception_fp_ieee_div_zero 0
		.amdhsa_exception_fp_ieee_overflow 0
		.amdhsa_exception_fp_ieee_underflow 0
		.amdhsa_exception_fp_ieee_inexact 0
		.amdhsa_exception_int_div_zero 0
	.end_amdhsa_kernel
	.section	.text._ZL33flash_attn_stream_k_fixup_uniformILi64ELi8ELi2EEvPfPK15HIP_vector_typeIfLj2EEiiiiiiS1_IjLj3EES5_S5_,"axG",@progbits,_ZL33flash_attn_stream_k_fixup_uniformILi64ELi8ELi2EEvPfPK15HIP_vector_typeIfLj2EEiiiiiiS1_IjLj3EES5_S5_,comdat
.Lfunc_end41:
	.size	_ZL33flash_attn_stream_k_fixup_uniformILi64ELi8ELi2EEvPfPK15HIP_vector_typeIfLj2EEiiiiiiS1_IjLj3EES5_S5_, .Lfunc_end41-_ZL33flash_attn_stream_k_fixup_uniformILi64ELi8ELi2EEvPfPK15HIP_vector_typeIfLj2EEiiiiiiS1_IjLj3EES5_S5_
                                        ; -- End function
	.set _ZL33flash_attn_stream_k_fixup_uniformILi64ELi8ELi2EEvPfPK15HIP_vector_typeIfLj2EEiiiiiiS1_IjLj3EES5_S5_.num_vgpr, 11
	.set _ZL33flash_attn_stream_k_fixup_uniformILi64ELi8ELi2EEvPfPK15HIP_vector_typeIfLj2EEiiiiiiS1_IjLj3EES5_S5_.num_agpr, 0
	.set _ZL33flash_attn_stream_k_fixup_uniformILi64ELi8ELi2EEvPfPK15HIP_vector_typeIfLj2EEiiiiiiS1_IjLj3EES5_S5_.numbered_sgpr, 16
	.set _ZL33flash_attn_stream_k_fixup_uniformILi64ELi8ELi2EEvPfPK15HIP_vector_typeIfLj2EEiiiiiiS1_IjLj3EES5_S5_.num_named_barrier, 0
	.set _ZL33flash_attn_stream_k_fixup_uniformILi64ELi8ELi2EEvPfPK15HIP_vector_typeIfLj2EEiiiiiiS1_IjLj3EES5_S5_.private_seg_size, 0
	.set _ZL33flash_attn_stream_k_fixup_uniformILi64ELi8ELi2EEvPfPK15HIP_vector_typeIfLj2EEiiiiiiS1_IjLj3EES5_S5_.uses_vcc, 1
	.set _ZL33flash_attn_stream_k_fixup_uniformILi64ELi8ELi2EEvPfPK15HIP_vector_typeIfLj2EEiiiiiiS1_IjLj3EES5_S5_.uses_flat_scratch, 0
	.set _ZL33flash_attn_stream_k_fixup_uniformILi64ELi8ELi2EEvPfPK15HIP_vector_typeIfLj2EEiiiiiiS1_IjLj3EES5_S5_.has_dyn_sized_stack, 0
	.set _ZL33flash_attn_stream_k_fixup_uniformILi64ELi8ELi2EEvPfPK15HIP_vector_typeIfLj2EEiiiiiiS1_IjLj3EES5_S5_.has_recursion, 0
	.set _ZL33flash_attn_stream_k_fixup_uniformILi64ELi8ELi2EEvPfPK15HIP_vector_typeIfLj2EEiiiiiiS1_IjLj3EES5_S5_.has_indirect_call, 0
	.section	.AMDGPU.csdata,"",@progbits
; Kernel info:
; codeLenInByte = 1140
; TotalNumSgprs: 18
; NumVgprs: 11
; ScratchSize: 0
; MemoryBound: 0
; FloatMode: 240
; IeeeMode: 1
; LDSByteSize: 0 bytes/workgroup (compile time only)
; SGPRBlocks: 0
; VGPRBlocks: 1
; NumSGPRsForWavesPerEU: 18
; NumVGPRsForWavesPerEU: 11
; Occupancy: 16
; WaveLimiterHint : 0
; COMPUTE_PGM_RSRC2:SCRATCH_EN: 0
; COMPUTE_PGM_RSRC2:USER_SGPR: 2
; COMPUTE_PGM_RSRC2:TRAP_HANDLER: 0
; COMPUTE_PGM_RSRC2:TGID_X_EN: 1
; COMPUTE_PGM_RSRC2:TGID_Y_EN: 1
; COMPUTE_PGM_RSRC2:TGID_Z_EN: 1
; COMPUTE_PGM_RSRC2:TIDIG_COMP_CNT: 0
	.section	.text._ZL33flash_attn_stream_k_fixup_generalILi64ELi8ELi2EEvPfPK15HIP_vector_typeIfLj2EEiiiiS1_IjLj3EES5_S5_S5_,"axG",@progbits,_ZL33flash_attn_stream_k_fixup_generalILi64ELi8ELi2EEvPfPK15HIP_vector_typeIfLj2EEiiiiS1_IjLj3EES5_S5_S5_,comdat
	.globl	_ZL33flash_attn_stream_k_fixup_generalILi64ELi8ELi2EEvPfPK15HIP_vector_typeIfLj2EEiiiiS1_IjLj3EES5_S5_S5_ ; -- Begin function _ZL33flash_attn_stream_k_fixup_generalILi64ELi8ELi2EEvPfPK15HIP_vector_typeIfLj2EEiiiiS1_IjLj3EES5_S5_S5_
	.p2align	8
	.type	_ZL33flash_attn_stream_k_fixup_generalILi64ELi8ELi2EEvPfPK15HIP_vector_typeIfLj2EEiiiiS1_IjLj3EES5_S5_S5_,@function
_ZL33flash_attn_stream_k_fixup_generalILi64ELi8ELi2EEvPfPK15HIP_vector_typeIfLj2EEiiiiS1_IjLj3EES5_S5_S5_: ; @_ZL33flash_attn_stream_k_fixup_generalILi64ELi8ELi2EEvPfPK15HIP_vector_typeIfLj2EEiiiiS1_IjLj3EES5_S5_S5_
; %bb.0:
	s_clause 0x1
	s_load_b128 s[4:7], s[0:1], 0x10
	s_load_b32 s16, s[0:1], 0x50
	s_mov_b32 s2, ttmp9
	s_ashr_i32 s3, ttmp9, 31
	s_mov_b32 s17, 0
	s_delay_alu instid0(SALU_CYCLE_1) | instskip(SKIP_3) | instid1(SALU_CYCLE_1)
	s_mov_b32 s8, s17
	s_wait_kmcnt 0x0
	s_ashr_i32 s19, s7, 31
	s_mov_b32 s18, s7
	s_mul_u64 s[2:3], s[18:19], s[2:3]
	s_delay_alu instid0(SALU_CYCLE_1) | instskip(NEXT) | instid1(SALU_CYCLE_1)
	s_mov_b32 s9, s3
	s_cmp_lg_u64 s[8:9], 0
	s_cbranch_scc0 .LBB42_21
; %bb.1:
	s_add_nc_u64 s[8:9], s[16:17], 0
	s_mov_b32 s15, s17
	s_xor_b64 s[8:9], s[8:9], 0
	s_mov_b32 s23, s17
	s_cvt_f32_u32 s7, s8
	s_cvt_f32_u32 s10, s9
	s_sub_nc_u64 s[12:13], 0, s[8:9]
	s_delay_alu instid0(SALU_CYCLE_2) | instskip(NEXT) | instid1(SALU_CYCLE_3)
	s_fmamk_f32 s7, s10, 0x4f800000, s7
	v_s_rcp_f32 s7, s7
	s_delay_alu instid0(TRANS32_DEP_1) | instskip(SKIP_1) | instid1(SALU_CYCLE_2)
	s_mul_f32 s7, s7, 0x5f7ffffc
	s_wait_alu 0xfffe
	s_mul_f32 s10, s7, 0x2f800000
	s_delay_alu instid0(SALU_CYCLE_3) | instskip(NEXT) | instid1(SALU_CYCLE_3)
	s_trunc_f32 s10, s10
	s_fmamk_f32 s7, s10, 0xcf800000, s7
	s_cvt_u32_f32 s11, s10
	s_wait_alu 0xfffe
	s_delay_alu instid0(SALU_CYCLE_1) | instskip(NEXT) | instid1(SALU_CYCLE_3)
	s_cvt_u32_f32 s10, s7
	s_mul_u64 s[20:21], s[12:13], s[10:11]
	s_delay_alu instid0(SALU_CYCLE_1)
	s_mul_hi_u32 s25, s10, s21
	s_mul_i32 s24, s10, s21
	s_mul_hi_u32 s14, s10, s20
	s_mul_i32 s22, s11, s20
	s_add_nc_u64 s[14:15], s[14:15], s[24:25]
	s_mul_hi_u32 s7, s11, s20
	s_mul_hi_u32 s26, s11, s21
	s_add_co_u32 s14, s14, s22
	s_wait_alu 0xfffe
	s_add_co_ci_u32 s22, s15, s7
	s_mul_i32 s20, s11, s21
	s_add_co_ci_u32 s21, s26, 0
	s_delay_alu instid0(SALU_CYCLE_1)
	s_add_nc_u64 s[14:15], s[22:23], s[20:21]
	s_mov_b32 s21, s17
	s_add_co_u32 s10, s10, s14
	s_cselect_b32 s7, -1, 0
	s_wait_alu 0xfffe
	s_cmp_lg_u32 s7, 0
	s_add_co_ci_u32 s11, s11, s15
	s_mov_b32 s15, s17
	s_mul_u64 s[12:13], s[12:13], s[10:11]
	s_delay_alu instid0(SALU_CYCLE_1)
	s_mul_hi_u32 s23, s10, s13
	s_mul_i32 s22, s10, s13
	s_mul_hi_u32 s14, s10, s12
	s_mul_i32 s20, s11, s12
	s_add_nc_u64 s[14:15], s[14:15], s[22:23]
	s_mul_hi_u32 s7, s11, s12
	s_mul_hi_u32 s24, s11, s13
	s_mul_i32 s12, s11, s13
	s_add_co_u32 s13, s14, s20
	s_wait_alu 0xfffe
	s_add_co_ci_u32 s20, s15, s7
	s_add_co_ci_u32 s13, s24, 0
	s_mov_b32 s15, s17
	s_add_nc_u64 s[12:13], s[20:21], s[12:13]
	s_delay_alu instid0(SALU_CYCLE_1) | instskip(SKIP_1) | instid1(SALU_CYCLE_1)
	s_add_co_u32 s7, s10, s12
	s_cselect_b32 s10, -1, 0
	s_cmp_lg_u32 s10, 0
	s_add_co_ci_u32 s20, s11, s13
	s_ashr_i32 s10, s3, 31
	s_delay_alu instid0(SALU_CYCLE_1) | instskip(NEXT) | instid1(SALU_CYCLE_1)
	s_mov_b32 s11, s10
	s_add_nc_u64 s[12:13], s[2:3], s[10:11]
	s_delay_alu instid0(SALU_CYCLE_1) | instskip(NEXT) | instid1(SALU_CYCLE_1)
	s_xor_b64 s[12:13], s[12:13], s[10:11]
	s_mul_hi_u32 s23, s12, s20
	s_mul_i32 s22, s12, s20
	s_wait_alu 0xfffe
	s_mul_hi_u32 s14, s12, s7
	s_mul_hi_u32 s24, s13, s7
	s_mul_i32 s7, s13, s7
	s_add_nc_u64 s[14:15], s[14:15], s[22:23]
	s_mul_hi_u32 s3, s13, s20
	s_wait_alu 0xfffe
	s_add_co_u32 s7, s14, s7
	s_mul_i32 s22, s13, s20
	s_add_co_ci_u32 s20, s15, s24
	s_add_co_ci_u32 s23, s3, 0
	s_delay_alu instid0(SALU_CYCLE_1) | instskip(NEXT) | instid1(SALU_CYCLE_1)
	s_add_nc_u64 s[14:15], s[20:21], s[22:23]
	s_mul_u64 s[20:21], s[8:9], s[14:15]
	s_delay_alu instid0(SALU_CYCLE_1)
	s_sub_co_u32 s3, s12, s20
	s_cselect_b32 s7, -1, 0
	s_sub_co_i32 s12, s13, s21
	s_wait_alu 0xfffe
	s_cmp_lg_u32 s7, 0
	s_sub_co_ci_u32 s12, s12, s9
	s_sub_co_u32 s20, s3, s8
	s_cselect_b32 s22, -1, 0
	s_delay_alu instid0(SALU_CYCLE_1) | instskip(SKIP_2) | instid1(SALU_CYCLE_1)
	s_cmp_lg_u32 s22, 0
	s_add_nc_u64 s[22:23], s[14:15], 1
	s_sub_co_ci_u32 s12, s12, 0
	s_cmp_ge_u32 s12, s9
	s_cselect_b32 s24, -1, 0
	s_cmp_ge_u32 s20, s8
	s_cselect_b32 s20, -1, 0
	s_cmp_eq_u32 s12, s9
	s_cselect_b32 s12, s20, s24
	s_add_nc_u64 s[24:25], s[14:15], 2
	s_cmp_lg_u32 s12, 0
	s_cselect_b32 s12, s24, s22
	s_cselect_b32 s20, s25, s23
	s_cmp_lg_u32 s7, 0
	s_sub_co_ci_u32 s7, s13, s21
	s_wait_alu 0xfffe
	s_cmp_ge_u32 s7, s9
	s_cselect_b32 s13, -1, 0
	s_cmp_ge_u32 s3, s8
	s_cselect_b32 s3, -1, 0
	s_cmp_eq_u32 s7, s9
	s_cselect_b32 s3, s3, s13
	s_delay_alu instid0(SALU_CYCLE_1) | instskip(SKIP_4) | instid1(SALU_CYCLE_1)
	s_cmp_lg_u32 s3, 0
	s_mov_b32 s3, s17
	s_cselect_b32 s9, s20, s15
	s_cselect_b32 s8, s12, s14
	s_xor_b64 s[10:11], s[10:11], 0
	s_xor_b64 s[8:9], s[8:9], s[10:11]
	s_delay_alu instid0(SALU_CYCLE_1)
	s_sub_nc_u64 s[20:21], s[8:9], s[10:11]
	s_and_not1_b32 vcc_lo, exec_lo, s3
	s_cbranch_vccnz .LBB42_3
.LBB42_2:
	v_cvt_f32_u32_e32 v1, s16
	s_sub_co_i32 s7, 0, s16
	s_delay_alu instid0(VALU_DEP_1) | instskip(NEXT) | instid1(TRANS32_DEP_1)
	v_rcp_iflag_f32_e32 v1, v1
	v_mul_f32_e32 v1, 0x4f7ffffe, v1
	s_delay_alu instid0(VALU_DEP_1) | instskip(NEXT) | instid1(VALU_DEP_1)
	v_cvt_u32_f32_e32 v1, v1
	v_readfirstlane_b32 s3, v1
	s_wait_alu 0xfffe
	s_mul_i32 s7, s7, s3
	s_wait_alu 0xfffe
	s_mul_hi_u32 s7, s3, s7
	s_wait_alu 0xfffe
	s_add_co_i32 s3, s3, s7
	s_delay_alu instid0(SALU_CYCLE_1) | instskip(NEXT) | instid1(SALU_CYCLE_1)
	s_mul_hi_u32 s3, s2, s3
	s_mul_i32 s7, s3, s16
	s_wait_alu 0xfffe
	s_sub_co_i32 s2, s2, s7
	s_add_co_i32 s7, s3, 1
	s_sub_co_i32 s8, s2, s16
	s_cmp_ge_u32 s2, s16
	s_wait_alu 0xfffe
	s_cselect_b32 s3, s7, s3
	s_cselect_b32 s2, s8, s2
	s_add_co_i32 s7, s3, 1
	s_cmp_ge_u32 s2, s16
	s_wait_alu 0xfffe
	s_cselect_b32 s20, s7, s3
.LBB42_3:
	s_add_co_i32 s2, ttmp9, 1
	s_mov_b32 s8, 0
	s_ashr_i32 s3, s2, 31
	s_delay_alu instid0(SALU_CYCLE_1) | instskip(NEXT) | instid1(SALU_CYCLE_1)
	s_mul_u64 s[2:3], s[18:19], s[2:3]
	s_mov_b32 s9, s3
	s_delay_alu instid0(SALU_CYCLE_1)
	s_cmp_lg_u64 s[8:9], 0
	s_cbranch_scc0 .LBB42_22
; %bb.4:
	s_add_nc_u64 s[10:11], s[16:17], 0
	s_mov_b32 s23, s8
	s_xor_b64 s[10:11], s[10:11], 0
	s_mov_b32 s27, s8
	s_cvt_f32_u32 s7, s10
	s_cvt_f32_u32 s9, s11
	s_sub_nc_u64 s[14:15], 0, s[10:11]
	s_wait_alu 0xfffe
	s_delay_alu instid0(SALU_CYCLE_1) | instskip(SKIP_1) | instid1(SALU_CYCLE_2)
	s_fmamk_f32 s7, s9, 0x4f800000, s7
	s_wait_alu 0xfffe
	v_s_rcp_f32 s7, s7
	s_delay_alu instid0(TRANS32_DEP_1) | instskip(SKIP_1) | instid1(SALU_CYCLE_2)
	s_mul_f32 s7, s7, 0x5f7ffffc
	s_wait_alu 0xfffe
	s_mul_f32 s9, s7, 0x2f800000
	s_delay_alu instid0(SALU_CYCLE_3) | instskip(NEXT) | instid1(SALU_CYCLE_3)
	s_trunc_f32 s9, s9
	s_fmamk_f32 s7, s9, 0xcf800000, s7
	s_cvt_u32_f32 s13, s9
	s_wait_alu 0xfffe
	s_delay_alu instid0(SALU_CYCLE_1) | instskip(NEXT) | instid1(SALU_CYCLE_3)
	s_cvt_u32_f32 s12, s7
	s_mul_u64 s[24:25], s[14:15], s[12:13]
	s_delay_alu instid0(SALU_CYCLE_1)
	s_mul_hi_u32 s29, s12, s25
	s_mul_i32 s28, s12, s25
	s_mul_hi_u32 s22, s12, s24
	s_mul_i32 s9, s13, s24
	s_add_nc_u64 s[22:23], s[22:23], s[28:29]
	s_mul_hi_u32 s7, s13, s24
	s_mul_hi_u32 s21, s13, s25
	s_add_co_u32 s9, s22, s9
	s_wait_alu 0xfffe
	s_add_co_ci_u32 s26, s23, s7
	s_mul_i32 s24, s13, s25
	s_add_co_ci_u32 s25, s21, 0
	s_delay_alu instid0(SALU_CYCLE_1)
	s_add_nc_u64 s[22:23], s[26:27], s[24:25]
	s_mov_b32 s25, s8
	s_add_co_u32 s12, s12, s22
	s_cselect_b32 s7, -1, 0
	s_wait_alu 0xfffe
	s_cmp_lg_u32 s7, 0
	s_add_co_ci_u32 s13, s13, s23
	s_mov_b32 s23, s8
	s_mul_u64 s[14:15], s[14:15], s[12:13]
	s_delay_alu instid0(SALU_CYCLE_1)
	s_mul_hi_u32 s27, s12, s15
	s_mul_i32 s26, s12, s15
	s_mul_hi_u32 s22, s12, s14
	s_mul_i32 s9, s13, s14
	s_add_nc_u64 s[22:23], s[22:23], s[26:27]
	s_mul_hi_u32 s7, s13, s14
	s_mul_hi_u32 s21, s13, s15
	s_add_co_u32 s9, s22, s9
	s_wait_alu 0xfffe
	s_add_co_ci_u32 s24, s23, s7
	s_mul_i32 s14, s13, s15
	s_add_co_ci_u32 s15, s21, 0
	s_mov_b32 s23, s8
	s_add_nc_u64 s[14:15], s[24:25], s[14:15]
	s_delay_alu instid0(SALU_CYCLE_1) | instskip(SKIP_1) | instid1(SALU_CYCLE_1)
	s_add_co_u32 s7, s12, s14
	s_cselect_b32 s9, -1, 0
	s_cmp_lg_u32 s9, 0
	s_add_co_ci_u32 s9, s13, s15
	s_ashr_i32 s12, s3, 31
	s_delay_alu instid0(SALU_CYCLE_1) | instskip(NEXT) | instid1(SALU_CYCLE_1)
	s_mov_b32 s13, s12
	s_add_nc_u64 s[14:15], s[2:3], s[12:13]
	s_delay_alu instid0(SALU_CYCLE_1) | instskip(NEXT) | instid1(SALU_CYCLE_1)
	s_xor_b64 s[14:15], s[14:15], s[12:13]
	s_mul_hi_u32 s27, s14, s9
	s_mul_i32 s26, s14, s9
	s_wait_alu 0xfffe
	s_mul_hi_u32 s22, s14, s7
	s_mul_hi_u32 s21, s15, s7
	s_mul_i32 s7, s15, s7
	s_add_nc_u64 s[22:23], s[22:23], s[26:27]
	s_mul_hi_u32 s3, s15, s9
	s_wait_alu 0xfffe
	s_add_co_u32 s7, s22, s7
	s_add_co_ci_u32 s24, s23, s21
	s_mul_i32 s26, s15, s9
	s_add_co_ci_u32 s27, s3, 0
	s_delay_alu instid0(SALU_CYCLE_1) | instskip(NEXT) | instid1(SALU_CYCLE_1)
	s_add_nc_u64 s[22:23], s[24:25], s[26:27]
	s_mul_u64 s[24:25], s[10:11], s[22:23]
	s_add_nc_u64 s[26:27], s[22:23], 1
	s_sub_co_u32 s3, s14, s24
	s_cselect_b32 s7, -1, 0
	s_sub_co_i32 s9, s15, s25
	s_wait_alu 0xfffe
	s_cmp_lg_u32 s7, 0
	s_add_nc_u64 s[28:29], s[22:23], 2
	s_sub_co_ci_u32 s9, s9, s11
	s_sub_co_u32 s14, s3, s10
	s_cselect_b32 s21, -1, 0
	s_delay_alu instid0(SALU_CYCLE_1) | instskip(SKIP_1) | instid1(SALU_CYCLE_1)
	s_cmp_lg_u32 s21, 0
	s_sub_co_ci_u32 s9, s9, 0
	s_cmp_ge_u32 s9, s11
	s_cselect_b32 s21, -1, 0
	s_cmp_ge_u32 s14, s10
	s_cselect_b32 s14, -1, 0
	s_cmp_eq_u32 s9, s11
	s_cselect_b32 s9, s14, s21
	s_delay_alu instid0(SALU_CYCLE_1)
	s_cmp_lg_u32 s9, 0
	s_cselect_b32 s9, s28, s26
	s_cselect_b32 s14, s29, s27
	s_cmp_lg_u32 s7, 0
	s_sub_co_ci_u32 s7, s15, s25
	s_wait_alu 0xfffe
	s_cmp_ge_u32 s7, s11
	s_cselect_b32 s15, -1, 0
	s_cmp_ge_u32 s3, s10
	s_cselect_b32 s3, -1, 0
	s_cmp_eq_u32 s7, s11
	s_cselect_b32 s3, s3, s15
	s_delay_alu instid0(SALU_CYCLE_1) | instskip(SKIP_3) | instid1(SALU_CYCLE_1)
	s_cmp_lg_u32 s3, 0
	s_cselect_b32 s11, s14, s23
	s_cselect_b32 s10, s9, s22
	s_xor_b64 s[12:13], s[12:13], 0
	s_xor_b64 s[10:11], s[10:11], s[12:13]
	s_delay_alu instid0(SALU_CYCLE_1)
	s_sub_nc_u64 s[10:11], s[10:11], s[12:13]
	s_load_b96 s[12:14], s[0:1], 0x44
	s_and_not1_b32 vcc_lo, exec_lo, s8
	s_cbranch_vccnz .LBB42_6
.LBB42_5:
	v_cvt_f32_u32_e32 v1, s16
	s_sub_co_i32 s7, 0, s16
	s_delay_alu instid0(VALU_DEP_1) | instskip(NEXT) | instid1(TRANS32_DEP_1)
	v_rcp_iflag_f32_e32 v1, v1
	v_mul_f32_e32 v1, 0x4f7ffffe, v1
	s_delay_alu instid0(VALU_DEP_1) | instskip(NEXT) | instid1(VALU_DEP_1)
	v_cvt_u32_f32_e32 v1, v1
	v_readfirstlane_b32 s3, v1
	s_wait_alu 0xfffe
	s_mul_i32 s7, s7, s3
	s_wait_alu 0xfffe
	s_mul_hi_u32 s7, s3, s7
	s_wait_alu 0xfffe
	s_add_co_i32 s3, s3, s7
	s_delay_alu instid0(SALU_CYCLE_1) | instskip(NEXT) | instid1(SALU_CYCLE_1)
	s_mul_hi_u32 s3, s2, s3
	s_mul_i32 s7, s3, s16
	s_wait_alu 0xfffe
	s_sub_co_i32 s2, s2, s7
	s_add_co_i32 s7, s3, 1
	s_sub_co_i32 s8, s2, s16
	s_cmp_ge_u32 s2, s16
	s_wait_alu 0xfffe
	s_cselect_b32 s3, s7, s3
	s_cselect_b32 s2, s8, s2
	s_add_co_i32 s7, s3, 1
	s_cmp_ge_u32 s2, s16
	s_wait_alu 0xfffe
	s_cselect_b32 s10, s7, s3
.LBB42_6:
	s_mov_b32 s21, 0
	s_wait_kmcnt 0x0
	s_mov_b32 s22, s12
	s_mov_b32 s23, s21
	s_cmp_eq_u32 s20, s10
	s_mul_u64 s[2:3], s[20:21], s[22:23]
	s_cselect_b32 s7, -1, 0
	s_add_co_i32 s2, s3, s20
	s_mov_b32 s11, s21
	s_lshr_b32 s12, s2, s13
	s_mul_u64 s[2:3], s[10:11], s[22:23]
	s_mul_i32 s2, s12, s14
	s_delay_alu instid0(SALU_CYCLE_1) | instskip(SKIP_2) | instid1(SALU_CYCLE_1)
	s_cmp_eq_u32 s2, s20
	s_cselect_b32 s2, -1, 0
	s_add_co_i32 s3, s3, s10
	s_lshr_b32 s3, s3, s13
	s_delay_alu instid0(SALU_CYCLE_1)
	s_cmp_eq_u32 s12, s3
	s_mul_i32 s3, s3, s14
	s_cselect_b32 s8, -1, 0
	s_cmp_lg_u32 s3, s10
	s_cselect_b32 s3, -1, 0
	s_wait_alu 0xfffe
	s_or_b32 s2, s7, s2
	s_and_b32 s3, s8, s3
	s_delay_alu instid0(SALU_CYCLE_1) | instskip(NEXT) | instid1(SALU_CYCLE_1)
	s_or_b32 s2, s2, s3
	s_and_b32 vcc_lo, exec_lo, s2
	s_cbranch_vccnz .LBB42_24
; %bb.7:
	s_load_b256 s[24:31], s[0:1], 0x20
	s_mov_b32 s3, s21
	s_wait_kmcnt 0x0
	s_mov_b32 s2, s24
	s_delay_alu instid0(SALU_CYCLE_1) | instskip(NEXT) | instid1(SALU_CYCLE_1)
	s_mul_u64 s[2:3], s[20:21], s[2:3]
	s_add_co_i32 s2, s3, s20
	s_delay_alu instid0(SALU_CYCLE_1) | instskip(SKIP_2) | instid1(SALU_CYCLE_1)
	s_lshr_b32 s7, s2, s25
	s_load_b32 s2, s[0:1], 0x40
	s_mul_i32 s3, s7, s26
	s_sub_co_i32 s3, s20, s3
	s_delay_alu instid0(SALU_CYCLE_1) | instskip(NEXT) | instid1(SALU_CYCLE_1)
	s_mul_hi_u32 s8, s3, s27
	s_add_co_i32 s8, s3, s8
	s_delay_alu instid0(SALU_CYCLE_1) | instskip(NEXT) | instid1(SALU_CYCLE_1)
	s_lshr_b32 s8, s8, s28
	s_mul_i32 s9, s8, s29
	s_delay_alu instid0(SALU_CYCLE_1) | instskip(NEXT) | instid1(SALU_CYCLE_1)
	s_sub_co_i32 s9, s3, s9
	s_mul_hi_u32 s3, s9, s30
	s_delay_alu instid0(SALU_CYCLE_1) | instskip(NEXT) | instid1(SALU_CYCLE_1)
	s_add_co_i32 s3, s9, s3
	s_lshr_b32 s24, s3, s31
	s_mov_b32 s3, s21
	s_wait_kmcnt 0x0
	s_mul_i32 s2, s24, s2
	s_lshl_b32 s21, s24, 1
	s_sub_co_i32 s2, s9, s2
	s_delay_alu instid0(SALU_CYCLE_1) | instskip(SKIP_2) | instid1(SALU_CYCLE_1)
	s_mul_u64 s[10:11], s[2:3], s[22:23]
	s_lshr_b32 s3, ttmp7, 16
	s_add_co_i32 s2, s2, s11
	s_lshr_b32 s15, s2, s13
	s_and_b32 s2, ttmp7, 0xffff
	s_lshl_b32 s9, s15, 3
	s_delay_alu instid0(SALU_CYCLE_1) | instskip(NEXT) | instid1(SALU_CYCLE_1)
	s_add_co_i32 s9, s9, s2
	s_cmp_lt_i32 s9, s4
	s_cselect_b32 s9, -1, 0
	s_add_co_i32 s10, s21, s3
	s_delay_alu instid0(SALU_CYCLE_1) | instskip(SKIP_1) | instid1(SALU_CYCLE_1)
	s_cmp_lt_i32 s10, s6
	s_cselect_b32 s10, -1, 0
	s_and_b32 s9, s9, s10
	s_delay_alu instid0(SALU_CYCLE_1)
	s_and_not1_b32 vcc_lo, exec_lo, s9
	s_cbranch_vccnz .LBB42_24
; %bb.8:
	s_mul_i32 s4, s7, s4
	s_mul_i32 s6, s8, s6
	s_add_co_i32 s4, s4, s2
	s_load_b128 s[8:11], s[0:1], 0x0
	s_mul_i32 s4, s4, s5
	s_mul_i32 s1, s5, s15
	s_add_co_i32 s4, s4, s3
	s_lshl_b32 s1, s1, 9
	s_add_co_i32 s0, s4, s6
	s_lshl_b32 s15, s2, 1
	s_add_co_i32 s0, s0, s21
	s_add_co_i32 s15, s15, s3
	s_lshl_b32 s0, s0, 6
	v_cvt_f32_u32_e32 v4, s16
	s_add_co_i32 s1, s1, s0
	s_add_co_i32 s34, ttmp9, -1
	v_or_b32_e32 v1, s1, v0
	s_add_nc_u64 s[0:1], s[16:17], 0
	v_rcp_iflag_f32_e32 v4, v4
	s_wait_alu 0xfffe
	s_xor_b64 s[6:7], s[0:1], 0
	s_lshl_b32 s0, ttmp9, 4
	v_ashrrev_i32_e32 v2, 31, v1
	s_wait_alu 0xfffe
	s_cvt_f32_u32 s1, s6
	s_cvt_f32_u32 s2, s7
	s_add_co_i32 s0, s15, s0
	v_lshl_or_b32 v0, s15, 6, v0
	v_lshlrev_b64_e32 v[1:2], 2, v[1:2]
	s_wait_alu 0xfffe
	s_fmamk_f32 s2, s2, 0x4f800000, s1
	s_ashr_i32 s1, s0, 31
	s_sub_nc_u64 s[30:31], 0, s[6:7]
	s_wait_alu 0xfffe
	s_lshl_b64 s[0:1], s[0:1], 3
	v_s_rcp_f32 s2, s2
	s_wait_kmcnt 0x0
	v_add_co_u32 v1, vcc_lo, s8, v1
	s_delay_alu instid0(VALU_DEP_1)
	v_add_co_ci_u32_e64 v2, null, s9, v2, vcc_lo
	s_wait_alu 0xfffe
	s_add_nc_u64 s[0:1], s[10:11], s[0:1]
	s_mov_b32 s8, 0
	s_load_b64 s[26:27], s[0:1], 0x0
	global_load_b32 v3, v[1:2], off
	s_mul_f32 s2, s2, 0x5f7ffffc
	v_mul_f32_e32 v4, 0x4f7ffffe, v4
	s_lshl_b32 s0, s16, 6
	s_wait_alu 0xfffe
	s_mul_f32 s1, s2, 0x2f800000
	s_wait_alu 0xfffe
	s_delay_alu instid0(SALU_CYCLE_2)
	s_trunc_f32 s3, s1
	s_mov_b32 s1, s8
	s_wait_alu 0xfffe
	s_lshl_b64 s[0:1], s[0:1], 2
	s_fmamk_f32 s2, s3, 0xcf800000, s2
	s_cvt_u32_f32 s29, s3
	s_wait_alu 0xfffe
	s_add_nc_u64 s[24:25], s[10:11], s[0:1]
	s_cvt_u32_f32 s28, s2
	s_wait_kmcnt 0x0
	v_mov_b32_e32 v5, s27
	v_cvt_u32_f32_e32 v4, v4
.LBB42_9:                               ; =>This Inner Loop Header: Depth=1
	s_wait_alu 0xfffe
	s_ashr_i32 s35, s34, 31
	s_mov_b32 s2, -1
	s_wait_alu 0xfffe
	s_mul_u64 s[0:1], s[34:35], s[18:19]
                                        ; implicit-def: $sgpr38_sgpr39
	s_wait_alu 0xfffe
	s_mov_b32 s9, s1
	s_wait_alu 0xfffe
	s_cmp_lg_u64 s[8:9], 0
	s_cbranch_scc0 .LBB42_11
; %bb.10:                               ;   in Loop: Header=BB42_9 Depth=1
	s_mul_u64 s[2:3], s[30:31], s[28:29]
	s_mov_b32 s37, s8
	s_wait_alu 0xfffe
	s_mul_hi_u32 s5, s28, s3
	s_mul_i32 s4, s28, s3
	s_mul_hi_u32 s36, s28, s2
	s_mul_hi_u32 s9, s29, s2
	s_wait_alu 0xfffe
	s_add_nc_u64 s[4:5], s[36:37], s[4:5]
	s_mul_i32 s2, s29, s2
	s_mul_hi_u32 s17, s29, s3
	s_wait_alu 0xfffe
	s_add_co_u32 s2, s4, s2
	s_add_co_ci_u32 s2, s5, s9
	s_add_co_ci_u32 s5, s17, 0
	s_mul_i32 s4, s29, s3
	s_mov_b32 s3, s8
	s_mov_b32 s39, s8
	s_wait_alu 0xfffe
	s_add_nc_u64 s[2:3], s[2:3], s[4:5]
	s_wait_alu 0xfffe
	s_add_co_u32 s2, s28, s2
	s_cselect_b32 s4, -1, 0
	s_wait_alu 0xfffe
	s_cmp_lg_u32 s4, 0
	s_add_co_ci_u32 s3, s29, s3
	s_wait_alu 0xfffe
	s_mul_u64 s[4:5], s[30:31], s[2:3]
	s_wait_alu 0xfffe
	s_mul_hi_u32 s37, s2, s5
	s_mul_i32 s36, s2, s5
	s_mul_hi_u32 s38, s2, s4
	s_mul_hi_u32 s9, s3, s4
	s_mul_i32 s4, s3, s4
	s_wait_alu 0xfffe
	s_add_nc_u64 s[36:37], s[38:39], s[36:37]
	s_mul_hi_u32 s17, s3, s5
	s_wait_alu 0xfffe
	s_add_co_u32 s4, s36, s4
	s_add_co_ci_u32 s4, s37, s9
	s_add_co_ci_u32 s37, s17, 0
	s_mul_i32 s36, s3, s5
	s_mov_b32 s5, s8
	s_wait_alu 0xfffe
	s_add_nc_u64 s[4:5], s[4:5], s[36:37]
	s_mov_b32 s37, s8
	s_wait_alu 0xfffe
	s_add_co_u32 s9, s2, s4
	s_cselect_b32 s2, -1, 0
	s_wait_alu 0xfffe
	s_cmp_lg_u32 s2, 0
	s_add_co_ci_u32 s17, s3, s5
	s_ashr_i32 s2, s1, 31
	s_wait_alu 0xfffe
	s_mov_b32 s3, s2
	s_wait_alu 0xfffe
	s_add_nc_u64 s[4:5], s[0:1], s[2:3]
	s_wait_alu 0xfffe
	s_xor_b64 s[4:5], s[4:5], s[2:3]
	s_wait_alu 0xfffe
	s_mul_hi_u32 s39, s4, s17
	s_mul_i32 s38, s4, s17
	s_mul_hi_u32 s36, s4, s9
	s_mul_i32 s21, s5, s9
	s_wait_alu 0xfffe
	s_add_nc_u64 s[36:37], s[36:37], s[38:39]
	s_mul_hi_u32 s9, s5, s9
	s_mul_hi_u32 s1, s5, s17
	s_wait_alu 0xfffe
	s_add_co_u32 s21, s36, s21
	s_add_co_ci_u32 s36, s37, s9
	s_add_co_ci_u32 s39, s1, 0
	s_mul_i32 s38, s5, s17
	s_mov_b32 s37, s8
	s_wait_alu 0xfffe
	s_add_nc_u64 s[36:37], s[36:37], s[38:39]
	s_wait_alu 0xfffe
	s_mul_u64 s[38:39], s[6:7], s[36:37]
	s_add_nc_u64 s[40:41], s[36:37], 1
	s_sub_co_u32 s1, s4, s38
	s_cselect_b32 s4, -1, 0
	s_sub_co_i32 s9, s5, s39
	s_wait_alu 0xfffe
	s_cmp_lg_u32 s4, 0
	s_add_nc_u64 s[42:43], s[36:37], 2
	s_sub_co_ci_u32 s9, s9, s7
	s_sub_co_u32 s17, s1, s6
	s_cselect_b32 s21, -1, 0
	s_delay_alu instid0(SALU_CYCLE_1)
	s_cmp_lg_u32 s21, 0
	s_wait_alu 0xfffe
	s_sub_co_ci_u32 s9, s9, 0
	s_wait_alu 0xfffe
	s_cmp_ge_u32 s9, s7
	s_cselect_b32 s21, -1, 0
	s_cmp_ge_u32 s17, s6
	s_cselect_b32 s17, -1, 0
	s_cmp_eq_u32 s9, s7
	s_wait_alu 0xfffe
	s_cselect_b32 s9, s17, s21
	s_wait_alu 0xfffe
	s_cmp_lg_u32 s9, 0
	s_cselect_b32 s9, s42, s40
	s_cselect_b32 s17, s43, s41
	s_cmp_lg_u32 s4, 0
	s_sub_co_ci_u32 s4, s5, s39
	s_wait_alu 0xfffe
	s_cmp_ge_u32 s4, s7
	s_cselect_b32 s5, -1, 0
	s_cmp_ge_u32 s1, s6
	s_cselect_b32 s1, -1, 0
	s_cmp_eq_u32 s4, s7
	s_wait_alu 0xfffe
	s_cselect_b32 s1, s1, s5
	s_wait_alu 0xfffe
	s_cmp_lg_u32 s1, 0
	s_cselect_b32 s5, s17, s37
	s_cselect_b32 s4, s9, s36
	s_xor_b64 s[2:3], s[2:3], 0
	s_wait_alu 0xfffe
	s_xor_b64 s[4:5], s[4:5], s[2:3]
	s_wait_alu 0xfffe
	s_sub_nc_u64 s[38:39], s[4:5], s[2:3]
	s_mov_b32 s2, 0
.LBB42_11:                              ;   in Loop: Header=BB42_9 Depth=1
	s_wait_alu 0xfffe
	s_and_not1_b32 vcc_lo, exec_lo, s2
	s_wait_alu 0xfffe
	s_cbranch_vccnz .LBB42_13
; %bb.12:                               ;   in Loop: Header=BB42_9 Depth=1
	v_readfirstlane_b32 s1, v4
	s_sub_co_i32 s2, 0, s16
	s_wait_alu 0xfffe
	s_mul_i32 s2, s2, s1
	s_wait_alu 0xfffe
	s_mul_hi_u32 s2, s1, s2
	s_wait_alu 0xfffe
	s_add_co_i32 s1, s1, s2
	s_wait_alu 0xfffe
	s_mul_hi_u32 s1, s0, s1
	s_wait_alu 0xfffe
	s_mul_i32 s2, s1, s16
	s_wait_alu 0xfffe
	s_sub_co_i32 s0, s0, s2
	s_add_co_i32 s2, s1, 1
	s_wait_alu 0xfffe
	s_sub_co_i32 s3, s0, s16
	s_cmp_ge_u32 s0, s16
	s_cselect_b32 s1, s2, s1
	s_wait_alu 0xfffe
	s_cselect_b32 s0, s3, s0
	s_add_co_i32 s2, s1, 1
	s_wait_alu 0xfffe
	s_cmp_ge_u32 s0, s16
	s_cselect_b32 s38, s2, s1
.LBB42_13:                              ;   in Loop: Header=BB42_9 Depth=1
	v_readfirstlane_b32 s9, v0
	s_cmp_lg_u32 s20, s38
	s_mov_b32 s0, -1
                                        ; implicit-def: $sgpr21
                                        ; implicit-def: $vgpr6
                                        ; implicit-def: $vgpr7
                                        ; implicit-def: $sgpr17
                                        ; implicit-def: $sgpr27
	s_cbranch_scc1 .LBB42_16
; %bb.14:                               ;   in Loop: Header=BB42_9 Depth=1
	s_wait_alu 0xfffe
	s_and_not1_b32 vcc_lo, exec_lo, s0
	s_wait_alu 0xfffe
	s_cbranch_vccz .LBB42_19
.LBB42_15:                              ;   in Loop: Header=BB42_9 Depth=1
	s_and_not1_b32 vcc_lo, exec_lo, s21
	s_wait_alu 0xfffe
	s_cbranch_vccnz .LBB42_20
	s_branch .LBB42_23
.LBB42_16:                              ;   in Loop: Header=BB42_9 Depth=1
	s_add_co_i32 s0, s34, s16
	s_mov_b32 s1, s8
	s_wait_alu 0xfffe
	s_lshl_b32 s0, s0, 4
	v_max_num_f32_e64 v6, s26, s26
	s_wait_alu 0xfffe
	s_add_co_i32 s0, s0, s15
	s_mov_b32 s39, s8
	s_wait_alu 0xfffe
	s_lshl_b64 s[0:1], s[0:1], 3
	s_mul_u64 s[40:41], s[38:39], s[22:23]
	s_wait_alu 0xfffe
	s_add_nc_u64 s[0:1], s[10:11], s[0:1]
	s_mov_b32 s27, s20
	s_load_b64 s[36:37], s[0:1], 0x0
	v_readfirstlane_b32 s0, v6
	s_wait_kmcnt 0x0
	v_max_num_f32_e64 v7, s36, s36
	s_delay_alu instid0(VALU_DEP_1) | instskip(SKIP_2) | instid1(SALU_CYCLE_2)
	v_readfirstlane_b32 s1, v7
	s_max_num_f32 s9, s0, s1
	s_wait_alu 0xfffe
	s_sub_f32 s33, s26, s9
	s_sub_f32 s35, s36, s9
	s_wait_alu 0xfffe
	s_delay_alu instid0(SALU_CYCLE_1)
	s_cmp_nlt_f32 s33, 0xc2ce8ed0
	s_cselect_b32 s0, -1, 0
	s_cmp_ngt_f32 s33, 0x42b17218
	s_cselect_b32 s1, -1, 0
	s_cmp_ge_f32 s33, 0xc1a00000
	s_cselect_b32 s2, -1, 0
	s_cmp_nlt_f32 s35, 0xc2ce8ed0
	s_cselect_b32 s3, -1, 0
	s_cmp_ngt_f32 s35, 0x42b17218
	s_cselect_b32 s4, -1, 0
	s_cmp_ge_f32 s35, 0xc1a00000
	s_cselect_b32 s5, -1, 0
	s_add_co_i32 s17, s41, s38
	s_wait_alu 0xfffe
	s_lshr_b32 s17, s17, s13
	s_wait_alu 0xfffe
	s_mul_i32 s21, s17, s14
	s_delay_alu instid0(SALU_CYCLE_1)
	s_cmp_eq_u32 s21, s38
	s_cselect_b32 s21, -1, 0
	s_cmp_lt_u32 s17, s12
	s_cselect_b32 s17, -1, 0
	s_wait_alu 0xfffe
	s_or_b32 s17, s17, s21
	s_mov_b32 s21, -1
	s_wait_alu 0xfffe
	s_and_b32 vcc_lo, exec_lo, s17
	s_mov_b32 s17, s34
	s_wait_alu 0xfffe
	s_cbranch_vccnz .LBB42_18
; %bb.17:                               ;   in Loop: Header=BB42_9 Depth=1
	s_add_co_i32 s17, s34, -1
	s_mov_b32 s21, 0
	s_mov_b32 s27, s38
.LBB42_18:                              ;   in Loop: Header=BB42_9 Depth=1
	v_lshl_add_u32 v6, s34, 10, v0
	s_mul_f32 s36, s35, 0x3fb8aa3b
	s_mul_f32 s38, s33, 0x3fb8aa3b
	s_wait_alu 0xfffe
	s_delay_alu instid0(SALU_CYCLE_1)
	s_xor_b32 s39, s36, 0x80000000
	v_ashrrev_i32_e32 v7, 31, v6
	s_rndne_f32 s40, s36
	s_fmamk_f32 s39, s35, 0x3fb8aa3b, s39
	s_xor_b32 s41, s38, 0x80000000
	s_rndne_f32 s42, s38
	v_lshlrev_b64_e32 v[6:7], 2, v[6:7]
	s_sub_f32 s36, s36, s40
	s_fmamk_f32 s35, s35, 0x32a5705f, s39
	s_fmamk_f32 s39, s33, 0x3fb8aa3b, s41
	s_sub_f32 s38, s38, s42
	s_delay_alu instid0(VALU_DEP_1)
	v_add_co_u32 v6, vcc_lo, s24, v6
	s_wait_alu 0xfffd
	v_add_co_ci_u32_e64 v7, null, s25, v7, vcc_lo
	s_wait_alu 0xfffe
	s_add_f32 s35, s36, s35
	s_fmamk_f32 s33, s33, 0x32a5705f, s39
	s_cvt_i32_f32 s36, s40
	global_load_b32 v6, v[6:7], off
	s_wait_alu 0xfffe
	v_s_exp_f32 s35, s35
	s_add_f32 s33, s38, s33
	s_wait_alu 0xfffe
	s_delay_alu instid0(SALU_CYCLE_2) | instskip(NEXT) | instid1(TRANS32_DEP_2)
	v_s_exp_f32 s33, s33
	v_ldexp_f32 v7, s35, s36
	s_cvt_i32_f32 s35, s42
	s_wait_alu 0xf1fe
	s_delay_alu instid0(TRANS32_DEP_1) | instid1(SALU_CYCLE_2)
	v_ldexp_f32 v8, s33, s35
	s_delay_alu instid0(VALU_DEP_2) | instskip(NEXT) | instid1(VALU_DEP_2)
	v_cndmask_b32_e64 v7, 0, v7, s3
	v_cndmask_b32_e64 v8, 0, v8, s0
	s_delay_alu instid0(VALU_DEP_2) | instskip(NEXT) | instid1(VALU_DEP_2)
	v_cndmask_b32_e64 v7, 0x7f800000, v7, s4
	v_cndmask_b32_e64 v8, 0x7f800000, v8, s1
	s_delay_alu instid0(VALU_DEP_2) | instskip(NEXT) | instid1(VALU_DEP_2)
	v_cndmask_b32_e64 v7, 0, v7, s5
	v_cndmask_b32_e64 v8, 0, v8, s2
	s_wait_loadcnt 0x0
	s_delay_alu instid0(VALU_DEP_2) | instskip(SKIP_1) | instid1(VALU_DEP_1)
	v_mul_f32_e32 v6, v6, v7
	v_mul_f32_e32 v7, s37, v7
	v_fmac_f32_e32 v7, v5, v8
	s_delay_alu instid0(VALU_DEP_3)
	v_fmac_f32_e32 v6, v3, v8
	s_cbranch_execnz .LBB42_15
.LBB42_19:                              ;   in Loop: Header=BB42_9 Depth=1
	s_wait_loadcnt 0x0
	v_dual_mov_b32 v7, v5 :: v_dual_mov_b32 v6, v3
	s_add_co_i32 s17, s34, -1
	s_mov_b32 s27, s20
	s_mov_b32 s9, s26
	s_cbranch_execz .LBB42_23
.LBB42_20:                              ;   in Loop: Header=BB42_9 Depth=1
	v_mov_b32_e32 v5, v7
	s_wait_loadcnt 0x0
	v_mov_b32_e32 v3, v6
	s_wait_alu 0xfffe
	s_mov_b32 s20, s27
	s_mov_b32 s34, s17
	;; [unrolled: 1-line block ×3, first 2 shown]
	s_branch .LBB42_9
.LBB42_21:
                                        ; implicit-def: $sgpr20_sgpr21
	s_branch .LBB42_2
.LBB42_22:
                                        ; implicit-def: $sgpr10_sgpr11
	s_load_b96 s[12:14], s[0:1], 0x44
	s_branch .LBB42_5
.LBB42_23:
	v_div_scale_f32 v0, null, v7, v7, v6
	s_wait_loadcnt 0x0
	s_delay_alu instid0(VALU_DEP_1) | instskip(NEXT) | instid1(TRANS32_DEP_1)
	v_rcp_f32_e32 v3, v0
	v_fma_f32 v4, -v0, v3, 1.0
	s_delay_alu instid0(VALU_DEP_1) | instskip(SKIP_1) | instid1(VALU_DEP_1)
	v_fmac_f32_e32 v3, v4, v3
	v_div_scale_f32 v4, vcc_lo, v6, v7, v6
	v_mul_f32_e32 v5, v4, v3
	s_delay_alu instid0(VALU_DEP_1) | instskip(NEXT) | instid1(VALU_DEP_1)
	v_fma_f32 v8, -v0, v5, v4
	v_fmac_f32_e32 v5, v8, v3
	s_delay_alu instid0(VALU_DEP_1) | instskip(SKIP_1) | instid1(VALU_DEP_1)
	v_fma_f32 v0, -v0, v5, v4
	s_wait_alu 0xfffd
	v_div_fmas_f32 v0, v0, v3, v5
	s_delay_alu instid0(VALU_DEP_1)
	v_div_fixup_f32 v0, v0, v7, v6
	global_store_b32 v[1:2], v0, off
.LBB42_24:
	s_endpgm
	.section	.rodata,"a",@progbits
	.p2align	6, 0x0
	.amdhsa_kernel _ZL33flash_attn_stream_k_fixup_generalILi64ELi8ELi2EEvPfPK15HIP_vector_typeIfLj2EEiiiiS1_IjLj3EES5_S5_S5_
		.amdhsa_group_segment_fixed_size 0
		.amdhsa_private_segment_fixed_size 0
		.amdhsa_kernarg_size 336
		.amdhsa_user_sgpr_count 2
		.amdhsa_user_sgpr_dispatch_ptr 0
		.amdhsa_user_sgpr_queue_ptr 0
		.amdhsa_user_sgpr_kernarg_segment_ptr 1
		.amdhsa_user_sgpr_dispatch_id 0
		.amdhsa_user_sgpr_private_segment_size 0
		.amdhsa_wavefront_size32 1
		.amdhsa_uses_dynamic_stack 0
		.amdhsa_enable_private_segment 0
		.amdhsa_system_sgpr_workgroup_id_x 1
		.amdhsa_system_sgpr_workgroup_id_y 1
		.amdhsa_system_sgpr_workgroup_id_z 1
		.amdhsa_system_sgpr_workgroup_info 0
		.amdhsa_system_vgpr_workitem_id 0
		.amdhsa_next_free_vgpr 9
		.amdhsa_next_free_sgpr 44
		.amdhsa_reserve_vcc 1
		.amdhsa_float_round_mode_32 0
		.amdhsa_float_round_mode_16_64 0
		.amdhsa_float_denorm_mode_32 3
		.amdhsa_float_denorm_mode_16_64 3
		.amdhsa_fp16_overflow 0
		.amdhsa_workgroup_processor_mode 1
		.amdhsa_memory_ordered 1
		.amdhsa_forward_progress 1
		.amdhsa_inst_pref_size 28
		.amdhsa_round_robin_scheduling 0
		.amdhsa_exception_fp_ieee_invalid_op 0
		.amdhsa_exception_fp_denorm_src 0
		.amdhsa_exception_fp_ieee_div_zero 0
		.amdhsa_exception_fp_ieee_overflow 0
		.amdhsa_exception_fp_ieee_underflow 0
		.amdhsa_exception_fp_ieee_inexact 0
		.amdhsa_exception_int_div_zero 0
	.end_amdhsa_kernel
	.section	.text._ZL33flash_attn_stream_k_fixup_generalILi64ELi8ELi2EEvPfPK15HIP_vector_typeIfLj2EEiiiiS1_IjLj3EES5_S5_S5_,"axG",@progbits,_ZL33flash_attn_stream_k_fixup_generalILi64ELi8ELi2EEvPfPK15HIP_vector_typeIfLj2EEiiiiS1_IjLj3EES5_S5_S5_,comdat
.Lfunc_end42:
	.size	_ZL33flash_attn_stream_k_fixup_generalILi64ELi8ELi2EEvPfPK15HIP_vector_typeIfLj2EEiiiiS1_IjLj3EES5_S5_S5_, .Lfunc_end42-_ZL33flash_attn_stream_k_fixup_generalILi64ELi8ELi2EEvPfPK15HIP_vector_typeIfLj2EEiiiiS1_IjLj3EES5_S5_S5_
                                        ; -- End function
	.set _ZL33flash_attn_stream_k_fixup_generalILi64ELi8ELi2EEvPfPK15HIP_vector_typeIfLj2EEiiiiS1_IjLj3EES5_S5_S5_.num_vgpr, 9
	.set _ZL33flash_attn_stream_k_fixup_generalILi64ELi8ELi2EEvPfPK15HIP_vector_typeIfLj2EEiiiiS1_IjLj3EES5_S5_S5_.num_agpr, 0
	.set _ZL33flash_attn_stream_k_fixup_generalILi64ELi8ELi2EEvPfPK15HIP_vector_typeIfLj2EEiiiiS1_IjLj3EES5_S5_S5_.numbered_sgpr, 44
	.set _ZL33flash_attn_stream_k_fixup_generalILi64ELi8ELi2EEvPfPK15HIP_vector_typeIfLj2EEiiiiS1_IjLj3EES5_S5_S5_.num_named_barrier, 0
	.set _ZL33flash_attn_stream_k_fixup_generalILi64ELi8ELi2EEvPfPK15HIP_vector_typeIfLj2EEiiiiS1_IjLj3EES5_S5_S5_.private_seg_size, 0
	.set _ZL33flash_attn_stream_k_fixup_generalILi64ELi8ELi2EEvPfPK15HIP_vector_typeIfLj2EEiiiiS1_IjLj3EES5_S5_S5_.uses_vcc, 1
	.set _ZL33flash_attn_stream_k_fixup_generalILi64ELi8ELi2EEvPfPK15HIP_vector_typeIfLj2EEiiiiS1_IjLj3EES5_S5_S5_.uses_flat_scratch, 0
	.set _ZL33flash_attn_stream_k_fixup_generalILi64ELi8ELi2EEvPfPK15HIP_vector_typeIfLj2EEiiiiS1_IjLj3EES5_S5_S5_.has_dyn_sized_stack, 0
	.set _ZL33flash_attn_stream_k_fixup_generalILi64ELi8ELi2EEvPfPK15HIP_vector_typeIfLj2EEiiiiS1_IjLj3EES5_S5_S5_.has_recursion, 0
	.set _ZL33flash_attn_stream_k_fixup_generalILi64ELi8ELi2EEvPfPK15HIP_vector_typeIfLj2EEiiiiS1_IjLj3EES5_S5_S5_.has_indirect_call, 0
	.section	.AMDGPU.csdata,"",@progbits
; Kernel info:
; codeLenInByte = 3548
; TotalNumSgprs: 46
; NumVgprs: 9
; ScratchSize: 0
; MemoryBound: 0
; FloatMode: 240
; IeeeMode: 1
; LDSByteSize: 0 bytes/workgroup (compile time only)
; SGPRBlocks: 0
; VGPRBlocks: 1
; NumSGPRsForWavesPerEU: 46
; NumVGPRsForWavesPerEU: 9
; Occupancy: 16
; WaveLimiterHint : 0
; COMPUTE_PGM_RSRC2:SCRATCH_EN: 0
; COMPUTE_PGM_RSRC2:USER_SGPR: 2
; COMPUTE_PGM_RSRC2:TRAP_HANDLER: 0
; COMPUTE_PGM_RSRC2:TGID_X_EN: 1
; COMPUTE_PGM_RSRC2:TGID_Y_EN: 1
; COMPUTE_PGM_RSRC2:TGID_Z_EN: 1
; COMPUTE_PGM_RSRC2:TIDIG_COMP_CNT: 0
	.section	.text._ZL15flash_attn_tileILi64ELi64ELi4ELi2ELb0EEvPKcS1_S1_S1_S1_PKiPfP15HIP_vector_typeIfLj2EEffffjfiS5_IjLj3EEiiiiiiiiiiiliiliiiiil,"axG",@progbits,_ZL15flash_attn_tileILi64ELi64ELi4ELi2ELb0EEvPKcS1_S1_S1_S1_PKiPfP15HIP_vector_typeIfLj2EEffffjfiS5_IjLj3EEiiiiiiiiiiiliiliiiiil,comdat
	.globl	_ZL15flash_attn_tileILi64ELi64ELi4ELi2ELb0EEvPKcS1_S1_S1_S1_PKiPfP15HIP_vector_typeIfLj2EEffffjfiS5_IjLj3EEiiiiiiiiiiiliiliiiiil ; -- Begin function _ZL15flash_attn_tileILi64ELi64ELi4ELi2ELb0EEvPKcS1_S1_S1_S1_PKiPfP15HIP_vector_typeIfLj2EEffffjfiS5_IjLj3EEiiiiiiiiiiiliiliiiiil
	.p2align	8
	.type	_ZL15flash_attn_tileILi64ELi64ELi4ELi2ELb0EEvPKcS1_S1_S1_S1_PKiPfP15HIP_vector_typeIfLj2EEffffjfiS5_IjLj3EEiiiiiiiiiiiliiliiiiil,@function
_ZL15flash_attn_tileILi64ELi64ELi4ELi2ELb0EEvPKcS1_S1_S1_S1_PKiPfP15HIP_vector_typeIfLj2EEffffjfiS5_IjLj3EEiiiiiiiiiiiliiliiiiil: ; @_ZL15flash_attn_tileILi64ELi64ELi4ELi2ELb0EEvPKcS1_S1_S1_S1_PKiPfP15HIP_vector_typeIfLj2EEffffjfiS5_IjLj3EEiiiiiiiiiiiliiliiiiil
; %bb.0:
	s_clause 0x1
	s_load_b128 s[20:23], s[0:1], 0x5c
	s_load_b64 s[30:31], s[0:1], 0x80
	s_lshr_b32 s5, ttmp7, 16
	s_load_b64 s[38:39], s[0:1], 0xb8
	s_mov_b32 s37, 0
	s_mov_b64 s[34:35], 0
	s_wait_kmcnt 0x0
	s_lshr_b32 s2, s23, 31
	s_delay_alu instid0(SALU_CYCLE_1) | instskip(NEXT) | instid1(SALU_CYCLE_1)
	s_add_co_i32 s2, s23, s2
	s_ashr_i32 s2, s2, 1
	s_delay_alu instid0(SALU_CYCLE_1) | instskip(SKIP_1) | instid1(SALU_CYCLE_2)
	s_cvt_f32_u32 s3, s2
	s_sub_co_i32 s4, 0, s2
	v_rcp_iflag_f32_e32 v1, s3
	s_delay_alu instid0(TRANS32_DEP_1) | instskip(SKIP_2) | instid1(SALU_CYCLE_2)
	v_readfirstlane_b32 s3, v1
	s_mul_f32 s3, s3, 0x4f7ffffe
	s_wait_alu 0xfffe
	s_cvt_u32_f32 s3, s3
	s_wait_alu 0xfffe
	s_delay_alu instid0(SALU_CYCLE_2) | instskip(NEXT) | instid1(SALU_CYCLE_1)
	s_mul_i32 s4, s4, s3
	s_mul_hi_u32 s4, s3, s4
	s_delay_alu instid0(SALU_CYCLE_1)
	s_add_co_i32 s3, s3, s4
	s_wait_alu 0xfffe
	s_mul_hi_u32 s3, s5, s3
	s_wait_alu 0xfffe
	s_mul_i32 s4, s3, s2
	s_add_co_i32 s6, s3, 1
	s_sub_co_i32 s4, s5, s4
	s_delay_alu instid0(SALU_CYCLE_1)
	s_sub_co_i32 s7, s4, s2
	s_cmp_ge_u32 s4, s2
	s_cselect_b32 s3, s6, s3
	s_cselect_b32 s4, s7, s4
	s_wait_alu 0xfffe
	s_add_co_i32 s6, s3, 1
	s_cmp_ge_u32 s4, s2
	s_cselect_b32 s2, s6, s3
	s_abs_i32 s3, s31
	s_abs_i32 s8, s23
	s_wait_alu 0xfffe
	s_cvt_f32_u32 s4, s3
	s_sub_co_i32 s6, 0, s3
	s_lshl_b32 s5, s5, 1
	s_mul_i32 s7, s2, s23
	v_rcp_iflag_f32_e32 v1, s4
	s_sub_co_i32 s28, s5, s7
	s_xor_b32 s5, s23, s31
	s_wait_alu 0xfffe
	s_ashr_i32 s24, s5, 31
	s_delay_alu instid0(TRANS32_DEP_1) | instskip(SKIP_2) | instid1(SALU_CYCLE_2)
	v_readfirstlane_b32 s4, v1
	s_mul_f32 s4, s4, 0x4f7ffffe
	s_wait_alu 0xfffe
	s_cvt_u32_f32 s4, s4
	s_wait_alu 0xfffe
	s_delay_alu instid0(SALU_CYCLE_2) | instskip(NEXT) | instid1(SALU_CYCLE_1)
	s_mul_i32 s6, s6, s4
	s_mul_hi_u32 s6, s4, s6
	s_delay_alu instid0(SALU_CYCLE_1) | instskip(SKIP_4) | instid1(SALU_CYCLE_1)
	s_add_co_i32 s4, s4, s6
	s_wait_alu 0xfffe
	s_mul_hi_u32 s4, s8, s4
	s_wait_alu 0xfffe
	s_mul_i32 s6, s4, s3
	s_sub_co_i32 s5, s8, s6
	s_add_co_i32 s6, s4, 1
	s_wait_alu 0xfffe
	s_sub_co_i32 s7, s5, s3
	s_cmp_ge_u32 s5, s3
	s_cselect_b32 s4, s6, s4
	s_cselect_b32 s5, s7, s5
	s_wait_alu 0xfffe
	s_add_co_i32 s6, s4, 1
	s_cmp_ge_u32 s5, s3
	s_cselect_b32 s3, s6, s4
	s_load_b512 s[4:19], s[0:1], 0x0
	s_xor_b32 s3, s3, s24
	s_wait_alu 0xfffe
	s_sub_co_i32 s31, s3, s24
	s_delay_alu instid0(SALU_CYCLE_1) | instskip(NEXT) | instid1(SALU_CYCLE_1)
	s_abs_i32 s29, s31
	s_cvt_f32_u32 s3, s29
	s_wait_alu 0xfffe
	s_delay_alu instid0(SALU_CYCLE_2) | instskip(SKIP_2) | instid1(TRANS32_DEP_1)
	v_rcp_iflag_f32_e32 v1, s3
	s_wait_kmcnt 0x0
	s_cmp_eq_u64 s[10:11], 0
	v_readfirstlane_b32 s24, v1
	s_cbranch_scc1 .LBB43_2
; %bb.1:
	s_abs_i32 s3, s38
	s_wait_alu 0xfffe
	s_cvt_f32_u32 s25, s3
	s_sub_co_i32 s26, 0, s3
	s_delay_alu instid0(SALU_CYCLE_2) | instskip(NEXT) | instid1(TRANS32_DEP_1)
	v_rcp_iflag_f32_e32 v1, s25
	v_readfirstlane_b32 s25, v1
	s_mul_f32 s25, s25, 0x4f7ffffe
	s_wait_alu 0xfffe
	s_delay_alu instid0(SALU_CYCLE_2) | instskip(SKIP_1) | instid1(SALU_CYCLE_2)
	s_cvt_u32_f32 s25, s25
	s_wait_alu 0xfffe
	s_mul_i32 s26, s26, s25
	s_delay_alu instid0(SALU_CYCLE_1)
	s_mul_hi_u32 s33, s25, s26
	s_load_b64 s[26:27], s[0:1], 0xc8
	s_add_co_i32 s25, s25, s33
	s_wait_alu 0xfffe
	s_mul_hi_u32 s25, s2, s25
	s_wait_alu 0xfffe
	s_mul_i32 s25, s25, s3
	s_wait_alu 0xfffe
	s_sub_co_i32 s25, s2, s25
	s_wait_alu 0xfffe
	s_sub_co_i32 s33, s25, s3
	s_cmp_ge_u32 s25, s3
	s_cselect_b32 s25, s33, s25
	s_wait_alu 0xfffe
	s_sub_co_i32 s33, s25, s3
	s_cmp_ge_u32 s25, s3
	s_cselect_b32 s34, s33, s25
	s_delay_alu instid0(SALU_CYCLE_1) | instskip(SKIP_2) | instid1(SALU_CYCLE_1)
	s_ashr_i32 s35, s34, 31
	s_wait_kmcnt 0x0
	s_mul_u64 s[26:27], s[26:27], s[34:35]
	s_add_nc_u64 s[34:35], s[10:11], s[26:27]
.LBB43_2:
	v_bfe_u32 v4, v0, 10, 10
	s_load_b96 s[40:42], s[0:1], 0x70
	v_and_b32_e32 v0, 0x3ff, v0
	s_delay_alu instid0(VALU_DEP_2) | instskip(SKIP_1) | instid1(VALU_DEP_2)
	v_lshl_add_u32 v1, ttmp9, 2, v4
	v_lshl_add_u32 v43, v4, 8, 0x5000
	v_mul_hi_u32 v2, s20, v1
	s_delay_alu instid0(VALU_DEP_1) | instskip(SKIP_3) | instid1(VALU_DEP_1)
	v_add_nc_u32_e32 v2, v1, v2
	s_wait_kmcnt 0x0
	s_ashr_i32 s11, s40, 31
	s_mov_b32 s10, s40
	v_lshrrev_b32_e32 v2, s21, v2
	s_lshr_b64 s[20:21], s[10:11], 2
	s_lshr_b32 s3, s11, 2
	s_mul_i32 s10, s2, s42
	s_delay_alu instid0(SALU_CYCLE_1) | instskip(SKIP_2) | instid1(VALU_DEP_1)
	s_ashr_i32 s11, s10, 31
	v_mul_lo_u32 v2, v2, s22
	s_add_nc_u64 s[4:5], s[4:5], s[10:11]
	v_sub_nc_u32_e32 v2, v1, v2
	s_wait_alu 0xfffe
	s_delay_alu instid0(VALU_DEP_1)
	v_mad_co_u64_u32 v[5:6], null, s20, v2, 0
	s_mul_i32 s20, s28, s41
	s_wait_alu 0xfffe
	s_ashr_i32 s21, s20, 31
	s_wait_alu 0xfffe
	s_add_nc_u64 s[4:5], s[4:5], s[20:21]
	v_mov_b32_e32 v3, v6
	s_delay_alu instid0(VALU_DEP_1) | instskip(SKIP_2) | instid1(VALU_DEP_2)
	v_mad_co_u64_u32 v[6:7], null, s3, v2, v[3:4]
	v_lshlrev_b32_e32 v3, 3, v0
	s_ashr_i32 s3, s41, 31
	v_lshlrev_b64_e32 v[5:6], 2, v[5:6]
	s_wait_alu 0xfffe
	s_delay_alu instid0(VALU_DEP_1) | instskip(NEXT) | instid1(VALU_DEP_1)
	v_add_co_u32 v5, vcc_lo, s4, v5
	v_add_co_ci_u32_e64 v6, null, s5, v6, vcc_lo
	s_and_b32 s4, s41, -4
	v_add_co_u32 v5, vcc_lo, v5, v3
	s_wait_alu 0xfffd
	v_add_co_ci_u32_e64 v6, null, 0, v6, vcc_lo
	s_cmp_eq_u64 s[14:15], 0
	s_wait_alu 0xfffe
	v_add_co_u32 v7, vcc_lo, v5, s4
	s_wait_alu 0xfffd
	v_add_co_ci_u32_e64 v8, null, s3, v6, vcc_lo
	s_load_b32 s3, s[0:1], 0x40
	s_clause 0x1
	global_load_b64 v[5:6], v[5:6], off
	global_load_b64 v[7:8], v[7:8], off
	s_wait_loadcnt 0x1
	s_wait_kmcnt 0x0
	v_fma_mixlo_f16 v3, s3, v6, 0
	v_fma_mixlo_f16 v5, s3, v5, 0
	s_wait_loadcnt 0x0
	v_fma_mixlo_f16 v6, s3, v8, 0
	v_fma_mixlo_f16 v7, s3, v7, 0
	v_lshl_add_u32 v8, v0, 2, v43
	v_lshlrev_b32_e32 v3, 16, v3
	v_and_b32_e32 v5, 0xffff, v5
	v_lshlrev_b32_e32 v6, 16, v6
	v_and_b32_e32 v7, 0xffff, v7
	s_delay_alu instid0(VALU_DEP_3) | instskip(NEXT) | instid1(VALU_DEP_2)
	v_or_b32_e32 v3, v3, v5
	v_or_b32_e32 v5, v6, v7
	ds_store_2addr_b32 v8, v3, v5 offset1:32
	s_wait_dscnt 0x0
	s_barrier_signal -1
	s_barrier_wait -1
	global_inv scope:SCOPE_SE
	s_cbranch_scc1 .LBB43_4
; %bb.3:
	s_load_b32 s3, s[0:1], 0xd0
	s_mov_b32 s5, 0
	s_wait_kmcnt 0x0
	s_mul_i32 s3, s3, s2
	s_wait_alu 0xfffe
	s_add_co_i32 s4, s3, ttmp9
	s_wait_alu 0xfffe
	s_lshl_b64 s[4:5], s[4:5], 2
	s_wait_alu 0xfffe
	s_add_nc_u64 s[4:5], s[14:15], s[4:5]
	s_load_b32 s30, s[4:5], 0x0
.LBB43_4:
	s_and_b32 s4, ttmp7, 0xffff
	v_mbcnt_lo_u32_b32 v44, -1, 0
	s_wait_alu 0xfffe
	s_lshl_b32 s10, s4, 7
	s_wait_kmcnt 0x0
	s_cmp_lt_i32 s10, s30
	s_cbranch_scc1 .LBB43_7
; %bb.5:
	v_mbcnt_lo_u32_b32 v3, -1, 0
	v_mov_b32_e32 v46, 32
	s_delay_alu instid0(VALU_DEP_2)
	v_xor_b32_e32 v53, 16, v3
	v_xor_b32_e32 v52, 8, v3
	v_xor_b32_e32 v51, 4, v3
	v_xor_b32_e32 v49, 2, v3
	v_xor_b32_e32 v48, 1, v3
	s_mov_b32 s3, 0
	s_cbranch_execz .LBB43_8
; %bb.6:
	v_dual_mov_b32 v90, 0 :: v_dual_mov_b32 v63, 0
	v_dual_mov_b32 v36, 0xfeffffff :: v_dual_mov_b32 v35, 0xfeffffff
	;; [unrolled: 1-line block ×3, first 2 shown]
	s_branch .LBB43_11
.LBB43_7:
                                        ; implicit-def: $vgpr3
                                        ; implicit-def: $vgpr46
                                        ; implicit-def: $vgpr53
                                        ; implicit-def: $vgpr52
                                        ; implicit-def: $vgpr51
                                        ; implicit-def: $vgpr49
                                        ; implicit-def: $vgpr48
	s_mov_b32 s3, 0
.LBB43_8:
	s_mul_f32 s5, s24, 0x4f7ffffe
	s_clause 0x1
	s_load_b128 s[24:27], s[0:1], 0x98
	s_load_b64 s[20:21], s[0:1], 0x8c
	s_sub_co_i32 s11, 0, s29
	s_abs_i32 s36, s28
	s_cvt_u32_f32 s5, s5
	s_mov_b32 s15, s37
	s_ashr_i32 s33, s28, 31
	s_ashr_i32 s31, s31, 31
	s_wait_alu 0xfffe
	s_mul_i32 s11, s11, s5
	s_load_b64 s[40:41], s[0:1], 0xa8
	s_mul_hi_u32 s11, s5, s11
	v_lshrrev_b32_e32 v3, 3, v0
	s_add_co_i32 s14, s5, s11
	s_xor_b32 s11, s33, s31
	s_mul_u64 s[14:15], s[36:37], s[14:15]
	s_ashr_i32 s5, s39, 1
	s_mul_i32 s31, s15, s29
	s_add_co_i32 s33, s15, 1
	v_lshl_add_u32 v3, v4, 2, v3
	v_dual_mov_b32 v46, 32 :: v_dual_lshlrev_b32 v45, 2, v0
	s_wait_kmcnt 0x0
	s_ashr_i32 s14, s26, 2
	s_sub_co_i32 s26, s36, s31
	s_ashr_i32 s20, s20, 2
	s_sub_co_i32 s31, s26, s29
	s_cmp_ge_u32 s26, s29
	s_wait_alu 0xfffe
	v_mul_lo_u32 v5, s20, v3
	s_cselect_b32 s15, s33, s15
	s_cselect_b32 s26, s31, s26
	s_add_co_i32 s31, s15, 1
	s_cmp_ge_u32 s26, s29
	s_mul_u64 s[24:25], s[24:25], s[2:3]
	s_cselect_b32 s15, s31, s15
	v_mul_lo_u32 v19, s14, v3
	s_xor_b32 s15, s15, s11
	s_wait_alu 0xfffe
	s_add_nc_u64 s[6:7], s[6:7], s[24:25]
	s_sub_co_i32 s11, s15, s11
	s_lshl_b32 s15, s20, 4
	s_mul_i32 s24, s11, s21
	s_wait_alu 0xfffe
	v_dual_mov_b32 v90, 0 :: v_dual_add_nc_u32 v7, s15, v5
	s_ashr_i32 s25, s24, 31
	v_dual_mov_b32 v89, 0 :: v_dual_and_b32 v38, 28, v45
	s_wait_alu 0xfffe
	s_add_nc_u64 s[6:7], s[6:7], s[24:25]
	s_mul_u64 s[24:25], s[40:41], s[2:3]
	s_lshl_b32 s3, s14, 4
	v_add_nc_u32_e32 v9, s15, v7
	s_wait_alu 0xfffe
	v_dual_mov_b32 v88, 0 :: v_dual_add_nc_u32 v21, s3, v19
	v_dual_mov_b32 v35, 0xfeffffff :: v_dual_lshlrev_b32 v20, 2, v38
	s_delay_alu instid0(VALU_DEP_3) | instskip(NEXT) | instid1(VALU_DEP_3)
	v_add_nc_u32_e32 v11, s15, v9
	v_add_nc_u32_e32 v23, s3, v21
	v_ashrrev_i32_e32 v6, 31, v5
	s_delay_alu instid0(VALU_DEP_4)
	v_mad_u32_u24 v47, 0x90, v3, v20
	v_ashrrev_i32_e32 v8, 31, v7
	v_add_nc_u32_e32 v13, s15, v11
	v_add_nc_u32_e32 v27, s3, v23
	v_ashrrev_i32_e32 v10, 31, v9
	v_ashrrev_i32_e32 v12, 31, v11
	v_lshl_or_b32 v61, v3, 7, v20
	v_add_nc_u32_e32 v15, s15, v13
	v_add_nc_u32_e32 v29, s3, v27
	v_ashrrev_i32_e32 v14, 31, v13
	v_ashrrev_i32_e32 v20, 31, v19
	v_ashrrev_i32_e32 v22, 31, v21
	v_add_nc_u32_e32 v17, s15, v15
	v_add_nc_u32_e32 v31, s3, v29
	v_ashrrev_i32_e32 v16, 31, v15
	v_ashrrev_i32_e32 v24, 31, v23
	v_ashrrev_i32_e32 v28, 31, v27
	;; [unrolled: 5-line block ×3, first 2 shown]
	v_ashrrev_i32_e32 v26, 31, v25
	v_add_nc_u32_e32 v36, s3, v33
	v_ashrrev_i32_e32 v34, 31, v33
	v_lshl_add_u32 v62, v4, 9, 0x4800
	v_mad_co_u64_u32 v[2:3], null, v2, s5, v[0:1]
	s_delay_alu instid0(VALU_DEP_4)
	v_ashrrev_i32_e32 v37, 31, v36
	s_mul_i32 s26, s11, s27
	v_lshlrev_b64_e32 v[3:4], 2, v[5:6]
	v_lshlrev_b64_e32 v[5:6], 2, v[7:8]
	;; [unrolled: 1-line block ×16, first 2 shown]
	v_dual_mov_b32 v63, 0 :: v_dual_add_nc_u32 v50, 0x900, v47
	v_add_nc_u32_e32 v54, 0x1200, v47
	v_add_nc_u32_e32 v55, 0x1b00, v47
	;; [unrolled: 1-line block ×6, first 2 shown]
	v_mul_u32_u24_e32 v60, 0x90, v0
	v_add_nc_u32_e32 v64, 0x800, v61
	v_add_nc_u32_e32 v65, 0x1000, v61
	;; [unrolled: 1-line block ×7, first 2 shown]
	v_lshlrev_b32_e32 v71, 2, v38
	v_xor_b32_e32 v53, 16, v44
	v_xor_b32_e32 v52, 8, v44
	;; [unrolled: 1-line block ×5, first 2 shown]
	v_add_nc_u32_e32 v72, v62, v45
	v_add_nc_u32_e32 v73, 0x400, v45
	;; [unrolled: 1-line block ×16, first 2 shown]
	v_mov_b32_e32 v36, 0xfeffffff
	s_add_nc_u64 s[8:9], s[8:9], s[24:25]
	s_ashr_i32 s27, s26, 31
	s_ashr_i32 s21, s20, 31
	s_add_nc_u64 s[8:9], s[8:9], s[26:27]
	s_ashr_i32 s15, s14, 31
	s_add_nc_u64 s[24:25], s[0:1], 0xd0
.LBB43_9:                               ; =>This Inner Loop Header: Depth=1
	s_ashr_i32 s11, s10, 31
	v_mov_b32_e32 v39, v35
	s_wait_alu 0xfffe
	s_mul_u64 s[26:27], s[10:11], s[20:21]
	v_dual_mov_b32 v38, v88 :: v_dual_mov_b32 v37, v36
	s_wait_alu 0xfffe
	s_lshl_b64 s[26:27], s[26:27], 2
	v_mov_b32_e32 v40, 0
	s_wait_alu 0xfffe
	s_add_nc_u64 s[26:27], s[6:7], s[26:27]
	v_mov_b32_e32 v41, 0
	s_wait_alu 0xfffe
	v_add_co_u32 v35, vcc_lo, s26, v3
	s_wait_alu 0xfffd
	v_add_co_ci_u32_e64 v36, null, s27, v4, vcc_lo
	v_mov_b32_e32 v42, 0
	s_delay_alu instid0(VALU_DEP_3) | instskip(SKIP_1) | instid1(VALU_DEP_3)
	v_add_co_u32 v35, vcc_lo, v35, v71
	s_wait_alu 0xfffd
	v_add_co_ci_u32_e64 v36, null, 0, v36, vcc_lo
	v_mov_b32_e32 v88, 0
	global_load_b128 v[91:94], v[35:36], off
	v_add_co_u32 v35, vcc_lo, s26, v5
	s_wait_alu 0xfffd
	v_add_co_ci_u32_e64 v36, null, s27, v6, vcc_lo
	s_delay_alu instid0(VALU_DEP_2) | instskip(SKIP_1) | instid1(VALU_DEP_2)
	v_add_co_u32 v35, vcc_lo, v35, v71
	s_wait_alu 0xfffd
	v_add_co_ci_u32_e64 v36, null, 0, v36, vcc_lo
	s_wait_loadcnt 0x0
	ds_store_b128 v47, v[91:94]
	global_load_b128 v[91:94], v[35:36], off
	v_add_co_u32 v35, vcc_lo, s26, v7
	s_wait_alu 0xfffd
	v_add_co_ci_u32_e64 v36, null, s27, v8, vcc_lo
	s_delay_alu instid0(VALU_DEP_2) | instskip(SKIP_1) | instid1(VALU_DEP_2)
	v_add_co_u32 v35, vcc_lo, v35, v71
	s_wait_alu 0xfffd
	v_add_co_ci_u32_e64 v36, null, 0, v36, vcc_lo
	s_wait_loadcnt 0x0
	ds_store_b128 v50, v[91:94]
	;; [unrolled: 10-line block ×6, first 2 shown]
	global_load_b128 v[91:94], v[35:36], off
	v_add_co_u32 v35, vcc_lo, s26, v17
	s_wait_alu 0xfffd
	v_add_co_ci_u32_e64 v36, null, s27, v18, vcc_lo
	s_mul_u64 s[26:27], s[10:11], s[14:15]
	v_add_co_u32 v35, vcc_lo, v35, v71
	s_wait_alu 0xfffd
	v_add_co_ci_u32_e64 v36, null, 0, v36, vcc_lo
	v_cmp_gt_i32_e32 vcc_lo, 32, v53
	s_wait_alu 0xfffe
	s_lshl_b64 s[26:27], s[26:27], 2
	s_wait_alu 0xfffe
	s_add_nc_u64 s[26:27], s[8:9], s[26:27]
	s_wait_loadcnt 0x0
	ds_store_b128 v58, v[91:94]
	global_load_b128 v[91:94], v[35:36], off
	v_dual_mov_b32 v35, 0 :: v_dual_mov_b32 v36, 0
	s_wait_loadcnt 0x0
	ds_store_b128 v59, v[91:94]
	s_wait_dscnt 0x0
	s_barrier_signal -1
	s_barrier_wait -1
	global_inv scope:SCOPE_SE
	ds_load_b128 v[91:94], v60
	ds_load_b128 v[95:98], v60 offset:4608
	ds_load_b128 v[99:102], v60 offset:9216
	;; [unrolled: 1-line block ×3, first 2 shown]
	ds_load_b128 v[107:110], v43
	ds_load_b128 v[111:114], v43 offset:128
	s_wait_dscnt 0x1
	;;#ASMSTART
	v_dot2_f32_f16 v35, v91, v107, v35
	;;#ASMEND
	;;#ASMSTART
	v_dot2_f32_f16 v35, v92, v108, v35
	;;#ASMEND
	;; [unrolled: 3-line block ×4, first 2 shown]
	s_wait_dscnt 0x0
	;;#ASMSTART
	v_dot2_f32_f16 v36, v91, v111, v36
	;;#ASMEND
	;;#ASMSTART
	v_dot2_f32_f16 v36, v92, v112, v36
	;;#ASMEND
	;; [unrolled: 3-line block ×8, first 2 shown]
	v_mov_b32_e32 v91, 0
	;;#ASMSTART
	v_dot2_f32_f16 v40, v95, v111, v40
	;;#ASMEND
	;;#ASMSTART
	v_dot2_f32_f16 v40, v96, v112, v40
	;;#ASMEND
	;; [unrolled: 3-line block ×8, first 2 shown]
	v_mov_b32_e32 v92, 0
	;;#ASMSTART
	v_dot2_f32_f16 v41, v99, v111, v41
	;;#ASMEND
	;;#ASMSTART
	v_dot2_f32_f16 v41, v100, v112, v41
	;;#ASMEND
	;; [unrolled: 3-line block ×12, first 2 shown]
	ds_load_b128 v[93:96], v60 offset:16
	ds_load_b128 v[97:100], v60 offset:4624
	;; [unrolled: 1-line block ×6, first 2 shown]
	s_wait_dscnt 0x1
	;;#ASMSTART
	v_dot2_f32_f16 v35, v93, v109, v35
	;;#ASMEND
	;;#ASMSTART
	v_dot2_f32_f16 v35, v94, v110, v35
	;;#ASMEND
	;; [unrolled: 3-line block ×4, first 2 shown]
	s_wait_dscnt 0x0
	;;#ASMSTART
	v_dot2_f32_f16 v36, v93, v113, v36
	;;#ASMEND
	;;#ASMSTART
	v_dot2_f32_f16 v36, v94, v114, v36
	;;#ASMEND
	;; [unrolled: 3-line block ×28, first 2 shown]
	ds_load_b128 v[93:96], v60 offset:32
	ds_load_b128 v[97:100], v60 offset:4640
	;; [unrolled: 1-line block ×6, first 2 shown]
	s_wait_dscnt 0x1
	;;#ASMSTART
	v_dot2_f32_f16 v35, v93, v109, v35
	;;#ASMEND
	;;#ASMSTART
	v_dot2_f32_f16 v35, v94, v110, v35
	;;#ASMEND
	;; [unrolled: 3-line block ×4, first 2 shown]
	s_wait_dscnt 0x0
	;;#ASMSTART
	v_dot2_f32_f16 v36, v93, v113, v36
	;;#ASMEND
	;;#ASMSTART
	v_dot2_f32_f16 v36, v94, v114, v36
	;;#ASMEND
	;; [unrolled: 3-line block ×28, first 2 shown]
	ds_load_b128 v[93:96], v60 offset:48
	ds_load_b128 v[97:100], v60 offset:4656
	;; [unrolled: 1-line block ×6, first 2 shown]
	s_wait_dscnt 0x1
	;;#ASMSTART
	v_dot2_f32_f16 v35, v93, v109, v35
	;;#ASMEND
	;;#ASMSTART
	v_dot2_f32_f16 v35, v94, v110, v35
	;;#ASMEND
	;; [unrolled: 3-line block ×4, first 2 shown]
	s_wait_dscnt 0x0
	;;#ASMSTART
	v_dot2_f32_f16 v36, v93, v113, v36
	;;#ASMEND
	;;#ASMSTART
	v_dot2_f32_f16 v36, v94, v114, v36
	;;#ASMEND
	;; [unrolled: 3-line block ×28, first 2 shown]
	ds_load_b128 v[93:96], v60 offset:64
	ds_load_b128 v[97:100], v60 offset:4672
	;; [unrolled: 1-line block ×6, first 2 shown]
	s_wait_dscnt 0x1
	;;#ASMSTART
	v_dot2_f32_f16 v35, v93, v109, v35
	;;#ASMEND
	;;#ASMSTART
	v_dot2_f32_f16 v35, v94, v110, v35
	;;#ASMEND
	;; [unrolled: 3-line block ×4, first 2 shown]
	s_wait_dscnt 0x0
	;;#ASMSTART
	v_dot2_f32_f16 v36, v93, v113, v36
	;;#ASMEND
	;;#ASMSTART
	v_dot2_f32_f16 v36, v94, v114, v36
	;;#ASMEND
	;; [unrolled: 3-line block ×28, first 2 shown]
	ds_load_b128 v[93:96], v60 offset:80
	ds_load_b128 v[97:100], v60 offset:4688
	;; [unrolled: 1-line block ×6, first 2 shown]
	s_wait_dscnt 0x1
	;;#ASMSTART
	v_dot2_f32_f16 v35, v93, v109, v35
	;;#ASMEND
	;;#ASMSTART
	v_dot2_f32_f16 v35, v94, v110, v35
	;;#ASMEND
	;;#ASMSTART
	v_dot2_f32_f16 v35, v95, v111, v35
	;;#ASMEND
	;;#ASMSTART
	v_dot2_f32_f16 v35, v96, v112, v35
	;;#ASMEND
	s_wait_dscnt 0x0
	;;#ASMSTART
	v_dot2_f32_f16 v36, v93, v113, v36
	;;#ASMEND
	;;#ASMSTART
	v_dot2_f32_f16 v36, v94, v114, v36
	;;#ASMEND
	;; [unrolled: 3-line block ×28, first 2 shown]
	ds_load_b128 v[93:96], v60 offset:96
	ds_load_b128 v[97:100], v60 offset:4704
	;; [unrolled: 1-line block ×6, first 2 shown]
	s_wait_dscnt 0x1
	;;#ASMSTART
	v_dot2_f32_f16 v35, v93, v109, v35
	;;#ASMEND
	;;#ASMSTART
	v_dot2_f32_f16 v35, v94, v110, v35
	;;#ASMEND
	;; [unrolled: 3-line block ×4, first 2 shown]
	s_wait_dscnt 0x0
	;;#ASMSTART
	v_dot2_f32_f16 v36, v93, v113, v36
	;;#ASMEND
	;;#ASMSTART
	v_dot2_f32_f16 v36, v94, v114, v36
	;;#ASMEND
	;;#ASMSTART
	v_dot2_f32_f16 v36, v95, v115, v36
	;;#ASMEND
	;;#ASMSTART
	v_dot2_f32_f16 v36, v96, v116, v36
	;;#ASMEND
	;;#ASMSTART
	v_dot2_f32_f16 v88, v97, v109, v88
	;;#ASMEND
	;;#ASMSTART
	v_dot2_f32_f16 v88, v98, v110, v88
	;;#ASMEND
	;;#ASMSTART
	v_dot2_f32_f16 v88, v99, v111, v88
	;;#ASMEND
	;;#ASMSTART
	v_dot2_f32_f16 v88, v100, v112, v88
	;;#ASMEND
	;;#ASMSTART
	v_dot2_f32_f16 v40, v97, v113, v40
	;;#ASMEND
	;;#ASMSTART
	v_dot2_f32_f16 v40, v98, v114, v40
	;;#ASMEND
	;;#ASMSTART
	v_dot2_f32_f16 v40, v99, v115, v40
	;;#ASMEND
	;;#ASMSTART
	v_dot2_f32_f16 v40, v100, v116, v40
	;;#ASMEND
	;;#ASMSTART
	v_dot2_f32_f16 v91, v101, v109, v91
	;;#ASMEND
	;;#ASMSTART
	v_dot2_f32_f16 v91, v102, v110, v91
	;;#ASMEND
	;;#ASMSTART
	v_dot2_f32_f16 v91, v103, v111, v91
	;;#ASMEND
	;;#ASMSTART
	v_dot2_f32_f16 v91, v104, v112, v91
	;;#ASMEND
	;;#ASMSTART
	v_dot2_f32_f16 v41, v101, v113, v41
	;;#ASMEND
	;;#ASMSTART
	v_dot2_f32_f16 v41, v102, v114, v41
	;;#ASMEND
	;;#ASMSTART
	v_dot2_f32_f16 v41, v103, v115, v41
	;;#ASMEND
	;;#ASMSTART
	v_dot2_f32_f16 v41, v104, v116, v41
	;;#ASMEND
	;;#ASMSTART
	v_dot2_f32_f16 v92, v105, v109, v92
	;;#ASMEND
	;;#ASMSTART
	v_dot2_f32_f16 v92, v106, v110, v92
	;;#ASMEND
	;;#ASMSTART
	v_dot2_f32_f16 v92, v107, v111, v92
	;;#ASMEND
	;;#ASMSTART
	v_dot2_f32_f16 v92, v108, v112, v92
	;;#ASMEND
	;;#ASMSTART
	v_dot2_f32_f16 v42, v105, v113, v42
	;;#ASMEND
	;;#ASMSTART
	v_dot2_f32_f16 v42, v106, v114, v42
	;;#ASMEND
	;;#ASMSTART
	v_dot2_f32_f16 v42, v107, v115, v42
	;;#ASMEND
	;;#ASMSTART
	v_dot2_f32_f16 v42, v108, v116, v42
	;;#ASMEND
	ds_load_b128 v[93:96], v60 offset:112
	ds_load_b128 v[97:100], v60 offset:4720
	;; [unrolled: 1-line block ×6, first 2 shown]
	s_wait_dscnt 0x1
	;;#ASMSTART
	v_dot2_f32_f16 v35, v93, v109, v35
	;;#ASMEND
	;;#ASMSTART
	v_dot2_f32_f16 v35, v94, v110, v35
	;;#ASMEND
	;; [unrolled: 3-line block ×4, first 2 shown]
	s_wait_dscnt 0x0
	;;#ASMSTART
	v_dot2_f32_f16 v36, v93, v113, v36
	;;#ASMEND
	;;#ASMSTART
	v_dot2_f32_f16 v36, v94, v114, v36
	;;#ASMEND
	s_wait_alu 0xfffd
	v_cndmask_b32_e32 v94, v44, v53, vcc_lo
	v_cmp_gt_i32_e32 vcc_lo, 32, v52
	;;#ASMSTART
	v_dot2_f32_f16 v36, v95, v115, v36
	;;#ASMEND
	;;#ASMSTART
	v_dot2_f32_f16 v36, v96, v116, v36
	;;#ASMEND
	;; [unrolled: 3-line block ×3, first 2 shown]
	s_wait_alu 0xfffd
	v_dual_cndmask_b32 v94, v44, v52 :: v_dual_lshlrev_b32 v95, 2, v94
	v_cmp_gt_i32_e32 vcc_lo, 32, v51
	;;#ASMSTART
	v_dot2_f32_f16 v88, v98, v110, v88
	;;#ASMEND
	;;#ASMSTART
	v_dot2_f32_f16 v88, v99, v111, v88
	;;#ASMEND
	;; [unrolled: 3-line block ×3, first 2 shown]
	v_lshlrev_b32_e32 v96, 2, v94
	s_wait_alu 0xfffd
	v_cndmask_b32_e32 v94, v44, v51, vcc_lo
	v_cmp_gt_i32_e32 vcc_lo, 32, v49
	;;#ASMSTART
	v_dot2_f32_f16 v40, v97, v113, v40
	;;#ASMEND
	;;#ASMSTART
	v_dot2_f32_f16 v40, v98, v114, v40
	;;#ASMEND
	;; [unrolled: 3-line block ×6, first 2 shown]
	s_wait_alu 0xfffd
	v_dual_cndmask_b32 v94, v44, v49 :: v_dual_lshlrev_b32 v97, 2, v94
	v_cmp_gt_i32_e32 vcc_lo, 32, v48
	;;#ASMSTART
	v_dot2_f32_f16 v91, v103, v111, v91
	;;#ASMEND
	;;#ASMSTART
	v_dot2_f32_f16 v91, v104, v112, v91
	;;#ASMEND
	;; [unrolled: 3-line block ×6, first 2 shown]
	v_add_nc_u32_e32 v93, s10, v2
	v_lshlrev_b32_e32 v98, 2, v94
	s_wait_alu 0xfffd
	v_cndmask_b32_e32 v94, v44, v48, vcc_lo
	;;#ASMSTART
	v_dot2_f32_f16 v92, v105, v109, v92
	;;#ASMEND
	;;#ASMSTART
	v_dot2_f32_f16 v92, v106, v110, v92
	;;#ASMEND
	;; [unrolled: 3-line block ×4, first 2 shown]
	v_lshlrev_b32_e32 v99, 2, v94
	v_ashrrev_i32_e32 v94, 31, v93
	;;#ASMSTART
	v_dot2_f32_f16 v42, v105, v113, v42
	;;#ASMEND
	;;#ASMSTART
	v_dot2_f32_f16 v42, v106, v114, v42
	;;#ASMEND
	;; [unrolled: 3-line block ×4, first 2 shown]
	v_lshlrev_b64_e32 v[93:94], 1, v[93:94]
	s_delay_alu instid0(VALU_DEP_1) | instskip(SKIP_1) | instid1(VALU_DEP_2)
	v_add_co_u32 v93, vcc_lo, s34, v93
	s_wait_alu 0xfffd
	v_add_co_ci_u32_e64 v94, null, s35, v94, vcc_lo
	s_clause 0x1
	global_load_u16 v100, v[93:94], off
	global_load_u16 v102, v[93:94], off offset:64
	s_wait_loadcnt 0x1
	v_cvt_f32_f16_e32 v100, v100
	s_wait_loadcnt 0x0
	v_cvt_f32_f16_e32 v102, v102
	s_delay_alu instid0(VALU_DEP_1) | instskip(NEXT) | instid1(VALU_DEP_1)
	v_dual_add_f32 v101, v35, v100 :: v_dual_add_f32 v88, v88, v102
	v_add_f32_e32 v35, 0x40051340, v101
	s_delay_alu instid0(VALU_DEP_2) | instskip(NEXT) | instid1(VALU_DEP_1)
	v_add_f32_e32 v103, 0x40051340, v88
	v_max3_num_f32 v35, v39, v35, v103
	s_clause 0x1
	global_load_u16 v103, v[93:94], off offset:128
	global_load_u16 v93, v[93:94], off offset:192
	s_wait_loadcnt 0x0
	s_barrier_signal -1
	s_barrier_wait -1
	global_inv scope:SCOPE_SE
	v_cvt_f32_f16_e32 v103, v103
	v_cvt_f32_f16_e32 v93, v93
	s_delay_alu instid0(VALU_DEP_1) | instskip(SKIP_1) | instid1(VALU_DEP_2)
	v_dual_add_f32 v91, v91, v103 :: v_dual_add_f32 v92, v92, v93
	v_dual_add_f32 v42, v42, v93 :: v_dual_add_f32 v41, v41, v103
	v_add_f32_e32 v104, 0x40051340, v91
	s_delay_alu instid0(VALU_DEP_2) | instskip(NEXT) | instid1(VALU_DEP_1)
	v_dual_add_f32 v94, 0x40051340, v92 :: v_dual_add_f32 v93, 0x40051340, v42
	v_max3_num_f32 v35, v35, v104, v94
	ds_bpermute_b32 v94, v95, v35
	s_wait_dscnt 0x0
	v_max_num_f32_e32 v94, v94, v94
	s_delay_alu instid0(VALU_DEP_1) | instskip(SKIP_3) | instid1(VALU_DEP_1)
	v_max_num_f32_e32 v35, v35, v94
	ds_bpermute_b32 v94, v96, v35
	s_wait_dscnt 0x0
	v_max_num_f32_e32 v94, v94, v94
	v_max_num_f32_e32 v35, v35, v94
	ds_bpermute_b32 v94, v97, v35
	s_wait_dscnt 0x0
	v_max_num_f32_e32 v94, v94, v94
	s_delay_alu instid0(VALU_DEP_1) | instskip(SKIP_3) | instid1(VALU_DEP_1)
	v_max_num_f32_e32 v35, v35, v94
	ds_bpermute_b32 v94, v98, v35
	s_wait_dscnt 0x0
	v_max_num_f32_e32 v94, v94, v94
	v_max_num_f32_e32 v35, v35, v94
	ds_bpermute_b32 v94, v99, v35
	s_wait_dscnt 0x0
	v_max_num_f32_e32 v94, v94, v94
	s_delay_alu instid0(VALU_DEP_1) | instskip(SKIP_1) | instid1(VALU_DEP_2)
	v_dual_max_num_f32 v35, v35, v94 :: v_dual_add_f32 v94, v36, v100
	v_add_f32_e32 v100, v40, v102
	v_add_f32_e32 v36, 0x40051340, v94
	s_delay_alu instid0(VALU_DEP_2) | instskip(NEXT) | instid1(VALU_DEP_1)
	v_add_f32_e32 v40, 0x40051340, v100
	v_max3_num_f32 v36, v37, v36, v40
	v_add_f32_e32 v40, 0x40051340, v41
	s_delay_alu instid0(VALU_DEP_1) | instskip(SKIP_3) | instid1(VALU_DEP_1)
	v_max3_num_f32 v36, v36, v40, v93
	ds_bpermute_b32 v40, v95, v36
	s_wait_dscnt 0x0
	v_dual_max_num_f32 v40, v40, v40 :: v_dual_sub_f32 v93, v39, v35
	v_dual_sub_f32 v39, v101, v35 :: v_dual_max_num_f32 v36, v36, v40
	s_delay_alu instid0(VALU_DEP_1) | instskip(SKIP_3) | instid1(VALU_DEP_1)
	v_cmp_ngt_f32_e32 vcc_lo, 0xc2ce8ed0, v39
	ds_bpermute_b32 v40, v96, v36
	s_wait_dscnt 0x0
	v_max_num_f32_e32 v40, v40, v40
	v_max_num_f32_e32 v36, v36, v40
	ds_bpermute_b32 v40, v97, v36
	s_wait_dscnt 0x0
	v_max_num_f32_e32 v40, v40, v40
	s_delay_alu instid0(VALU_DEP_1) | instskip(SKIP_3) | instid1(VALU_DEP_1)
	v_max_num_f32_e32 v36, v36, v40
	ds_bpermute_b32 v40, v98, v36
	s_wait_dscnt 0x0
	v_max_num_f32_e32 v40, v40, v40
	v_max_num_f32_e32 v36, v36, v40
	ds_bpermute_b32 v40, v99, v36
	s_wait_dscnt 0x0
	v_max_num_f32_e32 v40, v40, v40
	s_delay_alu instid0(VALU_DEP_1) | instskip(NEXT) | instid1(VALU_DEP_1)
	v_max_num_f32_e32 v36, v36, v40
	v_dual_mul_f32 v40, 0x3fb8aa3b, v39 :: v_dual_sub_f32 v37, v37, v36
	s_delay_alu instid0(VALU_DEP_1) | instskip(SKIP_2) | instid1(VALU_DEP_2)
	v_fma_f32 v95, 0x3fb8aa3b, v39, -v40
	v_rndne_f32_e32 v96, v40
	v_sub_f32_e32 v41, v41, v36
	v_dual_fmac_f32 v95, 0x32a5705f, v39 :: v_dual_sub_f32 v40, v40, v96
	s_delay_alu instid0(VALU_DEP_1) | instskip(SKIP_1) | instid1(VALU_DEP_2)
	v_add_f32_e32 v40, v40, v95
	v_cvt_i32_f32_e32 v95, v96
	v_exp_f32_e32 v40, v40
	s_delay_alu instid0(TRANS32_DEP_1) | instskip(SKIP_1) | instid1(VALU_DEP_1)
	v_ldexp_f32 v40, v40, v95
	s_wait_alu 0xfffd
	v_cndmask_b32_e32 v40, 0, v40, vcc_lo
	v_cmp_nlt_f32_e32 vcc_lo, 0x42b17218, v39
	s_wait_alu 0xfffd
	s_delay_alu instid0(VALU_DEP_2) | instskip(NEXT) | instid1(VALU_DEP_1)
	v_dual_cndmask_b32 v39, 0x7f800000, v40 :: v_dual_sub_f32 v40, v88, v35
	v_cvt_f16_f32_e32 v95, v39
	s_delay_alu instid0(VALU_DEP_2) | instskip(SKIP_1) | instid1(VALU_DEP_2)
	v_mul_f32_e32 v88, 0x3fb8aa3b, v40
	v_cmp_ngt_f32_e32 vcc_lo, 0xc2ce8ed0, v40
	v_fma_f32 v96, 0x3fb8aa3b, v40, -v88
	v_rndne_f32_e32 v97, v88
	s_delay_alu instid0(VALU_DEP_2) | instskip(NEXT) | instid1(VALU_DEP_2)
	v_fmac_f32_e32 v96, 0x32a5705f, v40
	v_sub_f32_e32 v88, v88, v97
	s_delay_alu instid0(VALU_DEP_1) | instskip(SKIP_1) | instid1(VALU_DEP_2)
	v_add_f32_e32 v88, v88, v96
	v_cvt_i32_f32_e32 v96, v97
	v_exp_f32_e32 v88, v88
	s_delay_alu instid0(TRANS32_DEP_1) | instskip(SKIP_1) | instid1(VALU_DEP_1)
	v_ldexp_f32 v88, v88, v96
	s_wait_alu 0xfffd
	v_cndmask_b32_e32 v88, 0, v88, vcc_lo
	v_cmp_nlt_f32_e32 vcc_lo, 0x42b17218, v40
	s_wait_alu 0xfffd
	s_delay_alu instid0(VALU_DEP_2) | instskip(NEXT) | instid1(VALU_DEP_1)
	v_cndmask_b32_e32 v40, 0x7f800000, v88, vcc_lo
	v_add_f32_e32 v39, v39, v40
	v_cvt_f16_f32_e32 v96, v40
	v_sub_f32_e32 v40, v91, v35
	s_delay_alu instid0(VALU_DEP_1) | instskip(SKIP_1) | instid1(VALU_DEP_2)
	v_mul_f32_e32 v88, 0x3fb8aa3b, v40
	v_cmp_ngt_f32_e32 vcc_lo, 0xc2ce8ed0, v40
	v_fma_f32 v91, 0x3fb8aa3b, v40, -v88
	v_rndne_f32_e32 v97, v88
	s_delay_alu instid0(VALU_DEP_1) | instskip(NEXT) | instid1(VALU_DEP_1)
	v_dual_fmac_f32 v91, 0x32a5705f, v40 :: v_dual_sub_f32 v88, v88, v97
	v_add_f32_e32 v88, v88, v91
	v_cvt_i32_f32_e32 v91, v97
	s_delay_alu instid0(VALU_DEP_2) | instskip(NEXT) | instid1(TRANS32_DEP_1)
	v_exp_f32_e32 v88, v88
	v_ldexp_f32 v88, v88, v91
	s_wait_alu 0xfffd
	s_delay_alu instid0(VALU_DEP_1) | instskip(SKIP_2) | instid1(VALU_DEP_2)
	v_cndmask_b32_e32 v88, 0, v88, vcc_lo
	v_cmp_nlt_f32_e32 vcc_lo, 0x42b17218, v40
	s_wait_alu 0xfffd
	v_cndmask_b32_e32 v40, 0x7f800000, v88, vcc_lo
	s_delay_alu instid0(VALU_DEP_1) | instskip(SKIP_2) | instid1(VALU_DEP_1)
	v_add_f32_e32 v88, v40, v39
	v_cvt_f16_f32_e32 v39, v40
	v_sub_f32_e32 v40, v92, v35
	v_mul_f32_e32 v91, 0x3fb8aa3b, v40
	v_cmp_ngt_f32_e32 vcc_lo, 0xc2ce8ed0, v40
	s_delay_alu instid0(VALU_DEP_2) | instskip(SKIP_1) | instid1(VALU_DEP_1)
	v_fma_f32 v92, 0x3fb8aa3b, v40, -v91
	v_rndne_f32_e32 v97, v91
	v_dual_fmac_f32 v92, 0x32a5705f, v40 :: v_dual_sub_f32 v91, v91, v97
	s_delay_alu instid0(VALU_DEP_1) | instskip(SKIP_2) | instid1(VALU_DEP_3)
	v_add_f32_e32 v91, v91, v92
	v_cvt_i32_f32_e32 v92, v97
	v_sub_f32_e32 v42, v42, v36
	v_exp_f32_e32 v91, v91
	s_delay_alu instid0(TRANS32_DEP_1) | instskip(SKIP_1) | instid1(VALU_DEP_1)
	v_ldexp_f32 v91, v91, v92
	s_wait_alu 0xfffd
	v_cndmask_b32_e32 v91, 0, v91, vcc_lo
	v_cmp_nlt_f32_e32 vcc_lo, 0x42b17218, v40
	s_wait_alu 0xfffd
	s_delay_alu instid0(VALU_DEP_2) | instskip(SKIP_2) | instid1(VALU_DEP_3)
	v_cndmask_b32_e32 v40, 0x7f800000, v91, vcc_lo
	v_mul_f32_e32 v91, 0x3fb8aa3b, v93
	v_cmp_ngt_f32_e32 vcc_lo, 0xc2ce8ed0, v93
	v_add_f32_e32 v88, v40, v88
	s_delay_alu instid0(VALU_DEP_3) | instskip(SKIP_2) | instid1(VALU_DEP_3)
	v_fma_f32 v92, 0x3fb8aa3b, v93, -v91
	v_rndne_f32_e32 v97, v91
	v_cvt_f16_f32_e32 v40, v40
	v_fmac_f32_e32 v92, 0x32a5705f, v93
	s_delay_alu instid0(VALU_DEP_3) | instskip(NEXT) | instid1(VALU_DEP_1)
	v_sub_f32_e32 v91, v91, v97
	v_add_f32_e32 v91, v91, v92
	v_cvt_i32_f32_e32 v92, v97
	s_delay_alu instid0(VALU_DEP_2) | instskip(NEXT) | instid1(TRANS32_DEP_1)
	v_exp_f32_e32 v91, v91
	v_ldexp_f32 v91, v91, v92
	s_wait_alu 0xfffd
	s_delay_alu instid0(VALU_DEP_1) | instskip(SKIP_2) | instid1(VALU_DEP_2)
	v_cndmask_b32_e32 v91, 0, v91, vcc_lo
	v_cmp_nlt_f32_e32 vcc_lo, 0x42b17218, v93
	s_wait_alu 0xfffd
	v_cndmask_b32_e32 v91, 0x7f800000, v91, vcc_lo
	s_delay_alu instid0(VALU_DEP_1) | instskip(SKIP_1) | instid1(VALU_DEP_1)
	v_fmac_f32_e32 v88, v38, v91
	v_cvt_f16_f32_e32 v38, v91
	v_and_b32_e32 v38, 0xffff, v38
	s_delay_alu instid0(VALU_DEP_1) | instskip(SKIP_1) | instid1(VALU_DEP_1)
	v_mul_u32_u24_e32 v91, 0x10001, v38
	v_sub_f32_e32 v38, v94, v36
	v_mul_f32_e32 v92, 0x3fb8aa3b, v38
	v_cmp_ngt_f32_e32 vcc_lo, 0xc2ce8ed0, v38
	s_delay_alu instid0(VALU_DEP_2) | instskip(SKIP_1) | instid1(VALU_DEP_2)
	v_fma_f32 v93, 0x3fb8aa3b, v38, -v92
	v_rndne_f32_e32 v94, v92
	v_fmac_f32_e32 v93, 0x32a5705f, v38
	s_delay_alu instid0(VALU_DEP_2) | instskip(NEXT) | instid1(VALU_DEP_1)
	v_sub_f32_e32 v92, v92, v94
	v_add_f32_e32 v92, v92, v93
	v_cvt_i32_f32_e32 v93, v94
	s_delay_alu instid0(VALU_DEP_2) | instskip(NEXT) | instid1(TRANS32_DEP_1)
	v_exp_f32_e32 v92, v92
	v_ldexp_f32 v92, v92, v93
	s_wait_alu 0xfffd
	s_delay_alu instid0(VALU_DEP_1) | instskip(SKIP_2) | instid1(VALU_DEP_2)
	v_cndmask_b32_e32 v92, 0, v92, vcc_lo
	v_cmp_nlt_f32_e32 vcc_lo, 0x42b17218, v38
	s_wait_alu 0xfffd
	v_cndmask_b32_e32 v38, 0x7f800000, v92, vcc_lo
	v_sub_f32_e32 v92, v100, v36
	s_delay_alu instid0(VALU_DEP_2) | instskip(NEXT) | instid1(VALU_DEP_2)
	v_cvt_f16_f32_e32 v93, v38
	v_mul_f32_e32 v94, 0x3fb8aa3b, v92
	v_cmp_ngt_f32_e32 vcc_lo, 0xc2ce8ed0, v92
	s_delay_alu instid0(VALU_DEP_2) | instskip(SKIP_1) | instid1(VALU_DEP_1)
	v_fma_f32 v97, 0x3fb8aa3b, v92, -v94
	v_rndne_f32_e32 v98, v94
	v_dual_fmac_f32 v97, 0x32a5705f, v92 :: v_dual_sub_f32 v94, v94, v98
	s_delay_alu instid0(VALU_DEP_1) | instskip(SKIP_1) | instid1(VALU_DEP_2)
	v_add_f32_e32 v94, v94, v97
	v_cvt_i32_f32_e32 v97, v98
	v_exp_f32_e32 v94, v94
	s_delay_alu instid0(TRANS32_DEP_1) | instskip(SKIP_1) | instid1(VALU_DEP_1)
	v_ldexp_f32 v94, v94, v97
	s_wait_alu 0xfffd
	v_cndmask_b32_e32 v94, 0, v94, vcc_lo
	v_cmp_nlt_f32_e32 vcc_lo, 0x42b17218, v92
	s_wait_alu 0xfffd
	s_delay_alu instid0(VALU_DEP_2) | instskip(SKIP_1) | instid1(VALU_DEP_2)
	v_cndmask_b32_e32 v92, 0x7f800000, v94, vcc_lo
	v_cmp_ngt_f32_e32 vcc_lo, 0xc2ce8ed0, v41
	v_add_f32_e32 v38, v38, v92
	v_cvt_f16_f32_e32 v94, v92
	v_mul_f32_e32 v92, 0x3fb8aa3b, v41
	s_delay_alu instid0(VALU_DEP_1) | instskip(SKIP_1) | instid1(VALU_DEP_1)
	v_fma_f32 v97, 0x3fb8aa3b, v41, -v92
	v_rndne_f32_e32 v98, v92
	v_dual_fmac_f32 v97, 0x32a5705f, v41 :: v_dual_sub_f32 v92, v92, v98
	s_delay_alu instid0(VALU_DEP_1) | instskip(SKIP_1) | instid1(VALU_DEP_2)
	v_add_f32_e32 v92, v92, v97
	v_cvt_i32_f32_e32 v97, v98
	v_exp_f32_e32 v92, v92
	s_delay_alu instid0(TRANS32_DEP_1) | instskip(SKIP_1) | instid1(VALU_DEP_1)
	v_ldexp_f32 v92, v92, v97
	s_wait_alu 0xfffd
	v_cndmask_b32_e32 v92, 0, v92, vcc_lo
	v_cmp_nlt_f32_e32 vcc_lo, 0x42b17218, v41
	s_wait_alu 0xfffd
	s_delay_alu instid0(VALU_DEP_2) | instskip(SKIP_2) | instid1(VALU_DEP_3)
	v_cndmask_b32_e32 v41, 0x7f800000, v92, vcc_lo
	v_mul_f32_e32 v92, 0x3fb8aa3b, v42
	v_cmp_ngt_f32_e32 vcc_lo, 0xc2ce8ed0, v42
	v_add_f32_e32 v38, v41, v38
	s_delay_alu instid0(VALU_DEP_3) | instskip(SKIP_2) | instid1(VALU_DEP_3)
	v_fma_f32 v97, 0x3fb8aa3b, v42, -v92
	v_rndne_f32_e32 v98, v92
	v_cvt_f16_f32_e32 v41, v41
	v_fmac_f32_e32 v97, 0x32a5705f, v42
	s_delay_alu instid0(VALU_DEP_3) | instskip(NEXT) | instid1(VALU_DEP_1)
	v_sub_f32_e32 v92, v92, v98
	v_add_f32_e32 v92, v92, v97
	v_cvt_i32_f32_e32 v97, v98
	s_delay_alu instid0(VALU_DEP_2) | instskip(NEXT) | instid1(TRANS32_DEP_1)
	v_exp_f32_e32 v92, v92
	v_ldexp_f32 v92, v92, v97
	s_wait_alu 0xfffd
	s_delay_alu instid0(VALU_DEP_1) | instskip(SKIP_2) | instid1(VALU_DEP_2)
	v_cndmask_b32_e32 v92, 0, v92, vcc_lo
	v_cmp_nlt_f32_e32 vcc_lo, 0x42b17218, v42
	s_wait_alu 0xfffd
	v_cndmask_b32_e32 v42, 0x7f800000, v92, vcc_lo
	v_mul_f32_e32 v92, 0x3fb8aa3b, v37
	v_cmp_ngt_f32_e32 vcc_lo, 0xc2ce8ed0, v37
	s_delay_alu instid0(VALU_DEP_3) | instskip(NEXT) | instid1(VALU_DEP_3)
	v_add_f32_e32 v38, v42, v38
	v_fma_f32 v97, 0x3fb8aa3b, v37, -v92
	v_rndne_f32_e32 v98, v92
	v_cvt_f16_f32_e32 v42, v42
	s_delay_alu instid0(VALU_DEP_2) | instskip(NEXT) | instid1(VALU_DEP_1)
	v_dual_fmac_f32 v97, 0x32a5705f, v37 :: v_dual_sub_f32 v92, v92, v98
	v_add_f32_e32 v92, v92, v97
	v_cvt_i32_f32_e32 v97, v98
	s_delay_alu instid0(VALU_DEP_2) | instskip(NEXT) | instid1(TRANS32_DEP_1)
	v_exp_f32_e32 v92, v92
	v_ldexp_f32 v92, v92, v97
	s_wait_alu 0xfffd
	s_delay_alu instid0(VALU_DEP_1) | instskip(SKIP_2) | instid1(VALU_DEP_2)
	v_cndmask_b32_e32 v92, 0, v92, vcc_lo
	v_cmp_nlt_f32_e32 vcc_lo, 0x42b17218, v37
	s_wait_alu 0xfffd
	v_dual_cndmask_b32 v37, 0x7f800000, v92 :: v_dual_mov_b32 v92, v63
	v_mov_b32_e32 v63, v38
	v_pack_b32_f16 v38, v96, v94
	s_delay_alu instid0(VALU_DEP_2) | instskip(SKIP_1) | instid1(VALU_DEP_1)
	v_fmac_f32_e32 v63, v92, v37
	v_cvt_f16_f32_e32 v37, v37
	v_and_b32_e32 v37, 0xffff, v37
	s_delay_alu instid0(VALU_DEP_1)
	v_mul_u32_u24_e32 v92, 0x10001, v37
	v_pack_b32_f16 v37, v95, v93
	ds_store_2addr_b32 v72, v37, v38 offset1:32
	v_pack_b32_f16 v37, v39, v41
	v_pack_b32_f16 v38, v40, v42
	ds_store_2addr_b32 v72, v37, v38 offset0:64 offset1:96
	s_wait_alu 0xfffe
	v_add_co_u32 v37, vcc_lo, s26, v19
	s_wait_alu 0xfffd
	v_add_co_ci_u32_e64 v38, null, s27, v20, vcc_lo
	s_delay_alu instid0(VALU_DEP_2) | instskip(SKIP_1) | instid1(VALU_DEP_2)
	v_add_co_u32 v93, vcc_lo, v37, v71
	s_wait_alu 0xfffd
	v_add_co_ci_u32_e64 v94, null, 0, v38, vcc_lo
	v_add_co_u32 v37, vcc_lo, s26, v21
	s_wait_alu 0xfffd
	v_add_co_ci_u32_e64 v38, null, s27, v22, vcc_lo
	global_load_b128 v[93:96], v[93:94], off
	v_add_co_u32 v97, vcc_lo, v37, v71
	s_wait_alu 0xfffd
	v_add_co_ci_u32_e64 v98, null, 0, v38, vcc_lo
	v_add_co_u32 v37, vcc_lo, s26, v23
	s_wait_alu 0xfffd
	v_add_co_ci_u32_e64 v38, null, s27, v24, vcc_lo
	s_delay_alu instid0(VALU_DEP_2) | instskip(SKIP_1) | instid1(VALU_DEP_2)
	v_add_co_u32 v99, vcc_lo, v37, v71
	s_wait_alu 0xfffd
	v_add_co_ci_u32_e64 v100, null, 0, v38, vcc_lo
	v_add_co_u32 v37, vcc_lo, s26, v25
	s_wait_alu 0xfffd
	v_add_co_ci_u32_e64 v38, null, s27, v26, vcc_lo
	s_delay_alu instid0(VALU_DEP_2) | instskip(SKIP_1) | instid1(VALU_DEP_2)
	;; [unrolled: 7-line block ×6, first 2 shown]
	v_add_co_u32 v37, vcc_lo, v37, v71
	s_wait_alu 0xfffd
	v_add_co_ci_u32_e64 v38, null, 0, v38, vcc_lo
	s_wait_loadcnt 0x0
	ds_store_b128 v61, v[93:96]
	global_load_b128 v[93:96], v[97:98], off
	s_wait_loadcnt 0x0
	ds_store_b128 v64, v[93:96]
	global_load_b128 v[93:96], v[99:100], off
	;; [unrolled: 3-line block ×4, first 2 shown]
	s_wait_loadcnt 0x0
	ds_store_b128 v67, v[93:96]
	s_clause 0x1
	global_load_b128 v[93:96], v[41:42], off
	global_load_b128 v[39:42], v[39:40], off
	s_wait_loadcnt 0x1
	ds_store_b128 v68, v[93:96]
	s_wait_loadcnt 0x0
	ds_store_b128 v69, v[39:42]
	global_load_b128 v[37:40], v[37:38], off
	s_wait_loadcnt 0x0
	ds_store_b128 v70, v[37:40]
	s_wait_dscnt 0x0
	s_barrier_signal -1
	s_barrier_wait -1
	global_inv scope:SCOPE_SE
	ds_load_2addr_b32 v[41:42], v45 offset1:32
	ds_load_b128 v[37:40], v62
	s_wait_dscnt 0x0
	v_lshrrev_b32_e32 v93, 16, v37
	v_and_b32_e32 v37, 0xffff, v37
	s_delay_alu instid0(VALU_DEP_2) | instskip(NEXT) | instid1(VALU_DEP_2)
	v_mul_u32_u24_e32 v93, 0x10001, v93
	v_mul_u32_u24_e32 v37, 0x10001, v37
	s_delay_alu instid0(VALU_DEP_1) | instskip(NEXT) | instid1(VALU_DEP_3)
	v_pk_mul_f16 v37, v41, v37
	v_pk_mul_f16 v41, v41, v93
	s_delay_alu instid0(VALU_DEP_2) | instskip(NEXT) | instid1(VALU_DEP_2)
	v_pk_fma_f16 v37, v90, v91, v37
	v_pk_fma_f16 v41, v89, v92, v41
	v_lshrrev_b32_e32 v89, 16, v38
	v_and_b32_e32 v38, 0xffff, v38
	s_delay_alu instid0(VALU_DEP_2) | instskip(NEXT) | instid1(VALU_DEP_2)
	v_mul_u32_u24_e32 v89, 0x10001, v89
	v_mul_u32_u24_e32 v38, 0x10001, v38
	s_delay_alu instid0(VALU_DEP_2) | instskip(NEXT) | instid1(VALU_DEP_2)
	v_pk_fma_f16 v41, v42, v89, v41
	v_pk_fma_f16 v90, v42, v38, v37
	ds_load_2addr_b32 v[37:38], v45 offset0:64 offset1:96
	v_lshrrev_b32_e32 v42, 16, v39
	v_and_b32_e32 v39, 0xffff, v39
	s_delay_alu instid0(VALU_DEP_2) | instskip(NEXT) | instid1(VALU_DEP_2)
	v_mul_u32_u24_e32 v42, 0x10001, v42
	v_mul_u32_u24_e32 v39, 0x10001, v39
	s_wait_dscnt 0x0
	s_delay_alu instid0(VALU_DEP_1) | instskip(NEXT) | instid1(VALU_DEP_3)
	v_pk_fma_f16 v39, v37, v39, v90
	v_pk_fma_f16 v37, v37, v42, v41
	v_lshrrev_b32_e32 v41, 16, v40
	v_and_b32_e32 v40, 0xffff, v40
	s_delay_alu instid0(VALU_DEP_2) | instskip(NEXT) | instid1(VALU_DEP_2)
	v_mul_u32_u24_e32 v41, 0x10001, v41
	v_mul_u32_u24_e32 v40, 0x10001, v40
	s_delay_alu instid0(VALU_DEP_2) | instskip(NEXT) | instid1(VALU_DEP_2)
	v_pk_fma_f16 v90, v38, v41, v37
	v_pk_fma_f16 v89, v38, v40, v39
	ds_load_2addr_b32 v[41:42], v45 offset0:128 offset1:160
	ds_load_b128 v[37:40], v62 offset:16
	s_wait_dscnt 0x0
	v_lshrrev_b32_e32 v91, 16, v37
	v_and_b32_e32 v37, 0xffff, v37
	s_delay_alu instid0(VALU_DEP_2) | instskip(NEXT) | instid1(VALU_DEP_2)
	v_mul_u32_u24_e32 v91, 0x10001, v91
	v_mul_u32_u24_e32 v37, 0x10001, v37
	s_delay_alu instid0(VALU_DEP_1) | instskip(SKIP_3) | instid1(VALU_DEP_3)
	v_pk_fma_f16 v37, v41, v37, v89
	v_lshrrev_b32_e32 v89, 16, v38
	v_and_b32_e32 v38, 0xffff, v38
	v_pk_fma_f16 v41, v41, v91, v90
	v_mul_u32_u24_e32 v89, 0x10001, v89
	s_delay_alu instid0(VALU_DEP_3) | instskip(NEXT) | instid1(VALU_DEP_2)
	v_mul_u32_u24_e32 v38, 0x10001, v38
	v_pk_fma_f16 v41, v42, v89, v41
	s_delay_alu instid0(VALU_DEP_2) | instskip(SKIP_3) | instid1(VALU_DEP_2)
	v_pk_fma_f16 v90, v42, v38, v37
	ds_load_2addr_b32 v[37:38], v45 offset0:192 offset1:224
	v_lshrrev_b32_e32 v42, 16, v39
	v_and_b32_e32 v39, 0xffff, v39
	v_mul_u32_u24_e32 v42, 0x10001, v42
	s_delay_alu instid0(VALU_DEP_2) | instskip(SKIP_1) | instid1(VALU_DEP_1)
	v_mul_u32_u24_e32 v39, 0x10001, v39
	s_wait_dscnt 0x0
	v_pk_fma_f16 v39, v37, v39, v90
	s_delay_alu instid0(VALU_DEP_3) | instskip(SKIP_2) | instid1(VALU_DEP_2)
	v_pk_fma_f16 v37, v37, v42, v41
	v_lshrrev_b32_e32 v41, 16, v40
	v_and_b32_e32 v40, 0xffff, v40
	v_mul_u32_u24_e32 v41, 0x10001, v41
	s_delay_alu instid0(VALU_DEP_2) | instskip(NEXT) | instid1(VALU_DEP_2)
	v_mul_u32_u24_e32 v40, 0x10001, v40
	v_pk_fma_f16 v90, v38, v41, v37
	s_delay_alu instid0(VALU_DEP_2)
	v_pk_fma_f16 v89, v38, v40, v39
	ds_load_2addr_b32 v[41:42], v73 offset1:32
	ds_load_b128 v[37:40], v62 offset:32
	s_wait_dscnt 0x0
	v_lshrrev_b32_e32 v91, 16, v37
	v_and_b32_e32 v37, 0xffff, v37
	s_delay_alu instid0(VALU_DEP_2) | instskip(NEXT) | instid1(VALU_DEP_2)
	v_mul_u32_u24_e32 v91, 0x10001, v91
	v_mul_u32_u24_e32 v37, 0x10001, v37
	s_delay_alu instid0(VALU_DEP_1) | instskip(SKIP_3) | instid1(VALU_DEP_3)
	v_pk_fma_f16 v37, v41, v37, v89
	v_lshrrev_b32_e32 v89, 16, v38
	v_and_b32_e32 v38, 0xffff, v38
	v_pk_fma_f16 v41, v41, v91, v90
	v_mul_u32_u24_e32 v89, 0x10001, v89
	s_delay_alu instid0(VALU_DEP_3) | instskip(NEXT) | instid1(VALU_DEP_2)
	v_mul_u32_u24_e32 v38, 0x10001, v38
	v_pk_fma_f16 v41, v42, v89, v41
	s_delay_alu instid0(VALU_DEP_2) | instskip(SKIP_3) | instid1(VALU_DEP_2)
	v_pk_fma_f16 v90, v42, v38, v37
	ds_load_2addr_b32 v[37:38], v73 offset0:64 offset1:96
	v_lshrrev_b32_e32 v42, 16, v39
	v_and_b32_e32 v39, 0xffff, v39
	v_mul_u32_u24_e32 v42, 0x10001, v42
	s_delay_alu instid0(VALU_DEP_2) | instskip(SKIP_1) | instid1(VALU_DEP_1)
	v_mul_u32_u24_e32 v39, 0x10001, v39
	s_wait_dscnt 0x0
	v_pk_fma_f16 v39, v37, v39, v90
	s_delay_alu instid0(VALU_DEP_3) | instskip(SKIP_2) | instid1(VALU_DEP_2)
	v_pk_fma_f16 v37, v37, v42, v41
	v_lshrrev_b32_e32 v41, 16, v40
	v_and_b32_e32 v40, 0xffff, v40
	v_mul_u32_u24_e32 v41, 0x10001, v41
	s_delay_alu instid0(VALU_DEP_2) | instskip(NEXT) | instid1(VALU_DEP_2)
	v_mul_u32_u24_e32 v40, 0x10001, v40
	v_pk_fma_f16 v90, v38, v41, v37
	s_delay_alu instid0(VALU_DEP_2)
	v_pk_fma_f16 v89, v38, v40, v39
	ds_load_2addr_b32 v[41:42], v73 offset0:128 offset1:160
	ds_load_b128 v[37:40], v62 offset:48
	s_wait_dscnt 0x0
	v_lshrrev_b32_e32 v91, 16, v37
	v_and_b32_e32 v37, 0xffff, v37
	s_delay_alu instid0(VALU_DEP_2) | instskip(NEXT) | instid1(VALU_DEP_2)
	v_mul_u32_u24_e32 v91, 0x10001, v91
	v_mul_u32_u24_e32 v37, 0x10001, v37
	s_delay_alu instid0(VALU_DEP_1) | instskip(SKIP_3) | instid1(VALU_DEP_3)
	v_pk_fma_f16 v37, v41, v37, v89
	v_lshrrev_b32_e32 v89, 16, v38
	v_and_b32_e32 v38, 0xffff, v38
	v_pk_fma_f16 v41, v41, v91, v90
	v_mul_u32_u24_e32 v89, 0x10001, v89
	s_delay_alu instid0(VALU_DEP_3) | instskip(NEXT) | instid1(VALU_DEP_2)
	v_mul_u32_u24_e32 v38, 0x10001, v38
	v_pk_fma_f16 v41, v42, v89, v41
	s_delay_alu instid0(VALU_DEP_2) | instskip(SKIP_3) | instid1(VALU_DEP_2)
	v_pk_fma_f16 v90, v42, v38, v37
	ds_load_2addr_b32 v[37:38], v73 offset0:192 offset1:224
	v_lshrrev_b32_e32 v42, 16, v39
	v_and_b32_e32 v39, 0xffff, v39
	v_mul_u32_u24_e32 v42, 0x10001, v42
	s_delay_alu instid0(VALU_DEP_2) | instskip(SKIP_1) | instid1(VALU_DEP_1)
	v_mul_u32_u24_e32 v39, 0x10001, v39
	s_wait_dscnt 0x0
	v_pk_fma_f16 v39, v37, v39, v90
	s_delay_alu instid0(VALU_DEP_3) | instskip(SKIP_2) | instid1(VALU_DEP_2)
	v_pk_fma_f16 v37, v37, v42, v41
	v_lshrrev_b32_e32 v41, 16, v40
	v_and_b32_e32 v40, 0xffff, v40
	v_mul_u32_u24_e32 v41, 0x10001, v41
	s_delay_alu instid0(VALU_DEP_2) | instskip(NEXT) | instid1(VALU_DEP_2)
	v_mul_u32_u24_e32 v40, 0x10001, v40
	v_pk_fma_f16 v90, v38, v41, v37
	s_delay_alu instid0(VALU_DEP_2)
	v_pk_fma_f16 v89, v38, v40, v39
	ds_load_2addr_b32 v[41:42], v74 offset1:32
	ds_load_b128 v[37:40], v62 offset:64
	s_wait_dscnt 0x0
	v_lshrrev_b32_e32 v91, 16, v37
	v_and_b32_e32 v37, 0xffff, v37
	s_delay_alu instid0(VALU_DEP_2) | instskip(NEXT) | instid1(VALU_DEP_2)
	v_mul_u32_u24_e32 v91, 0x10001, v91
	v_mul_u32_u24_e32 v37, 0x10001, v37
	s_delay_alu instid0(VALU_DEP_1) | instskip(SKIP_3) | instid1(VALU_DEP_3)
	v_pk_fma_f16 v37, v41, v37, v89
	v_lshrrev_b32_e32 v89, 16, v38
	v_and_b32_e32 v38, 0xffff, v38
	v_pk_fma_f16 v41, v41, v91, v90
	v_mul_u32_u24_e32 v89, 0x10001, v89
	s_delay_alu instid0(VALU_DEP_3) | instskip(NEXT) | instid1(VALU_DEP_2)
	v_mul_u32_u24_e32 v38, 0x10001, v38
	v_pk_fma_f16 v41, v42, v89, v41
	s_delay_alu instid0(VALU_DEP_2) | instskip(SKIP_3) | instid1(VALU_DEP_2)
	v_pk_fma_f16 v90, v42, v38, v37
	ds_load_2addr_b32 v[37:38], v74 offset0:64 offset1:96
	v_lshrrev_b32_e32 v42, 16, v39
	v_and_b32_e32 v39, 0xffff, v39
	v_mul_u32_u24_e32 v42, 0x10001, v42
	s_delay_alu instid0(VALU_DEP_2) | instskip(SKIP_1) | instid1(VALU_DEP_1)
	v_mul_u32_u24_e32 v39, 0x10001, v39
	s_wait_dscnt 0x0
	v_pk_fma_f16 v39, v37, v39, v90
	s_delay_alu instid0(VALU_DEP_3) | instskip(SKIP_2) | instid1(VALU_DEP_2)
	v_pk_fma_f16 v37, v37, v42, v41
	v_lshrrev_b32_e32 v41, 16, v40
	v_and_b32_e32 v40, 0xffff, v40
	v_mul_u32_u24_e32 v41, 0x10001, v41
	s_delay_alu instid0(VALU_DEP_2) | instskip(NEXT) | instid1(VALU_DEP_2)
	v_mul_u32_u24_e32 v40, 0x10001, v40
	v_pk_fma_f16 v90, v38, v41, v37
	s_delay_alu instid0(VALU_DEP_2)
	v_pk_fma_f16 v89, v38, v40, v39
	ds_load_2addr_b32 v[41:42], v74 offset0:128 offset1:160
	ds_load_b128 v[37:40], v62 offset:80
	s_wait_dscnt 0x0
	v_lshrrev_b32_e32 v91, 16, v37
	v_and_b32_e32 v37, 0xffff, v37
	s_delay_alu instid0(VALU_DEP_2) | instskip(NEXT) | instid1(VALU_DEP_2)
	v_mul_u32_u24_e32 v91, 0x10001, v91
	v_mul_u32_u24_e32 v37, 0x10001, v37
	s_delay_alu instid0(VALU_DEP_1) | instskip(SKIP_3) | instid1(VALU_DEP_3)
	v_pk_fma_f16 v37, v41, v37, v89
	v_lshrrev_b32_e32 v89, 16, v38
	v_and_b32_e32 v38, 0xffff, v38
	v_pk_fma_f16 v41, v41, v91, v90
	v_mul_u32_u24_e32 v89, 0x10001, v89
	s_delay_alu instid0(VALU_DEP_3) | instskip(NEXT) | instid1(VALU_DEP_2)
	v_mul_u32_u24_e32 v38, 0x10001, v38
	v_pk_fma_f16 v41, v42, v89, v41
	s_delay_alu instid0(VALU_DEP_2) | instskip(SKIP_3) | instid1(VALU_DEP_2)
	v_pk_fma_f16 v90, v42, v38, v37
	ds_load_2addr_b32 v[37:38], v74 offset0:192 offset1:224
	v_lshrrev_b32_e32 v42, 16, v39
	v_and_b32_e32 v39, 0xffff, v39
	v_mul_u32_u24_e32 v42, 0x10001, v42
	s_delay_alu instid0(VALU_DEP_2) | instskip(SKIP_1) | instid1(VALU_DEP_1)
	v_mul_u32_u24_e32 v39, 0x10001, v39
	s_wait_dscnt 0x0
	v_pk_fma_f16 v39, v37, v39, v90
	s_delay_alu instid0(VALU_DEP_3) | instskip(SKIP_2) | instid1(VALU_DEP_2)
	v_pk_fma_f16 v37, v37, v42, v41
	v_lshrrev_b32_e32 v41, 16, v40
	v_and_b32_e32 v40, 0xffff, v40
	v_mul_u32_u24_e32 v41, 0x10001, v41
	s_delay_alu instid0(VALU_DEP_2) | instskip(NEXT) | instid1(VALU_DEP_2)
	v_mul_u32_u24_e32 v40, 0x10001, v40
	v_pk_fma_f16 v90, v38, v41, v37
	s_delay_alu instid0(VALU_DEP_2)
	v_pk_fma_f16 v89, v38, v40, v39
	ds_load_2addr_b32 v[41:42], v75 offset1:32
	ds_load_b128 v[37:40], v62 offset:96
	s_wait_dscnt 0x0
	v_lshrrev_b32_e32 v91, 16, v37
	v_and_b32_e32 v37, 0xffff, v37
	s_delay_alu instid0(VALU_DEP_2) | instskip(NEXT) | instid1(VALU_DEP_2)
	v_mul_u32_u24_e32 v91, 0x10001, v91
	v_mul_u32_u24_e32 v37, 0x10001, v37
	s_delay_alu instid0(VALU_DEP_1) | instskip(SKIP_3) | instid1(VALU_DEP_3)
	v_pk_fma_f16 v37, v41, v37, v89
	v_lshrrev_b32_e32 v89, 16, v38
	v_and_b32_e32 v38, 0xffff, v38
	v_pk_fma_f16 v41, v41, v91, v90
	v_mul_u32_u24_e32 v89, 0x10001, v89
	s_delay_alu instid0(VALU_DEP_3) | instskip(NEXT) | instid1(VALU_DEP_2)
	v_mul_u32_u24_e32 v38, 0x10001, v38
	v_pk_fma_f16 v41, v42, v89, v41
	s_delay_alu instid0(VALU_DEP_2) | instskip(SKIP_3) | instid1(VALU_DEP_2)
	v_pk_fma_f16 v90, v42, v38, v37
	ds_load_2addr_b32 v[37:38], v75 offset0:64 offset1:96
	v_lshrrev_b32_e32 v42, 16, v39
	v_and_b32_e32 v39, 0xffff, v39
	v_mul_u32_u24_e32 v42, 0x10001, v42
	s_delay_alu instid0(VALU_DEP_2) | instskip(SKIP_1) | instid1(VALU_DEP_1)
	v_mul_u32_u24_e32 v39, 0x10001, v39
	s_wait_dscnt 0x0
	v_pk_fma_f16 v39, v37, v39, v90
	s_delay_alu instid0(VALU_DEP_3) | instskip(SKIP_2) | instid1(VALU_DEP_2)
	v_pk_fma_f16 v37, v37, v42, v41
	v_lshrrev_b32_e32 v41, 16, v40
	v_and_b32_e32 v40, 0xffff, v40
	v_mul_u32_u24_e32 v41, 0x10001, v41
	s_delay_alu instid0(VALU_DEP_2) | instskip(NEXT) | instid1(VALU_DEP_2)
	v_mul_u32_u24_e32 v40, 0x10001, v40
	v_pk_fma_f16 v90, v38, v41, v37
	s_delay_alu instid0(VALU_DEP_2)
	v_pk_fma_f16 v89, v38, v40, v39
	ds_load_2addr_b32 v[41:42], v75 offset0:128 offset1:160
	ds_load_b128 v[37:40], v62 offset:112
	s_wait_dscnt 0x0
	v_lshrrev_b32_e32 v91, 16, v37
	v_and_b32_e32 v37, 0xffff, v37
	s_delay_alu instid0(VALU_DEP_2) | instskip(NEXT) | instid1(VALU_DEP_2)
	v_mul_u32_u24_e32 v91, 0x10001, v91
	v_mul_u32_u24_e32 v37, 0x10001, v37
	s_delay_alu instid0(VALU_DEP_1) | instskip(SKIP_3) | instid1(VALU_DEP_3)
	v_pk_fma_f16 v37, v41, v37, v89
	v_lshrrev_b32_e32 v89, 16, v38
	v_and_b32_e32 v38, 0xffff, v38
	v_pk_fma_f16 v41, v41, v91, v90
	v_mul_u32_u24_e32 v89, 0x10001, v89
	s_delay_alu instid0(VALU_DEP_3) | instskip(NEXT) | instid1(VALU_DEP_2)
	v_mul_u32_u24_e32 v38, 0x10001, v38
	v_pk_fma_f16 v41, v42, v89, v41
	s_delay_alu instid0(VALU_DEP_2) | instskip(SKIP_3) | instid1(VALU_DEP_2)
	v_pk_fma_f16 v90, v42, v38, v37
	ds_load_2addr_b32 v[37:38], v75 offset0:192 offset1:224
	v_lshrrev_b32_e32 v42, 16, v39
	v_and_b32_e32 v39, 0xffff, v39
	v_mul_u32_u24_e32 v42, 0x10001, v42
	s_delay_alu instid0(VALU_DEP_2) | instskip(SKIP_1) | instid1(VALU_DEP_1)
	v_mul_u32_u24_e32 v39, 0x10001, v39
	s_wait_dscnt 0x0
	v_pk_fma_f16 v39, v37, v39, v90
	s_delay_alu instid0(VALU_DEP_3) | instskip(SKIP_2) | instid1(VALU_DEP_2)
	v_pk_fma_f16 v37, v37, v42, v41
	v_lshrrev_b32_e32 v41, 16, v40
	v_and_b32_e32 v40, 0xffff, v40
	v_mul_u32_u24_e32 v41, 0x10001, v41
	s_delay_alu instid0(VALU_DEP_2) | instskip(NEXT) | instid1(VALU_DEP_2)
	v_mul_u32_u24_e32 v40, 0x10001, v40
	v_pk_fma_f16 v90, v38, v41, v37
	s_delay_alu instid0(VALU_DEP_2)
	v_pk_fma_f16 v89, v38, v40, v39
	ds_load_2addr_b32 v[41:42], v76 offset1:32
	ds_load_b128 v[37:40], v62 offset:128
	s_wait_dscnt 0x0
	v_lshrrev_b32_e32 v91, 16, v37
	v_and_b32_e32 v37, 0xffff, v37
	s_delay_alu instid0(VALU_DEP_2) | instskip(NEXT) | instid1(VALU_DEP_2)
	v_mul_u32_u24_e32 v91, 0x10001, v91
	v_mul_u32_u24_e32 v37, 0x10001, v37
	s_delay_alu instid0(VALU_DEP_1) | instskip(SKIP_3) | instid1(VALU_DEP_3)
	v_pk_fma_f16 v37, v41, v37, v89
	v_lshrrev_b32_e32 v89, 16, v38
	v_and_b32_e32 v38, 0xffff, v38
	v_pk_fma_f16 v41, v41, v91, v90
	v_mul_u32_u24_e32 v89, 0x10001, v89
	s_delay_alu instid0(VALU_DEP_3) | instskip(NEXT) | instid1(VALU_DEP_2)
	v_mul_u32_u24_e32 v38, 0x10001, v38
	v_pk_fma_f16 v41, v42, v89, v41
	s_delay_alu instid0(VALU_DEP_2) | instskip(SKIP_3) | instid1(VALU_DEP_2)
	v_pk_fma_f16 v90, v42, v38, v37
	ds_load_2addr_b32 v[37:38], v76 offset0:64 offset1:96
	v_lshrrev_b32_e32 v42, 16, v39
	v_and_b32_e32 v39, 0xffff, v39
	v_mul_u32_u24_e32 v42, 0x10001, v42
	s_delay_alu instid0(VALU_DEP_2) | instskip(SKIP_1) | instid1(VALU_DEP_1)
	v_mul_u32_u24_e32 v39, 0x10001, v39
	s_wait_dscnt 0x0
	v_pk_fma_f16 v39, v37, v39, v90
	s_delay_alu instid0(VALU_DEP_3) | instskip(SKIP_2) | instid1(VALU_DEP_2)
	v_pk_fma_f16 v37, v37, v42, v41
	v_lshrrev_b32_e32 v41, 16, v40
	v_and_b32_e32 v40, 0xffff, v40
	v_mul_u32_u24_e32 v41, 0x10001, v41
	s_delay_alu instid0(VALU_DEP_2) | instskip(NEXT) | instid1(VALU_DEP_2)
	v_mul_u32_u24_e32 v40, 0x10001, v40
	v_pk_fma_f16 v90, v38, v41, v37
	s_delay_alu instid0(VALU_DEP_2)
	v_pk_fma_f16 v89, v38, v40, v39
	ds_load_2addr_b32 v[41:42], v76 offset0:128 offset1:160
	ds_load_b128 v[37:40], v62 offset:144
	s_wait_dscnt 0x0
	v_lshrrev_b32_e32 v91, 16, v37
	v_and_b32_e32 v37, 0xffff, v37
	s_delay_alu instid0(VALU_DEP_2) | instskip(NEXT) | instid1(VALU_DEP_2)
	v_mul_u32_u24_e32 v91, 0x10001, v91
	v_mul_u32_u24_e32 v37, 0x10001, v37
	s_delay_alu instid0(VALU_DEP_1) | instskip(SKIP_3) | instid1(VALU_DEP_3)
	v_pk_fma_f16 v37, v41, v37, v89
	v_lshrrev_b32_e32 v89, 16, v38
	v_and_b32_e32 v38, 0xffff, v38
	v_pk_fma_f16 v41, v41, v91, v90
	v_mul_u32_u24_e32 v89, 0x10001, v89
	s_delay_alu instid0(VALU_DEP_3) | instskip(NEXT) | instid1(VALU_DEP_2)
	v_mul_u32_u24_e32 v38, 0x10001, v38
	v_pk_fma_f16 v41, v42, v89, v41
	s_delay_alu instid0(VALU_DEP_2) | instskip(SKIP_3) | instid1(VALU_DEP_2)
	v_pk_fma_f16 v90, v42, v38, v37
	ds_load_2addr_b32 v[37:38], v76 offset0:192 offset1:224
	v_lshrrev_b32_e32 v42, 16, v39
	v_and_b32_e32 v39, 0xffff, v39
	v_mul_u32_u24_e32 v42, 0x10001, v42
	s_delay_alu instid0(VALU_DEP_2) | instskip(SKIP_1) | instid1(VALU_DEP_1)
	v_mul_u32_u24_e32 v39, 0x10001, v39
	s_wait_dscnt 0x0
	v_pk_fma_f16 v39, v37, v39, v90
	s_delay_alu instid0(VALU_DEP_3) | instskip(SKIP_2) | instid1(VALU_DEP_2)
	v_pk_fma_f16 v37, v37, v42, v41
	v_lshrrev_b32_e32 v41, 16, v40
	v_and_b32_e32 v40, 0xffff, v40
	v_mul_u32_u24_e32 v41, 0x10001, v41
	s_delay_alu instid0(VALU_DEP_2) | instskip(NEXT) | instid1(VALU_DEP_2)
	v_mul_u32_u24_e32 v40, 0x10001, v40
	v_pk_fma_f16 v90, v38, v41, v37
	s_delay_alu instid0(VALU_DEP_2)
	v_pk_fma_f16 v89, v38, v40, v39
	ds_load_2addr_b32 v[41:42], v77 offset1:32
	ds_load_b128 v[37:40], v62 offset:160
	s_wait_dscnt 0x0
	v_lshrrev_b32_e32 v91, 16, v37
	v_and_b32_e32 v37, 0xffff, v37
	s_delay_alu instid0(VALU_DEP_2) | instskip(NEXT) | instid1(VALU_DEP_2)
	v_mul_u32_u24_e32 v91, 0x10001, v91
	v_mul_u32_u24_e32 v37, 0x10001, v37
	s_delay_alu instid0(VALU_DEP_1) | instskip(SKIP_3) | instid1(VALU_DEP_3)
	v_pk_fma_f16 v37, v41, v37, v89
	v_lshrrev_b32_e32 v89, 16, v38
	v_and_b32_e32 v38, 0xffff, v38
	v_pk_fma_f16 v41, v41, v91, v90
	v_mul_u32_u24_e32 v89, 0x10001, v89
	s_delay_alu instid0(VALU_DEP_3) | instskip(NEXT) | instid1(VALU_DEP_2)
	v_mul_u32_u24_e32 v38, 0x10001, v38
	v_pk_fma_f16 v41, v42, v89, v41
	s_delay_alu instid0(VALU_DEP_2) | instskip(SKIP_3) | instid1(VALU_DEP_2)
	v_pk_fma_f16 v90, v42, v38, v37
	ds_load_2addr_b32 v[37:38], v77 offset0:64 offset1:96
	v_lshrrev_b32_e32 v42, 16, v39
	v_and_b32_e32 v39, 0xffff, v39
	v_mul_u32_u24_e32 v42, 0x10001, v42
	s_delay_alu instid0(VALU_DEP_2) | instskip(SKIP_1) | instid1(VALU_DEP_1)
	v_mul_u32_u24_e32 v39, 0x10001, v39
	s_wait_dscnt 0x0
	v_pk_fma_f16 v39, v37, v39, v90
	s_delay_alu instid0(VALU_DEP_3) | instskip(SKIP_2) | instid1(VALU_DEP_2)
	v_pk_fma_f16 v37, v37, v42, v41
	v_lshrrev_b32_e32 v41, 16, v40
	v_and_b32_e32 v40, 0xffff, v40
	v_mul_u32_u24_e32 v41, 0x10001, v41
	s_delay_alu instid0(VALU_DEP_2) | instskip(NEXT) | instid1(VALU_DEP_2)
	v_mul_u32_u24_e32 v40, 0x10001, v40
	v_pk_fma_f16 v90, v38, v41, v37
	s_delay_alu instid0(VALU_DEP_2)
	v_pk_fma_f16 v89, v38, v40, v39
	ds_load_2addr_b32 v[41:42], v77 offset0:128 offset1:160
	ds_load_b128 v[37:40], v62 offset:176
	s_wait_dscnt 0x0
	v_lshrrev_b32_e32 v91, 16, v37
	v_and_b32_e32 v37, 0xffff, v37
	s_delay_alu instid0(VALU_DEP_2) | instskip(NEXT) | instid1(VALU_DEP_2)
	v_mul_u32_u24_e32 v91, 0x10001, v91
	v_mul_u32_u24_e32 v37, 0x10001, v37
	s_delay_alu instid0(VALU_DEP_1) | instskip(SKIP_3) | instid1(VALU_DEP_3)
	v_pk_fma_f16 v37, v41, v37, v89
	v_lshrrev_b32_e32 v89, 16, v38
	v_and_b32_e32 v38, 0xffff, v38
	v_pk_fma_f16 v41, v41, v91, v90
	v_mul_u32_u24_e32 v89, 0x10001, v89
	s_delay_alu instid0(VALU_DEP_3) | instskip(NEXT) | instid1(VALU_DEP_2)
	v_mul_u32_u24_e32 v38, 0x10001, v38
	v_pk_fma_f16 v41, v42, v89, v41
	s_delay_alu instid0(VALU_DEP_2) | instskip(SKIP_3) | instid1(VALU_DEP_2)
	v_pk_fma_f16 v90, v42, v38, v37
	ds_load_2addr_b32 v[37:38], v77 offset0:192 offset1:224
	v_lshrrev_b32_e32 v42, 16, v39
	v_and_b32_e32 v39, 0xffff, v39
	v_mul_u32_u24_e32 v42, 0x10001, v42
	s_delay_alu instid0(VALU_DEP_2) | instskip(SKIP_1) | instid1(VALU_DEP_1)
	v_mul_u32_u24_e32 v39, 0x10001, v39
	s_wait_dscnt 0x0
	v_pk_fma_f16 v39, v37, v39, v90
	s_delay_alu instid0(VALU_DEP_3) | instskip(SKIP_2) | instid1(VALU_DEP_2)
	v_pk_fma_f16 v37, v37, v42, v41
	v_lshrrev_b32_e32 v41, 16, v40
	v_and_b32_e32 v40, 0xffff, v40
	v_mul_u32_u24_e32 v41, 0x10001, v41
	s_delay_alu instid0(VALU_DEP_2) | instskip(NEXT) | instid1(VALU_DEP_2)
	v_mul_u32_u24_e32 v40, 0x10001, v40
	v_pk_fma_f16 v90, v38, v41, v37
	s_delay_alu instid0(VALU_DEP_2)
	v_pk_fma_f16 v89, v38, v40, v39
	ds_load_2addr_b32 v[41:42], v78 offset1:32
	ds_load_b128 v[37:40], v62 offset:192
	s_wait_dscnt 0x0
	v_lshrrev_b32_e32 v91, 16, v37
	v_and_b32_e32 v37, 0xffff, v37
	s_delay_alu instid0(VALU_DEP_2) | instskip(NEXT) | instid1(VALU_DEP_2)
	v_mul_u32_u24_e32 v91, 0x10001, v91
	v_mul_u32_u24_e32 v37, 0x10001, v37
	s_delay_alu instid0(VALU_DEP_1) | instskip(SKIP_3) | instid1(VALU_DEP_3)
	v_pk_fma_f16 v37, v41, v37, v89
	v_lshrrev_b32_e32 v89, 16, v38
	v_and_b32_e32 v38, 0xffff, v38
	v_pk_fma_f16 v41, v41, v91, v90
	v_mul_u32_u24_e32 v89, 0x10001, v89
	s_delay_alu instid0(VALU_DEP_3) | instskip(NEXT) | instid1(VALU_DEP_2)
	v_mul_u32_u24_e32 v38, 0x10001, v38
	v_pk_fma_f16 v41, v42, v89, v41
	s_delay_alu instid0(VALU_DEP_2) | instskip(SKIP_3) | instid1(VALU_DEP_2)
	v_pk_fma_f16 v90, v42, v38, v37
	ds_load_2addr_b32 v[37:38], v78 offset0:64 offset1:96
	v_lshrrev_b32_e32 v42, 16, v39
	v_and_b32_e32 v39, 0xffff, v39
	v_mul_u32_u24_e32 v42, 0x10001, v42
	s_delay_alu instid0(VALU_DEP_2) | instskip(SKIP_1) | instid1(VALU_DEP_1)
	v_mul_u32_u24_e32 v39, 0x10001, v39
	s_wait_dscnt 0x0
	v_pk_fma_f16 v39, v37, v39, v90
	s_delay_alu instid0(VALU_DEP_3) | instskip(SKIP_2) | instid1(VALU_DEP_2)
	v_pk_fma_f16 v37, v37, v42, v41
	v_lshrrev_b32_e32 v41, 16, v40
	v_and_b32_e32 v40, 0xffff, v40
	v_mul_u32_u24_e32 v41, 0x10001, v41
	s_delay_alu instid0(VALU_DEP_2) | instskip(NEXT) | instid1(VALU_DEP_2)
	v_mul_u32_u24_e32 v40, 0x10001, v40
	v_pk_fma_f16 v90, v38, v41, v37
	s_delay_alu instid0(VALU_DEP_2)
	v_pk_fma_f16 v89, v38, v40, v39
	ds_load_2addr_b32 v[41:42], v78 offset0:128 offset1:160
	ds_load_b128 v[37:40], v62 offset:208
	s_wait_dscnt 0x0
	v_lshrrev_b32_e32 v91, 16, v37
	v_and_b32_e32 v37, 0xffff, v37
	s_delay_alu instid0(VALU_DEP_2) | instskip(NEXT) | instid1(VALU_DEP_2)
	v_mul_u32_u24_e32 v91, 0x10001, v91
	v_mul_u32_u24_e32 v37, 0x10001, v37
	s_delay_alu instid0(VALU_DEP_1) | instskip(SKIP_3) | instid1(VALU_DEP_3)
	v_pk_fma_f16 v37, v41, v37, v89
	v_lshrrev_b32_e32 v89, 16, v38
	v_and_b32_e32 v38, 0xffff, v38
	v_pk_fma_f16 v41, v41, v91, v90
	v_mul_u32_u24_e32 v89, 0x10001, v89
	s_delay_alu instid0(VALU_DEP_3) | instskip(NEXT) | instid1(VALU_DEP_2)
	v_mul_u32_u24_e32 v38, 0x10001, v38
	v_pk_fma_f16 v41, v42, v89, v41
	s_delay_alu instid0(VALU_DEP_2) | instskip(SKIP_3) | instid1(VALU_DEP_2)
	v_pk_fma_f16 v90, v42, v38, v37
	ds_load_2addr_b32 v[37:38], v78 offset0:192 offset1:224
	v_lshrrev_b32_e32 v42, 16, v39
	v_and_b32_e32 v39, 0xffff, v39
	v_mul_u32_u24_e32 v42, 0x10001, v42
	s_delay_alu instid0(VALU_DEP_2) | instskip(SKIP_1) | instid1(VALU_DEP_1)
	v_mul_u32_u24_e32 v39, 0x10001, v39
	s_wait_dscnt 0x0
	v_pk_fma_f16 v39, v37, v39, v90
	s_delay_alu instid0(VALU_DEP_3) | instskip(SKIP_2) | instid1(VALU_DEP_2)
	v_pk_fma_f16 v37, v37, v42, v41
	v_lshrrev_b32_e32 v41, 16, v40
	v_and_b32_e32 v40, 0xffff, v40
	v_mul_u32_u24_e32 v41, 0x10001, v41
	s_delay_alu instid0(VALU_DEP_2) | instskip(NEXT) | instid1(VALU_DEP_2)
	v_mul_u32_u24_e32 v40, 0x10001, v40
	v_pk_fma_f16 v90, v38, v41, v37
	s_delay_alu instid0(VALU_DEP_2)
	v_pk_fma_f16 v89, v38, v40, v39
	ds_load_2addr_b32 v[41:42], v79 offset1:32
	ds_load_b128 v[37:40], v62 offset:224
	s_wait_dscnt 0x0
	v_lshrrev_b32_e32 v91, 16, v37
	v_and_b32_e32 v37, 0xffff, v37
	s_delay_alu instid0(VALU_DEP_2) | instskip(NEXT) | instid1(VALU_DEP_2)
	v_mul_u32_u24_e32 v91, 0x10001, v91
	v_mul_u32_u24_e32 v37, 0x10001, v37
	s_delay_alu instid0(VALU_DEP_1) | instskip(SKIP_3) | instid1(VALU_DEP_3)
	v_pk_fma_f16 v37, v41, v37, v89
	v_lshrrev_b32_e32 v89, 16, v38
	v_and_b32_e32 v38, 0xffff, v38
	v_pk_fma_f16 v41, v41, v91, v90
	v_mul_u32_u24_e32 v89, 0x10001, v89
	s_delay_alu instid0(VALU_DEP_3) | instskip(NEXT) | instid1(VALU_DEP_2)
	v_mul_u32_u24_e32 v38, 0x10001, v38
	v_pk_fma_f16 v41, v42, v89, v41
	s_delay_alu instid0(VALU_DEP_2) | instskip(SKIP_3) | instid1(VALU_DEP_2)
	v_pk_fma_f16 v90, v42, v38, v37
	ds_load_2addr_b32 v[37:38], v79 offset0:64 offset1:96
	v_lshrrev_b32_e32 v42, 16, v39
	v_and_b32_e32 v39, 0xffff, v39
	v_mul_u32_u24_e32 v42, 0x10001, v42
	s_delay_alu instid0(VALU_DEP_2) | instskip(SKIP_1) | instid1(VALU_DEP_1)
	v_mul_u32_u24_e32 v39, 0x10001, v39
	s_wait_dscnt 0x0
	v_pk_fma_f16 v39, v37, v39, v90
	s_delay_alu instid0(VALU_DEP_3) | instskip(SKIP_2) | instid1(VALU_DEP_2)
	v_pk_fma_f16 v37, v37, v42, v41
	v_lshrrev_b32_e32 v41, 16, v40
	v_and_b32_e32 v40, 0xffff, v40
	v_mul_u32_u24_e32 v41, 0x10001, v41
	s_delay_alu instid0(VALU_DEP_2) | instskip(NEXT) | instid1(VALU_DEP_2)
	v_mul_u32_u24_e32 v40, 0x10001, v40
	v_pk_fma_f16 v90, v38, v41, v37
	s_delay_alu instid0(VALU_DEP_2)
	v_pk_fma_f16 v89, v38, v40, v39
	ds_load_2addr_b32 v[41:42], v79 offset0:128 offset1:160
	ds_load_b128 v[37:40], v62 offset:240
	s_wait_dscnt 0x0
	v_lshrrev_b32_e32 v91, 16, v37
	v_and_b32_e32 v37, 0xffff, v37
	s_delay_alu instid0(VALU_DEP_2) | instskip(NEXT) | instid1(VALU_DEP_2)
	v_mul_u32_u24_e32 v91, 0x10001, v91
	v_mul_u32_u24_e32 v37, 0x10001, v37
	s_delay_alu instid0(VALU_DEP_1) | instskip(SKIP_3) | instid1(VALU_DEP_3)
	v_pk_fma_f16 v37, v41, v37, v89
	v_lshrrev_b32_e32 v89, 16, v38
	v_and_b32_e32 v38, 0xffff, v38
	v_pk_fma_f16 v41, v41, v91, v90
	v_mul_u32_u24_e32 v89, 0x10001, v89
	s_delay_alu instid0(VALU_DEP_3) | instskip(NEXT) | instid1(VALU_DEP_2)
	v_mul_u32_u24_e32 v38, 0x10001, v38
	v_pk_fma_f16 v41, v42, v89, v41
	s_delay_alu instid0(VALU_DEP_2) | instskip(SKIP_3) | instid1(VALU_DEP_2)
	v_pk_fma_f16 v90, v42, v38, v37
	ds_load_2addr_b32 v[37:38], v79 offset0:192 offset1:224
	v_lshrrev_b32_e32 v42, 16, v39
	v_and_b32_e32 v39, 0xffff, v39
	v_mul_u32_u24_e32 v42, 0x10001, v42
	s_delay_alu instid0(VALU_DEP_2) | instskip(SKIP_1) | instid1(VALU_DEP_1)
	v_mul_u32_u24_e32 v39, 0x10001, v39
	s_wait_dscnt 0x0
	v_pk_fma_f16 v39, v37, v39, v90
	s_delay_alu instid0(VALU_DEP_3) | instskip(SKIP_2) | instid1(VALU_DEP_2)
	v_pk_fma_f16 v37, v37, v42, v41
	v_lshrrev_b32_e32 v41, 16, v40
	v_and_b32_e32 v40, 0xffff, v40
	v_mul_u32_u24_e32 v41, 0x10001, v41
	s_delay_alu instid0(VALU_DEP_2) | instskip(NEXT) | instid1(VALU_DEP_2)
	v_mul_u32_u24_e32 v40, 0x10001, v40
	v_pk_fma_f16 v90, v38, v41, v37
	s_delay_alu instid0(VALU_DEP_2)
	v_pk_fma_f16 v89, v38, v40, v39
	ds_load_2addr_b32 v[41:42], v80 offset1:32
	ds_load_b128 v[37:40], v62 offset:256
	s_wait_dscnt 0x0
	v_lshrrev_b32_e32 v91, 16, v37
	v_and_b32_e32 v37, 0xffff, v37
	s_delay_alu instid0(VALU_DEP_2) | instskip(NEXT) | instid1(VALU_DEP_2)
	v_mul_u32_u24_e32 v91, 0x10001, v91
	v_mul_u32_u24_e32 v37, 0x10001, v37
	s_delay_alu instid0(VALU_DEP_1) | instskip(SKIP_3) | instid1(VALU_DEP_3)
	v_pk_fma_f16 v37, v41, v37, v89
	v_lshrrev_b32_e32 v89, 16, v38
	v_and_b32_e32 v38, 0xffff, v38
	v_pk_fma_f16 v41, v41, v91, v90
	v_mul_u32_u24_e32 v89, 0x10001, v89
	s_delay_alu instid0(VALU_DEP_3) | instskip(NEXT) | instid1(VALU_DEP_2)
	v_mul_u32_u24_e32 v38, 0x10001, v38
	v_pk_fma_f16 v41, v42, v89, v41
	s_delay_alu instid0(VALU_DEP_2) | instskip(SKIP_3) | instid1(VALU_DEP_2)
	v_pk_fma_f16 v90, v42, v38, v37
	ds_load_2addr_b32 v[37:38], v80 offset0:64 offset1:96
	v_lshrrev_b32_e32 v42, 16, v39
	v_and_b32_e32 v39, 0xffff, v39
	v_mul_u32_u24_e32 v42, 0x10001, v42
	s_delay_alu instid0(VALU_DEP_2) | instskip(SKIP_1) | instid1(VALU_DEP_1)
	v_mul_u32_u24_e32 v39, 0x10001, v39
	s_wait_dscnt 0x0
	v_pk_fma_f16 v39, v37, v39, v90
	s_delay_alu instid0(VALU_DEP_3) | instskip(SKIP_2) | instid1(VALU_DEP_2)
	v_pk_fma_f16 v37, v37, v42, v41
	v_lshrrev_b32_e32 v41, 16, v40
	v_and_b32_e32 v40, 0xffff, v40
	v_mul_u32_u24_e32 v41, 0x10001, v41
	s_delay_alu instid0(VALU_DEP_2) | instskip(NEXT) | instid1(VALU_DEP_2)
	v_mul_u32_u24_e32 v40, 0x10001, v40
	v_pk_fma_f16 v90, v38, v41, v37
	s_delay_alu instid0(VALU_DEP_2)
	v_pk_fma_f16 v89, v38, v40, v39
	ds_load_2addr_b32 v[41:42], v80 offset0:128 offset1:160
	ds_load_b128 v[37:40], v62 offset:272
	s_wait_dscnt 0x0
	v_lshrrev_b32_e32 v91, 16, v37
	v_and_b32_e32 v37, 0xffff, v37
	s_delay_alu instid0(VALU_DEP_2) | instskip(NEXT) | instid1(VALU_DEP_2)
	v_mul_u32_u24_e32 v91, 0x10001, v91
	v_mul_u32_u24_e32 v37, 0x10001, v37
	s_delay_alu instid0(VALU_DEP_1) | instskip(SKIP_3) | instid1(VALU_DEP_3)
	v_pk_fma_f16 v37, v41, v37, v89
	v_lshrrev_b32_e32 v89, 16, v38
	v_and_b32_e32 v38, 0xffff, v38
	v_pk_fma_f16 v41, v41, v91, v90
	v_mul_u32_u24_e32 v89, 0x10001, v89
	s_delay_alu instid0(VALU_DEP_3) | instskip(NEXT) | instid1(VALU_DEP_2)
	v_mul_u32_u24_e32 v38, 0x10001, v38
	v_pk_fma_f16 v41, v42, v89, v41
	s_delay_alu instid0(VALU_DEP_2) | instskip(SKIP_3) | instid1(VALU_DEP_2)
	v_pk_fma_f16 v90, v42, v38, v37
	ds_load_2addr_b32 v[37:38], v80 offset0:192 offset1:224
	v_lshrrev_b32_e32 v42, 16, v39
	v_and_b32_e32 v39, 0xffff, v39
	v_mul_u32_u24_e32 v42, 0x10001, v42
	s_delay_alu instid0(VALU_DEP_2) | instskip(SKIP_1) | instid1(VALU_DEP_1)
	v_mul_u32_u24_e32 v39, 0x10001, v39
	s_wait_dscnt 0x0
	v_pk_fma_f16 v39, v37, v39, v90
	s_delay_alu instid0(VALU_DEP_3) | instskip(SKIP_2) | instid1(VALU_DEP_2)
	v_pk_fma_f16 v37, v37, v42, v41
	v_lshrrev_b32_e32 v41, 16, v40
	v_and_b32_e32 v40, 0xffff, v40
	v_mul_u32_u24_e32 v41, 0x10001, v41
	s_delay_alu instid0(VALU_DEP_2) | instskip(NEXT) | instid1(VALU_DEP_2)
	v_mul_u32_u24_e32 v40, 0x10001, v40
	v_pk_fma_f16 v90, v38, v41, v37
	s_delay_alu instid0(VALU_DEP_2)
	v_pk_fma_f16 v89, v38, v40, v39
	ds_load_2addr_b32 v[41:42], v81 offset1:32
	ds_load_b128 v[37:40], v62 offset:288
	s_wait_dscnt 0x0
	v_lshrrev_b32_e32 v91, 16, v37
	v_and_b32_e32 v37, 0xffff, v37
	s_delay_alu instid0(VALU_DEP_2) | instskip(NEXT) | instid1(VALU_DEP_2)
	v_mul_u32_u24_e32 v91, 0x10001, v91
	v_mul_u32_u24_e32 v37, 0x10001, v37
	s_delay_alu instid0(VALU_DEP_1) | instskip(SKIP_3) | instid1(VALU_DEP_3)
	v_pk_fma_f16 v37, v41, v37, v89
	v_lshrrev_b32_e32 v89, 16, v38
	v_and_b32_e32 v38, 0xffff, v38
	v_pk_fma_f16 v41, v41, v91, v90
	v_mul_u32_u24_e32 v89, 0x10001, v89
	s_delay_alu instid0(VALU_DEP_3) | instskip(NEXT) | instid1(VALU_DEP_2)
	v_mul_u32_u24_e32 v38, 0x10001, v38
	v_pk_fma_f16 v41, v42, v89, v41
	s_delay_alu instid0(VALU_DEP_2) | instskip(SKIP_3) | instid1(VALU_DEP_2)
	v_pk_fma_f16 v90, v42, v38, v37
	ds_load_2addr_b32 v[37:38], v81 offset0:64 offset1:96
	v_lshrrev_b32_e32 v42, 16, v39
	v_and_b32_e32 v39, 0xffff, v39
	v_mul_u32_u24_e32 v42, 0x10001, v42
	s_delay_alu instid0(VALU_DEP_2) | instskip(SKIP_1) | instid1(VALU_DEP_1)
	v_mul_u32_u24_e32 v39, 0x10001, v39
	s_wait_dscnt 0x0
	v_pk_fma_f16 v39, v37, v39, v90
	s_delay_alu instid0(VALU_DEP_3) | instskip(SKIP_2) | instid1(VALU_DEP_2)
	v_pk_fma_f16 v37, v37, v42, v41
	v_lshrrev_b32_e32 v41, 16, v40
	v_and_b32_e32 v40, 0xffff, v40
	v_mul_u32_u24_e32 v41, 0x10001, v41
	s_delay_alu instid0(VALU_DEP_2) | instskip(NEXT) | instid1(VALU_DEP_2)
	v_mul_u32_u24_e32 v40, 0x10001, v40
	v_pk_fma_f16 v90, v38, v41, v37
	s_delay_alu instid0(VALU_DEP_2)
	v_pk_fma_f16 v89, v38, v40, v39
	ds_load_2addr_b32 v[41:42], v81 offset0:128 offset1:160
	ds_load_b128 v[37:40], v62 offset:304
	s_wait_dscnt 0x0
	v_lshrrev_b32_e32 v91, 16, v37
	v_and_b32_e32 v37, 0xffff, v37
	s_delay_alu instid0(VALU_DEP_2) | instskip(NEXT) | instid1(VALU_DEP_2)
	v_mul_u32_u24_e32 v91, 0x10001, v91
	v_mul_u32_u24_e32 v37, 0x10001, v37
	s_delay_alu instid0(VALU_DEP_1) | instskip(SKIP_3) | instid1(VALU_DEP_3)
	v_pk_fma_f16 v37, v41, v37, v89
	v_lshrrev_b32_e32 v89, 16, v38
	v_and_b32_e32 v38, 0xffff, v38
	v_pk_fma_f16 v41, v41, v91, v90
	v_mul_u32_u24_e32 v89, 0x10001, v89
	s_delay_alu instid0(VALU_DEP_3) | instskip(NEXT) | instid1(VALU_DEP_2)
	v_mul_u32_u24_e32 v38, 0x10001, v38
	v_pk_fma_f16 v41, v42, v89, v41
	s_delay_alu instid0(VALU_DEP_2) | instskip(SKIP_3) | instid1(VALU_DEP_2)
	v_pk_fma_f16 v90, v42, v38, v37
	ds_load_2addr_b32 v[37:38], v81 offset0:192 offset1:224
	v_lshrrev_b32_e32 v42, 16, v39
	v_and_b32_e32 v39, 0xffff, v39
	v_mul_u32_u24_e32 v42, 0x10001, v42
	s_delay_alu instid0(VALU_DEP_2) | instskip(SKIP_1) | instid1(VALU_DEP_1)
	v_mul_u32_u24_e32 v39, 0x10001, v39
	s_wait_dscnt 0x0
	v_pk_fma_f16 v39, v37, v39, v90
	s_delay_alu instid0(VALU_DEP_3) | instskip(SKIP_2) | instid1(VALU_DEP_2)
	v_pk_fma_f16 v37, v37, v42, v41
	v_lshrrev_b32_e32 v41, 16, v40
	v_and_b32_e32 v40, 0xffff, v40
	v_mul_u32_u24_e32 v41, 0x10001, v41
	s_delay_alu instid0(VALU_DEP_2) | instskip(NEXT) | instid1(VALU_DEP_2)
	v_mul_u32_u24_e32 v40, 0x10001, v40
	v_pk_fma_f16 v90, v38, v41, v37
	s_delay_alu instid0(VALU_DEP_2)
	v_pk_fma_f16 v89, v38, v40, v39
	ds_load_2addr_b32 v[41:42], v82 offset1:32
	ds_load_b128 v[37:40], v62 offset:320
	s_wait_dscnt 0x0
	v_lshrrev_b32_e32 v91, 16, v37
	v_and_b32_e32 v37, 0xffff, v37
	s_delay_alu instid0(VALU_DEP_2) | instskip(NEXT) | instid1(VALU_DEP_2)
	v_mul_u32_u24_e32 v91, 0x10001, v91
	v_mul_u32_u24_e32 v37, 0x10001, v37
	s_delay_alu instid0(VALU_DEP_1) | instskip(SKIP_3) | instid1(VALU_DEP_3)
	v_pk_fma_f16 v37, v41, v37, v89
	v_lshrrev_b32_e32 v89, 16, v38
	v_and_b32_e32 v38, 0xffff, v38
	v_pk_fma_f16 v41, v41, v91, v90
	v_mul_u32_u24_e32 v89, 0x10001, v89
	s_delay_alu instid0(VALU_DEP_3) | instskip(NEXT) | instid1(VALU_DEP_2)
	v_mul_u32_u24_e32 v38, 0x10001, v38
	v_pk_fma_f16 v41, v42, v89, v41
	s_delay_alu instid0(VALU_DEP_2) | instskip(SKIP_3) | instid1(VALU_DEP_2)
	v_pk_fma_f16 v90, v42, v38, v37
	ds_load_2addr_b32 v[37:38], v82 offset0:64 offset1:96
	v_lshrrev_b32_e32 v42, 16, v39
	v_and_b32_e32 v39, 0xffff, v39
	v_mul_u32_u24_e32 v42, 0x10001, v42
	s_delay_alu instid0(VALU_DEP_2) | instskip(SKIP_1) | instid1(VALU_DEP_1)
	v_mul_u32_u24_e32 v39, 0x10001, v39
	s_wait_dscnt 0x0
	v_pk_fma_f16 v39, v37, v39, v90
	s_delay_alu instid0(VALU_DEP_3) | instskip(SKIP_2) | instid1(VALU_DEP_2)
	v_pk_fma_f16 v37, v37, v42, v41
	v_lshrrev_b32_e32 v41, 16, v40
	v_and_b32_e32 v40, 0xffff, v40
	v_mul_u32_u24_e32 v41, 0x10001, v41
	s_delay_alu instid0(VALU_DEP_2) | instskip(NEXT) | instid1(VALU_DEP_2)
	v_mul_u32_u24_e32 v40, 0x10001, v40
	v_pk_fma_f16 v90, v38, v41, v37
	s_delay_alu instid0(VALU_DEP_2)
	v_pk_fma_f16 v89, v38, v40, v39
	ds_load_2addr_b32 v[41:42], v82 offset0:128 offset1:160
	ds_load_b128 v[37:40], v62 offset:336
	s_wait_dscnt 0x0
	v_lshrrev_b32_e32 v91, 16, v37
	v_and_b32_e32 v37, 0xffff, v37
	s_delay_alu instid0(VALU_DEP_2) | instskip(NEXT) | instid1(VALU_DEP_2)
	v_mul_u32_u24_e32 v91, 0x10001, v91
	v_mul_u32_u24_e32 v37, 0x10001, v37
	s_delay_alu instid0(VALU_DEP_1) | instskip(SKIP_3) | instid1(VALU_DEP_3)
	v_pk_fma_f16 v37, v41, v37, v89
	v_lshrrev_b32_e32 v89, 16, v38
	v_and_b32_e32 v38, 0xffff, v38
	v_pk_fma_f16 v41, v41, v91, v90
	v_mul_u32_u24_e32 v89, 0x10001, v89
	s_delay_alu instid0(VALU_DEP_3) | instskip(NEXT) | instid1(VALU_DEP_2)
	v_mul_u32_u24_e32 v38, 0x10001, v38
	v_pk_fma_f16 v41, v42, v89, v41
	s_delay_alu instid0(VALU_DEP_2) | instskip(SKIP_3) | instid1(VALU_DEP_2)
	v_pk_fma_f16 v90, v42, v38, v37
	ds_load_2addr_b32 v[37:38], v82 offset0:192 offset1:224
	v_lshrrev_b32_e32 v42, 16, v39
	v_and_b32_e32 v39, 0xffff, v39
	v_mul_u32_u24_e32 v42, 0x10001, v42
	s_delay_alu instid0(VALU_DEP_2) | instskip(SKIP_1) | instid1(VALU_DEP_1)
	v_mul_u32_u24_e32 v39, 0x10001, v39
	s_wait_dscnt 0x0
	v_pk_fma_f16 v39, v37, v39, v90
	s_delay_alu instid0(VALU_DEP_3) | instskip(SKIP_2) | instid1(VALU_DEP_2)
	v_pk_fma_f16 v37, v37, v42, v41
	v_lshrrev_b32_e32 v41, 16, v40
	v_and_b32_e32 v40, 0xffff, v40
	v_mul_u32_u24_e32 v41, 0x10001, v41
	s_delay_alu instid0(VALU_DEP_2) | instskip(NEXT) | instid1(VALU_DEP_2)
	v_mul_u32_u24_e32 v40, 0x10001, v40
	v_pk_fma_f16 v90, v38, v41, v37
	s_delay_alu instid0(VALU_DEP_2)
	v_pk_fma_f16 v89, v38, v40, v39
	ds_load_2addr_b32 v[41:42], v83 offset1:32
	ds_load_b128 v[37:40], v62 offset:352
	s_wait_dscnt 0x0
	v_lshrrev_b32_e32 v91, 16, v37
	v_and_b32_e32 v37, 0xffff, v37
	s_delay_alu instid0(VALU_DEP_2) | instskip(NEXT) | instid1(VALU_DEP_2)
	v_mul_u32_u24_e32 v91, 0x10001, v91
	v_mul_u32_u24_e32 v37, 0x10001, v37
	s_delay_alu instid0(VALU_DEP_1) | instskip(SKIP_3) | instid1(VALU_DEP_3)
	v_pk_fma_f16 v37, v41, v37, v89
	v_lshrrev_b32_e32 v89, 16, v38
	v_and_b32_e32 v38, 0xffff, v38
	v_pk_fma_f16 v41, v41, v91, v90
	v_mul_u32_u24_e32 v89, 0x10001, v89
	s_delay_alu instid0(VALU_DEP_3) | instskip(NEXT) | instid1(VALU_DEP_2)
	v_mul_u32_u24_e32 v38, 0x10001, v38
	v_pk_fma_f16 v41, v42, v89, v41
	s_delay_alu instid0(VALU_DEP_2) | instskip(SKIP_3) | instid1(VALU_DEP_2)
	v_pk_fma_f16 v90, v42, v38, v37
	ds_load_2addr_b32 v[37:38], v83 offset0:64 offset1:96
	v_lshrrev_b32_e32 v42, 16, v39
	v_and_b32_e32 v39, 0xffff, v39
	v_mul_u32_u24_e32 v42, 0x10001, v42
	s_delay_alu instid0(VALU_DEP_2) | instskip(SKIP_1) | instid1(VALU_DEP_1)
	v_mul_u32_u24_e32 v39, 0x10001, v39
	s_wait_dscnt 0x0
	v_pk_fma_f16 v39, v37, v39, v90
	s_delay_alu instid0(VALU_DEP_3) | instskip(SKIP_2) | instid1(VALU_DEP_2)
	v_pk_fma_f16 v37, v37, v42, v41
	v_lshrrev_b32_e32 v41, 16, v40
	v_and_b32_e32 v40, 0xffff, v40
	v_mul_u32_u24_e32 v41, 0x10001, v41
	s_delay_alu instid0(VALU_DEP_2) | instskip(NEXT) | instid1(VALU_DEP_2)
	v_mul_u32_u24_e32 v40, 0x10001, v40
	v_pk_fma_f16 v90, v38, v41, v37
	s_delay_alu instid0(VALU_DEP_2)
	v_pk_fma_f16 v89, v38, v40, v39
	ds_load_2addr_b32 v[41:42], v83 offset0:128 offset1:160
	ds_load_b128 v[37:40], v62 offset:368
	s_wait_dscnt 0x0
	v_lshrrev_b32_e32 v91, 16, v37
	v_and_b32_e32 v37, 0xffff, v37
	s_delay_alu instid0(VALU_DEP_2) | instskip(NEXT) | instid1(VALU_DEP_2)
	v_mul_u32_u24_e32 v91, 0x10001, v91
	v_mul_u32_u24_e32 v37, 0x10001, v37
	s_delay_alu instid0(VALU_DEP_1) | instskip(SKIP_3) | instid1(VALU_DEP_3)
	v_pk_fma_f16 v37, v41, v37, v89
	v_lshrrev_b32_e32 v89, 16, v38
	v_and_b32_e32 v38, 0xffff, v38
	v_pk_fma_f16 v41, v41, v91, v90
	v_mul_u32_u24_e32 v89, 0x10001, v89
	s_delay_alu instid0(VALU_DEP_3) | instskip(NEXT) | instid1(VALU_DEP_2)
	v_mul_u32_u24_e32 v38, 0x10001, v38
	v_pk_fma_f16 v41, v42, v89, v41
	s_delay_alu instid0(VALU_DEP_2) | instskip(SKIP_3) | instid1(VALU_DEP_2)
	v_pk_fma_f16 v90, v42, v38, v37
	ds_load_2addr_b32 v[37:38], v83 offset0:192 offset1:224
	v_lshrrev_b32_e32 v42, 16, v39
	v_and_b32_e32 v39, 0xffff, v39
	v_mul_u32_u24_e32 v42, 0x10001, v42
	s_delay_alu instid0(VALU_DEP_2) | instskip(SKIP_1) | instid1(VALU_DEP_1)
	v_mul_u32_u24_e32 v39, 0x10001, v39
	s_wait_dscnt 0x0
	v_pk_fma_f16 v39, v37, v39, v90
	s_delay_alu instid0(VALU_DEP_3) | instskip(SKIP_2) | instid1(VALU_DEP_2)
	v_pk_fma_f16 v37, v37, v42, v41
	v_lshrrev_b32_e32 v41, 16, v40
	v_and_b32_e32 v40, 0xffff, v40
	v_mul_u32_u24_e32 v41, 0x10001, v41
	s_delay_alu instid0(VALU_DEP_2) | instskip(NEXT) | instid1(VALU_DEP_2)
	v_mul_u32_u24_e32 v40, 0x10001, v40
	v_pk_fma_f16 v90, v38, v41, v37
	s_delay_alu instid0(VALU_DEP_2)
	v_pk_fma_f16 v89, v38, v40, v39
	ds_load_2addr_b32 v[41:42], v84 offset1:32
	ds_load_b128 v[37:40], v62 offset:384
	s_wait_dscnt 0x0
	v_lshrrev_b32_e32 v91, 16, v37
	v_and_b32_e32 v37, 0xffff, v37
	s_delay_alu instid0(VALU_DEP_2) | instskip(NEXT) | instid1(VALU_DEP_2)
	v_mul_u32_u24_e32 v91, 0x10001, v91
	v_mul_u32_u24_e32 v37, 0x10001, v37
	s_delay_alu instid0(VALU_DEP_1) | instskip(SKIP_3) | instid1(VALU_DEP_3)
	v_pk_fma_f16 v37, v41, v37, v89
	v_lshrrev_b32_e32 v89, 16, v38
	v_and_b32_e32 v38, 0xffff, v38
	v_pk_fma_f16 v41, v41, v91, v90
	v_mul_u32_u24_e32 v89, 0x10001, v89
	s_delay_alu instid0(VALU_DEP_3) | instskip(NEXT) | instid1(VALU_DEP_2)
	v_mul_u32_u24_e32 v38, 0x10001, v38
	v_pk_fma_f16 v41, v42, v89, v41
	s_delay_alu instid0(VALU_DEP_2) | instskip(SKIP_3) | instid1(VALU_DEP_2)
	v_pk_fma_f16 v90, v42, v38, v37
	ds_load_2addr_b32 v[37:38], v84 offset0:64 offset1:96
	v_lshrrev_b32_e32 v42, 16, v39
	v_and_b32_e32 v39, 0xffff, v39
	v_mul_u32_u24_e32 v42, 0x10001, v42
	s_delay_alu instid0(VALU_DEP_2) | instskip(SKIP_1) | instid1(VALU_DEP_1)
	v_mul_u32_u24_e32 v39, 0x10001, v39
	s_wait_dscnt 0x0
	v_pk_fma_f16 v39, v37, v39, v90
	s_delay_alu instid0(VALU_DEP_3) | instskip(SKIP_2) | instid1(VALU_DEP_2)
	v_pk_fma_f16 v37, v37, v42, v41
	v_lshrrev_b32_e32 v41, 16, v40
	v_and_b32_e32 v40, 0xffff, v40
	v_mul_u32_u24_e32 v41, 0x10001, v41
	s_delay_alu instid0(VALU_DEP_2) | instskip(NEXT) | instid1(VALU_DEP_2)
	v_mul_u32_u24_e32 v40, 0x10001, v40
	v_pk_fma_f16 v90, v38, v41, v37
	s_delay_alu instid0(VALU_DEP_2)
	v_pk_fma_f16 v89, v38, v40, v39
	ds_load_2addr_b32 v[41:42], v84 offset0:128 offset1:160
	ds_load_b128 v[37:40], v62 offset:400
	s_wait_dscnt 0x0
	v_lshrrev_b32_e32 v91, 16, v37
	v_and_b32_e32 v37, 0xffff, v37
	s_delay_alu instid0(VALU_DEP_2) | instskip(NEXT) | instid1(VALU_DEP_2)
	v_mul_u32_u24_e32 v91, 0x10001, v91
	v_mul_u32_u24_e32 v37, 0x10001, v37
	s_delay_alu instid0(VALU_DEP_1) | instskip(SKIP_3) | instid1(VALU_DEP_3)
	v_pk_fma_f16 v37, v41, v37, v89
	v_lshrrev_b32_e32 v89, 16, v38
	v_and_b32_e32 v38, 0xffff, v38
	v_pk_fma_f16 v41, v41, v91, v90
	v_mul_u32_u24_e32 v89, 0x10001, v89
	s_delay_alu instid0(VALU_DEP_3) | instskip(NEXT) | instid1(VALU_DEP_2)
	v_mul_u32_u24_e32 v38, 0x10001, v38
	v_pk_fma_f16 v41, v42, v89, v41
	s_delay_alu instid0(VALU_DEP_2) | instskip(SKIP_3) | instid1(VALU_DEP_2)
	v_pk_fma_f16 v90, v42, v38, v37
	ds_load_2addr_b32 v[37:38], v84 offset0:192 offset1:224
	v_lshrrev_b32_e32 v42, 16, v39
	v_and_b32_e32 v39, 0xffff, v39
	v_mul_u32_u24_e32 v42, 0x10001, v42
	s_delay_alu instid0(VALU_DEP_2) | instskip(SKIP_1) | instid1(VALU_DEP_1)
	v_mul_u32_u24_e32 v39, 0x10001, v39
	s_wait_dscnt 0x0
	v_pk_fma_f16 v39, v37, v39, v90
	s_delay_alu instid0(VALU_DEP_3) | instskip(SKIP_2) | instid1(VALU_DEP_2)
	v_pk_fma_f16 v37, v37, v42, v41
	v_lshrrev_b32_e32 v41, 16, v40
	v_and_b32_e32 v40, 0xffff, v40
	v_mul_u32_u24_e32 v41, 0x10001, v41
	s_delay_alu instid0(VALU_DEP_2) | instskip(NEXT) | instid1(VALU_DEP_2)
	v_mul_u32_u24_e32 v40, 0x10001, v40
	v_pk_fma_f16 v90, v38, v41, v37
	s_delay_alu instid0(VALU_DEP_2)
	v_pk_fma_f16 v89, v38, v40, v39
	ds_load_2addr_b32 v[41:42], v85 offset1:32
	ds_load_b128 v[37:40], v62 offset:416
	s_wait_dscnt 0x0
	v_lshrrev_b32_e32 v91, 16, v37
	v_and_b32_e32 v37, 0xffff, v37
	s_delay_alu instid0(VALU_DEP_2) | instskip(NEXT) | instid1(VALU_DEP_2)
	v_mul_u32_u24_e32 v91, 0x10001, v91
	v_mul_u32_u24_e32 v37, 0x10001, v37
	s_delay_alu instid0(VALU_DEP_1) | instskip(SKIP_3) | instid1(VALU_DEP_3)
	v_pk_fma_f16 v37, v41, v37, v89
	v_lshrrev_b32_e32 v89, 16, v38
	v_and_b32_e32 v38, 0xffff, v38
	v_pk_fma_f16 v41, v41, v91, v90
	v_mul_u32_u24_e32 v89, 0x10001, v89
	s_delay_alu instid0(VALU_DEP_3) | instskip(NEXT) | instid1(VALU_DEP_2)
	v_mul_u32_u24_e32 v38, 0x10001, v38
	v_pk_fma_f16 v41, v42, v89, v41
	s_delay_alu instid0(VALU_DEP_2) | instskip(SKIP_3) | instid1(VALU_DEP_2)
	v_pk_fma_f16 v90, v42, v38, v37
	ds_load_2addr_b32 v[37:38], v85 offset0:64 offset1:96
	v_lshrrev_b32_e32 v42, 16, v39
	v_and_b32_e32 v39, 0xffff, v39
	v_mul_u32_u24_e32 v42, 0x10001, v42
	s_delay_alu instid0(VALU_DEP_2) | instskip(SKIP_1) | instid1(VALU_DEP_1)
	v_mul_u32_u24_e32 v39, 0x10001, v39
	s_wait_dscnt 0x0
	v_pk_fma_f16 v39, v37, v39, v90
	s_delay_alu instid0(VALU_DEP_3) | instskip(SKIP_2) | instid1(VALU_DEP_2)
	v_pk_fma_f16 v37, v37, v42, v41
	v_lshrrev_b32_e32 v41, 16, v40
	v_and_b32_e32 v40, 0xffff, v40
	v_mul_u32_u24_e32 v41, 0x10001, v41
	s_delay_alu instid0(VALU_DEP_2) | instskip(NEXT) | instid1(VALU_DEP_2)
	v_mul_u32_u24_e32 v40, 0x10001, v40
	v_pk_fma_f16 v90, v38, v41, v37
	s_delay_alu instid0(VALU_DEP_2)
	v_pk_fma_f16 v89, v38, v40, v39
	ds_load_2addr_b32 v[41:42], v85 offset0:128 offset1:160
	ds_load_b128 v[37:40], v62 offset:432
	s_wait_dscnt 0x0
	v_lshrrev_b32_e32 v91, 16, v37
	v_and_b32_e32 v37, 0xffff, v37
	s_delay_alu instid0(VALU_DEP_2) | instskip(NEXT) | instid1(VALU_DEP_2)
	v_mul_u32_u24_e32 v91, 0x10001, v91
	v_mul_u32_u24_e32 v37, 0x10001, v37
	s_delay_alu instid0(VALU_DEP_1) | instskip(SKIP_3) | instid1(VALU_DEP_3)
	v_pk_fma_f16 v37, v41, v37, v89
	v_lshrrev_b32_e32 v89, 16, v38
	v_and_b32_e32 v38, 0xffff, v38
	v_pk_fma_f16 v41, v41, v91, v90
	v_mul_u32_u24_e32 v89, 0x10001, v89
	s_delay_alu instid0(VALU_DEP_3) | instskip(NEXT) | instid1(VALU_DEP_2)
	v_mul_u32_u24_e32 v38, 0x10001, v38
	v_pk_fma_f16 v41, v42, v89, v41
	s_delay_alu instid0(VALU_DEP_2) | instskip(SKIP_3) | instid1(VALU_DEP_2)
	v_pk_fma_f16 v90, v42, v38, v37
	ds_load_2addr_b32 v[37:38], v85 offset0:192 offset1:224
	v_lshrrev_b32_e32 v42, 16, v39
	v_and_b32_e32 v39, 0xffff, v39
	v_mul_u32_u24_e32 v42, 0x10001, v42
	s_delay_alu instid0(VALU_DEP_2) | instskip(SKIP_1) | instid1(VALU_DEP_1)
	v_mul_u32_u24_e32 v39, 0x10001, v39
	s_wait_dscnt 0x0
	v_pk_fma_f16 v39, v37, v39, v90
	s_delay_alu instid0(VALU_DEP_3) | instskip(SKIP_2) | instid1(VALU_DEP_2)
	v_pk_fma_f16 v37, v37, v42, v41
	v_lshrrev_b32_e32 v41, 16, v40
	v_and_b32_e32 v40, 0xffff, v40
	v_mul_u32_u24_e32 v41, 0x10001, v41
	s_delay_alu instid0(VALU_DEP_2) | instskip(NEXT) | instid1(VALU_DEP_2)
	v_mul_u32_u24_e32 v40, 0x10001, v40
	v_pk_fma_f16 v90, v38, v41, v37
	s_delay_alu instid0(VALU_DEP_2)
	v_pk_fma_f16 v89, v38, v40, v39
	ds_load_2addr_b32 v[41:42], v86 offset1:32
	ds_load_b128 v[37:40], v62 offset:448
	s_wait_dscnt 0x0
	v_lshrrev_b32_e32 v91, 16, v37
	v_and_b32_e32 v37, 0xffff, v37
	s_delay_alu instid0(VALU_DEP_2) | instskip(NEXT) | instid1(VALU_DEP_2)
	v_mul_u32_u24_e32 v91, 0x10001, v91
	v_mul_u32_u24_e32 v37, 0x10001, v37
	s_delay_alu instid0(VALU_DEP_1) | instskip(SKIP_3) | instid1(VALU_DEP_3)
	v_pk_fma_f16 v37, v41, v37, v89
	v_lshrrev_b32_e32 v89, 16, v38
	v_and_b32_e32 v38, 0xffff, v38
	v_pk_fma_f16 v41, v41, v91, v90
	v_mul_u32_u24_e32 v89, 0x10001, v89
	s_delay_alu instid0(VALU_DEP_3) | instskip(NEXT) | instid1(VALU_DEP_2)
	v_mul_u32_u24_e32 v38, 0x10001, v38
	v_pk_fma_f16 v41, v42, v89, v41
	s_delay_alu instid0(VALU_DEP_2) | instskip(SKIP_3) | instid1(VALU_DEP_2)
	v_pk_fma_f16 v90, v42, v38, v37
	ds_load_2addr_b32 v[37:38], v86 offset0:64 offset1:96
	v_lshrrev_b32_e32 v42, 16, v39
	v_and_b32_e32 v39, 0xffff, v39
	v_mul_u32_u24_e32 v42, 0x10001, v42
	s_delay_alu instid0(VALU_DEP_2) | instskip(SKIP_1) | instid1(VALU_DEP_1)
	v_mul_u32_u24_e32 v39, 0x10001, v39
	s_wait_dscnt 0x0
	v_pk_fma_f16 v39, v37, v39, v90
	s_delay_alu instid0(VALU_DEP_3) | instskip(SKIP_2) | instid1(VALU_DEP_2)
	v_pk_fma_f16 v37, v37, v42, v41
	v_lshrrev_b32_e32 v41, 16, v40
	v_and_b32_e32 v40, 0xffff, v40
	v_mul_u32_u24_e32 v41, 0x10001, v41
	s_delay_alu instid0(VALU_DEP_2) | instskip(NEXT) | instid1(VALU_DEP_2)
	v_mul_u32_u24_e32 v40, 0x10001, v40
	v_pk_fma_f16 v90, v38, v41, v37
	s_delay_alu instid0(VALU_DEP_2)
	v_pk_fma_f16 v89, v38, v40, v39
	ds_load_2addr_b32 v[41:42], v86 offset0:128 offset1:160
	ds_load_b128 v[37:40], v62 offset:464
	s_wait_dscnt 0x0
	v_lshrrev_b32_e32 v91, 16, v37
	v_and_b32_e32 v37, 0xffff, v37
	s_delay_alu instid0(VALU_DEP_2) | instskip(NEXT) | instid1(VALU_DEP_2)
	v_mul_u32_u24_e32 v91, 0x10001, v91
	v_mul_u32_u24_e32 v37, 0x10001, v37
	s_delay_alu instid0(VALU_DEP_1) | instskip(SKIP_3) | instid1(VALU_DEP_3)
	v_pk_fma_f16 v37, v41, v37, v89
	v_lshrrev_b32_e32 v89, 16, v38
	v_and_b32_e32 v38, 0xffff, v38
	v_pk_fma_f16 v41, v41, v91, v90
	v_mul_u32_u24_e32 v89, 0x10001, v89
	s_delay_alu instid0(VALU_DEP_3) | instskip(NEXT) | instid1(VALU_DEP_2)
	v_mul_u32_u24_e32 v38, 0x10001, v38
	v_pk_fma_f16 v41, v42, v89, v41
	s_delay_alu instid0(VALU_DEP_2) | instskip(SKIP_3) | instid1(VALU_DEP_2)
	v_pk_fma_f16 v90, v42, v38, v37
	ds_load_2addr_b32 v[37:38], v86 offset0:192 offset1:224
	v_lshrrev_b32_e32 v42, 16, v39
	v_and_b32_e32 v39, 0xffff, v39
	v_mul_u32_u24_e32 v42, 0x10001, v42
	s_delay_alu instid0(VALU_DEP_2) | instskip(SKIP_1) | instid1(VALU_DEP_1)
	v_mul_u32_u24_e32 v39, 0x10001, v39
	s_wait_dscnt 0x0
	v_pk_fma_f16 v39, v37, v39, v90
	s_delay_alu instid0(VALU_DEP_3) | instskip(SKIP_2) | instid1(VALU_DEP_2)
	v_pk_fma_f16 v37, v37, v42, v41
	v_lshrrev_b32_e32 v41, 16, v40
	v_and_b32_e32 v40, 0xffff, v40
	v_mul_u32_u24_e32 v41, 0x10001, v41
	s_delay_alu instid0(VALU_DEP_2) | instskip(NEXT) | instid1(VALU_DEP_2)
	v_mul_u32_u24_e32 v40, 0x10001, v40
	v_pk_fma_f16 v90, v38, v41, v37
	s_delay_alu instid0(VALU_DEP_2)
	v_pk_fma_f16 v89, v38, v40, v39
	ds_load_2addr_b32 v[41:42], v87 offset1:32
	ds_load_b128 v[37:40], v62 offset:480
	s_wait_dscnt 0x0
	v_lshrrev_b32_e32 v91, 16, v37
	v_and_b32_e32 v37, 0xffff, v37
	s_delay_alu instid0(VALU_DEP_2) | instskip(NEXT) | instid1(VALU_DEP_2)
	v_mul_u32_u24_e32 v91, 0x10001, v91
	v_mul_u32_u24_e32 v37, 0x10001, v37
	s_delay_alu instid0(VALU_DEP_1) | instskip(SKIP_3) | instid1(VALU_DEP_3)
	v_pk_fma_f16 v37, v41, v37, v89
	v_lshrrev_b32_e32 v89, 16, v38
	v_and_b32_e32 v38, 0xffff, v38
	v_pk_fma_f16 v41, v41, v91, v90
	v_mul_u32_u24_e32 v89, 0x10001, v89
	s_delay_alu instid0(VALU_DEP_3) | instskip(NEXT) | instid1(VALU_DEP_2)
	v_mul_u32_u24_e32 v38, 0x10001, v38
	v_pk_fma_f16 v41, v42, v89, v41
	s_delay_alu instid0(VALU_DEP_2) | instskip(SKIP_3) | instid1(VALU_DEP_2)
	v_pk_fma_f16 v90, v42, v38, v37
	ds_load_2addr_b32 v[37:38], v87 offset0:64 offset1:96
	v_lshrrev_b32_e32 v42, 16, v39
	v_and_b32_e32 v39, 0xffff, v39
	v_mul_u32_u24_e32 v42, 0x10001, v42
	s_delay_alu instid0(VALU_DEP_2) | instskip(SKIP_1) | instid1(VALU_DEP_1)
	v_mul_u32_u24_e32 v39, 0x10001, v39
	s_wait_dscnt 0x0
	v_pk_fma_f16 v39, v37, v39, v90
	s_delay_alu instid0(VALU_DEP_3) | instskip(SKIP_2) | instid1(VALU_DEP_2)
	v_pk_fma_f16 v37, v37, v42, v41
	v_lshrrev_b32_e32 v41, 16, v40
	v_and_b32_e32 v40, 0xffff, v40
	v_mul_u32_u24_e32 v41, 0x10001, v41
	s_delay_alu instid0(VALU_DEP_2) | instskip(NEXT) | instid1(VALU_DEP_2)
	v_mul_u32_u24_e32 v40, 0x10001, v40
	v_pk_fma_f16 v37, v38, v41, v37
	s_delay_alu instid0(VALU_DEP_2)
	v_pk_fma_f16 v42, v38, v40, v39
	ds_load_2addr_b32 v[89:90], v87 offset0:128 offset1:160
	ds_load_b128 v[38:41], v62 offset:496
	s_wait_dscnt 0x0
	v_lshrrev_b32_e32 v91, 16, v38
	v_and_b32_e32 v38, 0xffff, v38
	s_delay_alu instid0(VALU_DEP_2) | instskip(NEXT) | instid1(VALU_DEP_2)
	v_mul_u32_u24_e32 v91, 0x10001, v91
	v_mul_u32_u24_e32 v38, 0x10001, v38
	s_delay_alu instid0(VALU_DEP_2) | instskip(NEXT) | instid1(VALU_DEP_2)
	v_pk_fma_f16 v37, v89, v91, v37
	v_pk_fma_f16 v38, v89, v38, v42
	v_lshrrev_b32_e32 v42, 16, v39
	v_and_b32_e32 v39, 0xffff, v39
	v_lshrrev_b32_e32 v89, 16, v40
	v_and_b32_e32 v40, 0xffff, v40
	s_delay_alu instid0(VALU_DEP_4) | instskip(NEXT) | instid1(VALU_DEP_4)
	v_mul_u32_u24_e32 v42, 0x10001, v42
	v_mul_u32_u24_e32 v39, 0x10001, v39
	s_delay_alu instid0(VALU_DEP_4) | instskip(NEXT) | instid1(VALU_DEP_4)
	v_mul_u32_u24_e32 v89, 0x10001, v89
	v_mul_u32_u24_e32 v40, 0x10001, v40
	s_delay_alu instid0(VALU_DEP_4) | instskip(NEXT) | instid1(VALU_DEP_4)
	v_pk_fma_f16 v42, v90, v42, v37
	v_pk_fma_f16 v39, v90, v39, v38
	ds_load_2addr_b32 v[37:38], v87 offset0:192 offset1:224
	s_wait_loadcnt_dscnt 0x0
	s_barrier_signal -1
	s_barrier_wait -1
	global_inv scope:SCOPE_SE
	s_load_b32 s3, s[24:25], 0x4
	v_pk_fma_f16 v39, v37, v40, v39
	v_lshrrev_b32_e32 v40, 16, v41
	v_and_b32_e32 v41, 0xffff, v41
	v_pk_fma_f16 v37, v37, v89, v42
	s_wait_kmcnt 0x0
	s_lshl_b32 s3, s3, 7
	v_mul_u32_u24_e32 v40, 0x10001, v40
	v_mul_u32_u24_e32 v41, 0x10001, v41
	s_wait_alu 0xfffe
	s_add_co_i32 s10, s3, s10
	s_wait_alu 0xfffe
	s_cmp_ge_i32 s10, s30
	v_pk_fma_f16 v89, v38, v40, v37
	v_pk_fma_f16 v90, v38, v41, v39
	s_cbranch_scc0 .LBB43_9
; %bb.10:
	v_mov_b32_e32 v3, v44
.LBB43_11:
	v_lshlrev_b32_e32 v6, 1, v0
	v_cmp_lt_i32_e32 vcc_lo, v53, v46
	s_cmp_lg_u64 s[12:13], 0
	s_cselect_b32 s3, -1, 0
	s_cmp_eq_u32 s4, 0
	s_wait_alu 0xfffd
	v_cndmask_b32_e32 v2, v3, v53, vcc_lo
	v_cmp_lt_i32_e32 vcc_lo, v52, v46
	s_cselect_b32 s5, -1, 0
	s_wait_alu 0xfffe
	s_and_b32 s3, s5, s3
	s_wait_alu 0xfffd
	v_dual_cndmask_b32 v5, v3, v52 :: v_dual_lshlrev_b32 v2, 2, v2
	v_cmp_lt_i32_e32 vcc_lo, v51, v46
	ds_bpermute_b32 v4, v2, v88
	ds_bpermute_b32 v2, v2, v63
	s_wait_alu 0xfffd
	v_dual_cndmask_b32 v8, v3, v51 :: v_dual_lshlrev_b32 v5, 2, v5
	v_cmp_lt_i32_e32 vcc_lo, v49, v46
	s_delay_alu instid0(VALU_DEP_2)
	v_lshlrev_b32_e32 v8, 2, v8
	s_wait_dscnt 0x1
	v_add_f32_e32 v4, v88, v4
	s_wait_dscnt 0x0
	v_add_f32_e32 v2, v63, v2
	ds_bpermute_b32 v7, v5, v4
	ds_bpermute_b32 v5, v5, v2
	s_wait_dscnt 0x1
	v_add_f32_e32 v4, v4, v7
	s_wait_dscnt 0x0
	v_add_f32_e32 v2, v2, v5
	ds_bpermute_b32 v5, v8, v4
	ds_bpermute_b32 v7, v8, v2
	s_wait_alu 0xfffd
	v_cndmask_b32_e32 v8, v3, v49, vcc_lo
	v_cmp_lt_i32_e32 vcc_lo, v48, v46
	s_delay_alu instid0(VALU_DEP_2)
	v_lshlrev_b32_e32 v8, 2, v8
	s_wait_alu 0xfffd
	v_cndmask_b32_e32 v3, v3, v48, vcc_lo
	s_wait_alu 0xfffe
	s_and_b32 vcc_lo, exec_lo, s3
	s_wait_dscnt 0x1
	s_delay_alu instid0(VALU_DEP_1)
	v_dual_add_f32 v4, v4, v5 :: v_dual_lshlrev_b32 v3, 2, v3
	s_wait_dscnt 0x0
	v_add_f32_e32 v2, v2, v7
	ds_bpermute_b32 v5, v8, v4
	ds_bpermute_b32 v7, v8, v2
	s_wait_dscnt 0x0
	v_dual_add_f32 v4, v4, v5 :: v_dual_add_f32 v5, v2, v7
	ds_bpermute_b32 v2, v3, v4
	ds_bpermute_b32 v3, v3, v5
	s_wait_dscnt 0x0
	v_dual_add_f32 v2, v4, v2 :: v_dual_add_f32 v3, v5, v3
	s_wait_alu 0xfffe
	s_cbranch_vccz .LBB43_13
; %bb.12:
	s_ashr_i32 s29, s28, 31
	v_dual_mov_b32 v4, 0 :: v_dual_max_num_f32 v7, v35, v35
	s_lshl_b64 s[6:7], s[28:29], 2
	s_delay_alu instid0(SALU_CYCLE_1) | instskip(SKIP_4) | instid1(VALU_DEP_1)
	s_add_nc_u64 s[6:7], s[12:13], s[6:7]
	global_load_b64 v[4:5], v4, s[6:7]
	s_wait_loadcnt 0x0
	v_dual_max_num_f32 v9, v36, v36 :: v_dual_max_num_f32 v10, v5, v5
	v_max_num_f32_e32 v8, v4, v4
	v_dual_max_num_f32 v7, v7, v8 :: v_dual_max_num_f32 v8, v9, v10
	s_delay_alu instid0(VALU_DEP_1) | instskip(NEXT) | instid1(VALU_DEP_2)
	v_sub_f32_e32 v9, v35, v7
	v_dual_sub_f32 v4, v4, v7 :: v_dual_sub_f32 v5, v5, v8
	v_sub_f32_e32 v10, v36, v8
	s_delay_alu instid0(VALU_DEP_3) | instskip(NEXT) | instid1(VALU_DEP_3)
	v_dual_mov_b32 v36, v8 :: v_dual_mul_f32 v11, 0x3fb8aa3b, v9
	v_mul_f32_e32 v12, 0x3fb8aa3b, v4
	v_cmp_ngt_f32_e32 vcc_lo, 0xc2ce8ed0, v9
	s_delay_alu instid0(VALU_DEP_4)
	v_mul_f32_e32 v13, 0x3fb8aa3b, v10
	v_mov_b32_e32 v35, v7
	v_fma_f32 v15, 0x3fb8aa3b, v9, -v11
	v_rndne_f32_e32 v16, v11
	v_mul_f32_e32 v14, 0x3fb8aa3b, v5
	v_fma_f32 v18, 0x3fb8aa3b, v10, -v13
	v_rndne_f32_e32 v19, v13
	v_fmac_f32_e32 v15, 0x32a5705f, v9
	v_sub_f32_e32 v11, v11, v16
	v_fma_f32 v21, 0x3fb8aa3b, v5, -v14
	v_rndne_f32_e32 v22, v14
	v_fma_f32 v17, 0x3fb8aa3b, v4, -v12
	v_rndne_f32_e32 v20, v12
	v_dual_fmac_f32 v18, 0x32a5705f, v10 :: v_dual_sub_f32 v13, v13, v19
	s_delay_alu instid0(VALU_DEP_4) | instskip(SKIP_3) | instid1(VALU_DEP_4)
	v_dual_add_f32 v11, v11, v15 :: v_dual_sub_f32 v14, v14, v22
	v_fmac_f32_e32 v21, 0x32a5705f, v5
	v_fmac_f32_e32 v17, 0x32a5705f, v4
	v_sub_f32_e32 v12, v12, v20
	v_exp_f32_e32 v11, v11
	v_cvt_i32_f32_e32 v15, v16
	v_dual_add_f32 v14, v14, v21 :: v_dual_add_f32 v13, v13, v18
	s_delay_alu instid0(VALU_DEP_3) | instskip(SKIP_2) | instid1(VALU_DEP_4)
	v_add_f32_e32 v12, v12, v17
	v_cvt_i32_f32_e32 v16, v19
	v_cvt_i32_f32_e32 v17, v20
	v_exp_f32_e32 v14, v14
	v_exp_f32_e32 v13, v13
	;; [unrolled: 1-line block ×3, first 2 shown]
	v_ldexp_f32 v11, v11, v15
	v_cvt_i32_f32_e32 v15, v22
	s_wait_alu 0xfffd
	s_delay_alu instid0(VALU_DEP_2) | instskip(SKIP_1) | instid1(TRANS32_DEP_2)
	v_cndmask_b32_e32 v11, 0, v11, vcc_lo
	v_cmp_ngt_f32_e32 vcc_lo, 0xc2ce8ed0, v10
	v_ldexp_f32 v13, v13, v16
	s_delay_alu instid0(TRANS32_DEP_1) | instskip(SKIP_1) | instid1(VALU_DEP_2)
	v_ldexp_f32 v12, v12, v17
	s_wait_alu 0xfffd
	v_cndmask_b32_e32 v13, 0, v13, vcc_lo
	v_cmp_nlt_f32_e32 vcc_lo, 0x42b17218, v9
	s_wait_alu 0xfffd
	v_cndmask_b32_e32 v9, 0x7f800000, v11, vcc_lo
	v_cmp_nlt_f32_e32 vcc_lo, 0x42b17218, v10
	v_ldexp_f32 v11, v14, v15
	s_wait_alu 0xfffd
	v_cndmask_b32_e32 v10, 0x7f800000, v13, vcc_lo
	v_cmp_ngt_f32_e32 vcc_lo, 0xc2ce8ed0, v4
	s_delay_alu instid0(VALU_DEP_2)
	v_cvt_f16_f32_e32 v14, v10
	s_wait_alu 0xfffd
	v_cndmask_b32_e32 v12, 0, v12, vcc_lo
	v_cmp_ngt_f32_e32 vcc_lo, 0xc2ce8ed0, v5
	s_wait_alu 0xfffd
	v_cndmask_b32_e32 v11, 0, v11, vcc_lo
	v_cmp_nlt_f32_e32 vcc_lo, 0x42b17218, v4
	s_wait_alu 0xfffd
	v_cndmask_b32_e32 v4, 0x7f800000, v12, vcc_lo
	v_cmp_nlt_f32_e32 vcc_lo, 0x42b17218, v5
	s_wait_alu 0xfffd
	s_delay_alu instid0(VALU_DEP_2) | instskip(NEXT) | instid1(VALU_DEP_1)
	v_dual_fmac_f32 v4, v2, v9 :: v_dual_cndmask_b32 v5, 0x7f800000, v11
	v_mov_b32_e32 v2, v4
	v_cvt_f16_f32_e32 v13, v9
	s_delay_alu instid0(VALU_DEP_1) | instskip(SKIP_1) | instid1(VALU_DEP_2)
	v_dual_fmac_f32 v5, v3, v10 :: v_dual_and_b32 v12, 0xffff, v13
	v_and_b32_e32 v13, 0xffff, v14
	v_mov_b32_e32 v3, v5
	s_delay_alu instid0(VALU_DEP_3) | instskip(NEXT) | instid1(VALU_DEP_3)
	v_mul_u32_u24_e32 v9, 0x10001, v12
	v_mul_u32_u24_e32 v11, 0x10001, v13
	s_delay_alu instid0(VALU_DEP_2) | instskip(NEXT) | instid1(VALU_DEP_2)
	v_pk_mul_f16 v90, v90, v9
	v_pk_mul_f16 v89, v89, v11
	s_mov_b32 s3, exec_lo
	v_cmpx_gt_i32_e64 s22, v1
	s_cbranch_execnz .LBB43_14
	s_branch .LBB43_22
.LBB43_13:
	s_delay_alu instid0(VALU_DEP_1)
	v_dual_mov_b32 v5, v3 :: v_dual_mov_b32 v4, v2
	s_mov_b32 s3, exec_lo
	v_cmpx_gt_i32_e64 s22, v1
	s_cbranch_execz .LBB43_22
.LBB43_14:
	s_load_b32 s1, s[0:1], 0xd4
	v_mov_b32_e32 v7, 1.0
	s_wait_kmcnt 0x0
	s_cmp_lg_u32 s1, 1
	s_cselect_b32 s5, -1, 0
	s_cmp_eq_u32 s1, 1
	s_cselect_b32 s3, -1, 0
	s_wait_alu 0xfffe
	s_and_b32 vcc_lo, exec_lo, s5
	s_wait_alu 0xfffe
	s_cbranch_vccnz .LBB43_16
; %bb.15:
	v_div_scale_f32 v7, null, v2, v2, 1.0
	s_delay_alu instid0(VALU_DEP_1) | instskip(NEXT) | instid1(TRANS32_DEP_1)
	v_rcp_f32_e32 v8, v7
	v_fma_f32 v9, -v7, v8, 1.0
	s_delay_alu instid0(VALU_DEP_1) | instskip(SKIP_1) | instid1(VALU_DEP_1)
	v_fmac_f32_e32 v8, v9, v8
	v_div_scale_f32 v9, vcc_lo, 1.0, v2, 1.0
	v_mul_f32_e32 v10, v9, v8
	s_delay_alu instid0(VALU_DEP_1) | instskip(NEXT) | instid1(VALU_DEP_1)
	v_fma_f32 v11, -v7, v10, v9
	v_fmac_f32_e32 v10, v11, v8
	s_delay_alu instid0(VALU_DEP_1) | instskip(SKIP_1) | instid1(VALU_DEP_1)
	v_fma_f32 v7, -v7, v10, v9
	s_wait_alu 0xfffd
	v_div_fmas_f32 v7, v7, v8, v10
	s_delay_alu instid0(VALU_DEP_1)
	v_div_fixup_f32 v7, v7, v2, 1.0
.LBB43_16:
	v_mad_co_u64_u32 v[1:2], null, s2, s22, v[1:2]
	v_cvt_f32_f16_e32 v10, v90
	v_mov_b32_e32 v9, 0
	v_cmp_eq_u32_e32 vcc_lo, 0, v0
	s_delay_alu instid0(VALU_DEP_3) | instskip(SKIP_1) | instid1(VALU_DEP_1)
	v_mul_f32_e32 v10, v7, v10
	v_mad_co_u64_u32 v[1:2], null, v1, s23, s[28:29]
	v_mad_co_u64_u32 v[1:2], null, s1, v1, s[4:5]
	v_lshrrev_b32_e32 v2, 16, v90
	s_delay_alu instid0(VALU_DEP_1) | instskip(NEXT) | instid1(VALU_DEP_3)
	v_cvt_f32_f16_e32 v2, v2
	v_lshl_add_u32 v8, v1, 6, v6
	s_delay_alu instid0(VALU_DEP_2) | instskip(NEXT) | instid1(VALU_DEP_2)
	v_mul_f32_e32 v11, v7, v2
	v_lshlrev_b64_e32 v[8:9], 2, v[8:9]
	s_delay_alu instid0(VALU_DEP_1) | instskip(SKIP_1) | instid1(VALU_DEP_2)
	v_add_co_u32 v7, s0, s16, v8
	s_wait_alu 0xf1ff
	v_add_co_ci_u32_e64 v8, null, s17, v9, s0
	s_and_b32 s0, vcc_lo, s5
	global_store_b64 v[7:8], v[10:11], off
	s_wait_alu 0xfffe
	s_and_saveexec_b32 s2, s0
	s_cbranch_execz .LBB43_18
; %bb.17:
	v_ashrrev_i32_e32 v2, 31, v1
	v_dual_mov_b32 v9, v35 :: v_dual_mov_b32 v10, v4
	s_delay_alu instid0(VALU_DEP_2) | instskip(NEXT) | instid1(VALU_DEP_1)
	v_lshlrev_b64_e32 v[7:8], 3, v[1:2]
	v_add_co_u32 v7, vcc_lo, s18, v7
	s_wait_alu 0xfffd
	s_delay_alu instid0(VALU_DEP_2)
	v_add_co_ci_u32_e64 v8, null, s19, v8, vcc_lo
	global_store_b64 v[7:8], v[9:10], off
.LBB43_18:
	s_wait_alu 0xfffe
	s_or_b32 exec_lo, exec_lo, s2
	v_mov_b32_e32 v2, 1.0
	s_and_not1_b32 vcc_lo, exec_lo, s3
	s_wait_alu 0xfffe
	s_cbranch_vccnz .LBB43_20
; %bb.19:
	v_div_scale_f32 v0, null, v3, v3, 1.0
	s_delay_alu instid0(VALU_DEP_1) | instskip(NEXT) | instid1(TRANS32_DEP_1)
	v_rcp_f32_e32 v2, v0
	v_fma_f32 v4, -v0, v2, 1.0
	s_delay_alu instid0(VALU_DEP_1) | instskip(SKIP_1) | instid1(VALU_DEP_1)
	v_fmac_f32_e32 v2, v4, v2
	v_div_scale_f32 v4, vcc_lo, 1.0, v3, 1.0
	v_mul_f32_e32 v7, v4, v2
	s_delay_alu instid0(VALU_DEP_1) | instskip(NEXT) | instid1(VALU_DEP_1)
	v_fma_f32 v8, -v0, v7, v4
	v_fmac_f32_e32 v7, v8, v2
	s_delay_alu instid0(VALU_DEP_1) | instskip(SKIP_1) | instid1(VALU_DEP_1)
	v_fma_f32 v0, -v0, v7, v4
	s_wait_alu 0xfffd
	v_div_fmas_f32 v0, v0, v2, v7
	s_delay_alu instid0(VALU_DEP_1)
	v_div_fixup_f32 v2, v0, v3, 1.0
.LBB43_20:
	v_add_nc_u32_e32 v0, s1, v1
	v_mov_b32_e32 v4, 0
	v_lshrrev_b32_e32 v1, 16, v89
	s_delay_alu instid0(VALU_DEP_3) | instskip(SKIP_1) | instid1(VALU_DEP_3)
	v_lshl_add_u32 v3, v0, 6, v6
	v_cvt_f32_f16_e32 v6, v89
	v_cvt_f32_f16_e32 v7, v1
	s_delay_alu instid0(VALU_DEP_3) | instskip(NEXT) | instid1(VALU_DEP_3)
	v_lshlrev_b64_e32 v[3:4], 2, v[3:4]
	v_mul_f32_e32 v1, v2, v6
	s_delay_alu instid0(VALU_DEP_3) | instskip(NEXT) | instid1(VALU_DEP_3)
	v_mul_f32_e32 v2, v2, v7
	v_add_co_u32 v3, vcc_lo, s16, v3
	s_wait_alu 0xfffd
	s_delay_alu instid0(VALU_DEP_4)
	v_add_co_ci_u32_e64 v4, null, s17, v4, vcc_lo
	global_store_b64 v[3:4], v[1:2], off
	s_and_b32 exec_lo, exec_lo, s0
	s_cbranch_execz .LBB43_22
; %bb.21:
	v_ashrrev_i32_e32 v1, 31, v0
	v_mov_b32_e32 v4, v36
	s_delay_alu instid0(VALU_DEP_2) | instskip(NEXT) | instid1(VALU_DEP_1)
	v_lshlrev_b64_e32 v[0:1], 3, v[0:1]
	v_add_co_u32 v0, vcc_lo, s18, v0
	s_wait_alu 0xfffd
	s_delay_alu instid0(VALU_DEP_2)
	v_add_co_ci_u32_e64 v1, null, s19, v1, vcc_lo
	global_store_b64 v[0:1], v[4:5], off
	s_nop 0
	s_sendmsg sendmsg(MSG_DEALLOC_VGPRS)
	s_endpgm
.LBB43_22:
	s_nop 0
	s_sendmsg sendmsg(MSG_DEALLOC_VGPRS)
	s_endpgm
	.section	.rodata,"a",@progbits
	.p2align	6, 0x0
	.amdhsa_kernel _ZL15flash_attn_tileILi64ELi64ELi4ELi2ELb0EEvPKcS1_S1_S1_S1_PKiPfP15HIP_vector_typeIfLj2EEffffjfiS5_IjLj3EEiiiiiiiiiiiliiliiiiil
		.amdhsa_group_segment_fixed_size 21504
		.amdhsa_private_segment_fixed_size 0
		.amdhsa_kernarg_size 464
		.amdhsa_user_sgpr_count 2
		.amdhsa_user_sgpr_dispatch_ptr 0
		.amdhsa_user_sgpr_queue_ptr 0
		.amdhsa_user_sgpr_kernarg_segment_ptr 1
		.amdhsa_user_sgpr_dispatch_id 0
		.amdhsa_user_sgpr_private_segment_size 0
		.amdhsa_wavefront_size32 1
		.amdhsa_uses_dynamic_stack 0
		.amdhsa_enable_private_segment 0
		.amdhsa_system_sgpr_workgroup_id_x 1
		.amdhsa_system_sgpr_workgroup_id_y 1
		.amdhsa_system_sgpr_workgroup_id_z 1
		.amdhsa_system_sgpr_workgroup_info 0
		.amdhsa_system_vgpr_workitem_id 1
		.amdhsa_next_free_vgpr 217
		.amdhsa_next_free_sgpr 43
		.amdhsa_reserve_vcc 1
		.amdhsa_float_round_mode_32 0
		.amdhsa_float_round_mode_16_64 0
		.amdhsa_float_denorm_mode_32 3
		.amdhsa_float_denorm_mode_16_64 3
		.amdhsa_fp16_overflow 0
		.amdhsa_workgroup_processor_mode 1
		.amdhsa_memory_ordered 1
		.amdhsa_forward_progress 1
		.amdhsa_inst_pref_size 116
		.amdhsa_round_robin_scheduling 0
		.amdhsa_exception_fp_ieee_invalid_op 0
		.amdhsa_exception_fp_denorm_src 0
		.amdhsa_exception_fp_ieee_div_zero 0
		.amdhsa_exception_fp_ieee_overflow 0
		.amdhsa_exception_fp_ieee_underflow 0
		.amdhsa_exception_fp_ieee_inexact 0
		.amdhsa_exception_int_div_zero 0
	.end_amdhsa_kernel
	.section	.text._ZL15flash_attn_tileILi64ELi64ELi4ELi2ELb0EEvPKcS1_S1_S1_S1_PKiPfP15HIP_vector_typeIfLj2EEffffjfiS5_IjLj3EEiiiiiiiiiiiliiliiiiil,"axG",@progbits,_ZL15flash_attn_tileILi64ELi64ELi4ELi2ELb0EEvPKcS1_S1_S1_S1_PKiPfP15HIP_vector_typeIfLj2EEffffjfiS5_IjLj3EEiiiiiiiiiiiliiliiiiil,comdat
.Lfunc_end43:
	.size	_ZL15flash_attn_tileILi64ELi64ELi4ELi2ELb0EEvPKcS1_S1_S1_S1_PKiPfP15HIP_vector_typeIfLj2EEffffjfiS5_IjLj3EEiiiiiiiiiiiliiliiiiil, .Lfunc_end43-_ZL15flash_attn_tileILi64ELi64ELi4ELi2ELb0EEvPKcS1_S1_S1_S1_PKiPfP15HIP_vector_typeIfLj2EEffffjfiS5_IjLj3EEiiiiiiiiiiiliiliiiiil
                                        ; -- End function
	.set _ZL15flash_attn_tileILi64ELi64ELi4ELi2ELb0EEvPKcS1_S1_S1_S1_PKiPfP15HIP_vector_typeIfLj2EEffffjfiS5_IjLj3EEiiiiiiiiiiiliiliiiiil.num_vgpr, 117
	.set _ZL15flash_attn_tileILi64ELi64ELi4ELi2ELb0EEvPKcS1_S1_S1_S1_PKiPfP15HIP_vector_typeIfLj2EEffffjfiS5_IjLj3EEiiiiiiiiiiiliiliiiiil.num_agpr, 0
	.set _ZL15flash_attn_tileILi64ELi64ELi4ELi2ELb0EEvPKcS1_S1_S1_S1_PKiPfP15HIP_vector_typeIfLj2EEffffjfiS5_IjLj3EEiiiiiiiiiiiliiliiiiil.numbered_sgpr, 43
	.set _ZL15flash_attn_tileILi64ELi64ELi4ELi2ELb0EEvPKcS1_S1_S1_S1_PKiPfP15HIP_vector_typeIfLj2EEffffjfiS5_IjLj3EEiiiiiiiiiiiliiliiiiil.num_named_barrier, 0
	.set _ZL15flash_attn_tileILi64ELi64ELi4ELi2ELb0EEvPKcS1_S1_S1_S1_PKiPfP15HIP_vector_typeIfLj2EEffffjfiS5_IjLj3EEiiiiiiiiiiiliiliiiiil.private_seg_size, 0
	.set _ZL15flash_attn_tileILi64ELi64ELi4ELi2ELb0EEvPKcS1_S1_S1_S1_PKiPfP15HIP_vector_typeIfLj2EEffffjfiS5_IjLj3EEiiiiiiiiiiiliiliiiiil.uses_vcc, 1
	.set _ZL15flash_attn_tileILi64ELi64ELi4ELi2ELb0EEvPKcS1_S1_S1_S1_PKiPfP15HIP_vector_typeIfLj2EEffffjfiS5_IjLj3EEiiiiiiiiiiiliiliiiiil.uses_flat_scratch, 0
	.set _ZL15flash_attn_tileILi64ELi64ELi4ELi2ELb0EEvPKcS1_S1_S1_S1_PKiPfP15HIP_vector_typeIfLj2EEffffjfiS5_IjLj3EEiiiiiiiiiiiliiliiiiil.has_dyn_sized_stack, 0
	.set _ZL15flash_attn_tileILi64ELi64ELi4ELi2ELb0EEvPKcS1_S1_S1_S1_PKiPfP15HIP_vector_typeIfLj2EEffffjfiS5_IjLj3EEiiiiiiiiiiiliiliiiiil.has_recursion, 0
	.set _ZL15flash_attn_tileILi64ELi64ELi4ELi2ELb0EEvPKcS1_S1_S1_S1_PKiPfP15HIP_vector_typeIfLj2EEffffjfiS5_IjLj3EEiiiiiiiiiiiliiliiiiil.has_indirect_call, 0
	.section	.AMDGPU.csdata,"",@progbits
; Kernel info:
; codeLenInByte = 14804
; TotalNumSgprs: 45
; NumVgprs: 117
; ScratchSize: 0
; MemoryBound: 0
; FloatMode: 240
; IeeeMode: 1
; LDSByteSize: 21504 bytes/workgroup (compile time only)
; SGPRBlocks: 0
; VGPRBlocks: 27
; NumSGPRsForWavesPerEU: 45
; NumVGPRsForWavesPerEU: 217
; Occupancy: 6
; WaveLimiterHint : 1
; COMPUTE_PGM_RSRC2:SCRATCH_EN: 0
; COMPUTE_PGM_RSRC2:USER_SGPR: 2
; COMPUTE_PGM_RSRC2:TRAP_HANDLER: 0
; COMPUTE_PGM_RSRC2:TGID_X_EN: 1
; COMPUTE_PGM_RSRC2:TGID_Y_EN: 1
; COMPUTE_PGM_RSRC2:TGID_Z_EN: 1
; COMPUTE_PGM_RSRC2:TIDIG_COMP_CNT: 1
	.section	.text._ZL33flash_attn_stream_k_fixup_uniformILi64ELi4ELi2EEvPfPK15HIP_vector_typeIfLj2EEiiiiiiS1_IjLj3EES5_S5_,"axG",@progbits,_ZL33flash_attn_stream_k_fixup_uniformILi64ELi4ELi2EEvPfPK15HIP_vector_typeIfLj2EEiiiiiiS1_IjLj3EES5_S5_,comdat
	.globl	_ZL33flash_attn_stream_k_fixup_uniformILi64ELi4ELi2EEvPfPK15HIP_vector_typeIfLj2EEiiiiiiS1_IjLj3EES5_S5_ ; -- Begin function _ZL33flash_attn_stream_k_fixup_uniformILi64ELi4ELi2EEvPfPK15HIP_vector_typeIfLj2EEiiiiiiS1_IjLj3EES5_S5_
	.p2align	8
	.type	_ZL33flash_attn_stream_k_fixup_uniformILi64ELi4ELi2EEvPfPK15HIP_vector_typeIfLj2EEiiiiiiS1_IjLj3EES5_S5_,@function
_ZL33flash_attn_stream_k_fixup_uniformILi64ELi4ELi2EEvPfPK15HIP_vector_typeIfLj2EEiiiiiiS1_IjLj3EES5_S5_: ; @_ZL33flash_attn_stream_k_fixup_uniformILi64ELi4ELi2EEvPfPK15HIP_vector_typeIfLj2EEiiiiiiS1_IjLj3EES5_S5_
; %bb.0:
	s_clause 0x1
	s_load_b256 s[4:11], s[0:1], 0x1c
	s_load_b128 s[12:15], s[0:1], 0x3c
	s_wait_kmcnt 0x0
	s_mul_hi_u32 s2, s7, ttmp9
	s_delay_alu instid0(SALU_CYCLE_1) | instskip(NEXT) | instid1(SALU_CYCLE_1)
	s_add_co_i32 s2, ttmp9, s2
	s_lshr_b32 s2, s2, s8
	s_delay_alu instid0(SALU_CYCLE_1) | instskip(SKIP_2) | instid1(SALU_CYCLE_1)
	s_mul_i32 s3, s2, s9
	s_load_b64 s[8:9], s[0:1], 0x10
	s_sub_co_i32 s7, ttmp9, s3
	s_mul_hi_u32 s3, s7, s10
	s_delay_alu instid0(SALU_CYCLE_1) | instskip(NEXT) | instid1(SALU_CYCLE_1)
	s_add_co_i32 s3, s7, s3
	s_lshr_b32 s3, s3, s11
	s_delay_alu instid0(SALU_CYCLE_1) | instskip(NEXT) | instid1(SALU_CYCLE_1)
	s_mul_i32 s10, s3, s12
	s_sub_co_i32 s7, s7, s10
	s_delay_alu instid0(SALU_CYCLE_1) | instskip(NEXT) | instid1(SALU_CYCLE_1)
	s_mul_hi_u32 s10, s7, s13
	s_add_co_i32 s10, s7, s10
	s_delay_alu instid0(SALU_CYCLE_1) | instskip(NEXT) | instid1(SALU_CYCLE_1)
	s_lshr_b32 s12, s10, s14
	s_mul_i32 s10, s12, s15
	s_lshl_b32 s12, s12, 1
	s_sub_co_i32 s11, s7, s10
	s_and_b32 s7, ttmp7, 0xffff
	s_lshl_b32 s13, s11, 2
	s_lshr_b32 s10, ttmp7, 16
	s_add_co_i32 s13, s13, s7
	s_wait_kmcnt 0x0
	s_cmp_lt_i32 s13, s8
	s_cselect_b32 s13, -1, 0
	s_add_co_i32 s14, s12, s10
	s_delay_alu instid0(SALU_CYCLE_1) | instskip(SKIP_1) | instid1(SALU_CYCLE_1)
	s_cmp_lt_i32 s14, s5
	s_cselect_b32 s14, -1, 0
	s_and_b32 s13, s13, s14
	s_delay_alu instid0(SALU_CYCLE_1)
	s_and_not1_b32 vcc_lo, exec_lo, s13
	s_cbranch_vccnz .LBB44_6
; %bb.1:
	s_mul_i32 s2, s2, s8
	s_mul_i32 s5, s3, s5
	s_add_co_i32 s2, s2, s7
	s_delay_alu instid0(SALU_CYCLE_1) | instskip(NEXT) | instid1(SALU_CYCLE_1)
	s_mul_i32 s2, s2, s9
	s_add_co_i32 s8, s2, s10
	s_load_b128 s[0:3], s[0:1], 0x0
	s_add_co_i32 s5, s8, s5
	s_mul_i32 s8, s9, s11
	s_add_co_i32 s5, s5, s12
	s_lshl_b32 s8, s8, 8
	s_lshl_b32 s5, s5, 6
	s_delay_alu instid0(SALU_CYCLE_1)
	s_add_co_i32 s8, s8, s5
	s_lshl_b32 s5, s7, 1
	v_or_b32_e32 v1, s8, v0
	s_mul_i32 s8, s6, ttmp9
	s_wait_alu 0xfffe
	s_add_co_i32 s9, s8, s6
	s_wait_alu 0xfffe
	s_add_co_i32 s12, s9, -2
	v_ashrrev_i32_e32 v2, 31, v1
	s_delay_alu instid0(VALU_DEP_1) | instskip(SKIP_1) | instid1(VALU_DEP_1)
	v_lshlrev_b64_e32 v[1:2], 2, v[1:2]
	s_wait_kmcnt 0x0
	v_add_co_u32 v1, vcc_lo, s0, v1
	s_delay_alu instid0(VALU_DEP_1)
	v_add_co_ci_u32_e64 v2, null, s1, v2, vcc_lo
	s_add_co_i32 s0, s5, s10
	s_lshl_b32 s1, s9, 3
	global_load_b32 v5, v[1:2], off
	s_wait_alu 0xfffe
	s_add_co_i32 s0, s0, s1
	s_wait_alu 0xfffe
	s_add_co_i32 s0, s0, -8
	s_wait_alu 0xfffe
	s_ashr_i32 s1, s0, 31
	s_wait_alu 0xfffe
	s_lshl_b64 s[0:1], s[0:1], 3
	s_cmp_lt_i32 s12, s8
	s_wait_alu 0xfffe
	s_add_nc_u64 s[0:1], s[2:3], s[0:1]
	s_load_b32 s11, s[0:1], 0x4
	s_cbranch_scc1 .LBB44_4
; %bb.2:
	s_load_b32 s0, s[0:1], 0x0
	s_add_co_i32 s13, ttmp9, 1
	s_lshl_b32 s12, s4, 5
	s_mul_i32 s1, s6, s13
	s_lshl_b32 s6, s7, 7
	s_lshl_b32 s7, s10, 6
	s_wait_alu 0xfffe
	s_lshl_b32 s14, s1, 9
	s_add_co_i32 s6, s7, s6
	s_lshl_b32 s1, s1, 3
	s_add_co_i32 s14, s6, s14
	s_wait_alu 0xfffe
	s_add_co_i32 s1, s10, s1
	v_or_b32_e32 v0, s14, v0
	s_lshl_b32 s4, s4, 3
	s_ashr_i32 s13, s12, 31
	s_wait_alu 0xfffe
	s_add_co_i32 s1, s1, s4
	s_wait_kmcnt 0x0
	v_dual_mov_b32 v6, s11 :: v_dual_add_nc_u32 v3, 0xfffffc00, v0
	s_lshl_b64 s[6:7], s[12:13], 2
	s_wait_alu 0xfffe
	s_add_co_i32 s4, s1, s5
	s_add_nc_u64 s[6:7], s[2:3], s[6:7]
	s_add_co_i32 s1, s9, -1
	s_add_co_i32 s4, s4, -16
.LBB44_3:                               ; =>This Inner Loop Header: Depth=1
	v_ashrrev_i32_e32 v4, 31, v3
	s_ashr_i32 s5, s4, 31
	v_mov_b32_e32 v10, v6
	s_lshl_b64 s[10:11], s[4:5], 3
	s_wait_loadcnt 0x0
	v_mov_b32_e32 v9, v5
	v_lshlrev_b64_e32 v[7:8], 2, v[3:4]
	s_wait_alu 0xfffe
	s_add_nc_u64 s[10:11], s[2:3], s[10:11]
	v_max_num_f32_e64 v4, s0, s0
	s_load_b64 s[10:11], s[10:11], 0x0
	v_add_nc_u32_e32 v3, 0xfffffe00, v3
	v_add_co_u32 v7, vcc_lo, s6, v7
	s_wait_alu 0xfffd
	v_add_co_ci_u32_e64 v8, null, s7, v8, vcc_lo
	v_readfirstlane_b32 s5, v4
	global_load_b32 v0, v[7:8], off
	s_wait_kmcnt 0x0
	v_max_num_f32_e64 v4, s10, s10
	s_delay_alu instid0(VALU_DEP_1) | instskip(SKIP_1) | instid1(SALU_CYCLE_3)
	v_readfirstlane_b32 s9, v4
	s_max_num_f32 s5, s5, s9
	s_sub_f32 s0, s0, s5
	s_sub_f32 s9, s10, s5
	s_wait_alu 0xfffe
	s_delay_alu instid0(SALU_CYCLE_1) | instskip(NEXT) | instid1(SALU_CYCLE_1)
	s_mul_f32 s10, s0, 0x3fb8aa3b
	s_mul_f32 s12, s9, 0x3fb8aa3b
	s_wait_alu 0xfffe
	s_delay_alu instid0(SALU_CYCLE_1)
	s_xor_b32 s13, s10, 0x80000000
	s_rndne_f32 s14, s10
	s_fmamk_f32 s13, s0, 0x3fb8aa3b, s13
	s_cmp_nlt_f32 s0, 0xc2ce8ed0
	s_rndne_f32 s15, s12
	s_wait_alu 0xfffe
	s_sub_f32 s10, s10, s14
	s_fmamk_f32 s13, s0, 0x32a5705f, s13
	s_cvt_i32_f32 s14, s14
	s_cselect_b32 vcc_lo, -1, 0
	s_cmp_ngt_f32 s0, 0x42b17218
	s_wait_alu 0xfffe
	s_add_f32 s10, s10, s13
	s_sub_f32 s13, s12, s15
	s_wait_alu 0xfffe
	s_delay_alu instid0(SALU_CYCLE_1) | instskip(SKIP_1) | instid1(TRANS32_DEP_1)
	v_s_exp_f32 s10, s10
	s_wait_alu 0xf1ff
	v_ldexp_f32 v4, s10, s14
	s_cvt_i32_f32 s10, s15
	s_delay_alu instid0(VALU_DEP_1) | instskip(SKIP_3) | instid1(VALU_DEP_1)
	v_cndmask_b32_e32 v4, 0, v4, vcc_lo
	s_cselect_b32 vcc_lo, -1, 0
	s_cmp_ge_f32 s0, 0xc1a00000
	s_wait_alu 0xfffe
	v_cndmask_b32_e32 v4, 0x7f800000, v4, vcc_lo
	s_cselect_b32 vcc_lo, -1, 0
	s_xor_b32 s0, s12, 0x80000000
	s_cmp_nlt_f32 s9, 0xc2ce8ed0
	s_wait_alu 0xfffe
	s_fmamk_f32 s0, s9, 0x3fb8aa3b, s0
	s_wait_alu 0xfffe
	s_delay_alu instid0(SALU_CYCLE_2) | instskip(SKIP_1) | instid1(SALU_CYCLE_2)
	s_fmamk_f32 s0, s9, 0x32a5705f, s0
	s_wait_alu 0xfffe
	s_add_f32 s0, s13, s0
	s_wait_alu 0xfffe
	s_delay_alu instid0(SALU_CYCLE_2) | instskip(SKIP_1) | instid1(TRANS32_DEP_1)
	v_s_exp_f32 s0, s0
	s_wait_alu 0xf1ff
	v_ldexp_f32 v7, s0, s10
	s_cselect_b32 s0, -1, 0
	s_cmp_ngt_f32 s9, 0x42b17218
	s_wait_alu 0xfffe
	s_delay_alu instid0(VALU_DEP_1) | instskip(SKIP_3) | instid1(VALU_DEP_1)
	v_cndmask_b32_e64 v7, 0, v7, s0
	s_cselect_b32 s0, -1, 0
	s_cmp_ge_f32 s9, 0xc1a00000
	s_wait_alu 0xfffe
	v_cndmask_b32_e64 v7, 0x7f800000, v7, s0
	s_cselect_b32 s0, -1, 0
	s_add_co_i32 s1, s1, -1
	s_add_co_i32 s4, s4, -8
	s_wait_alu 0xfffe
	s_cmp_le_i32 s1, s8
	v_cndmask_b32_e64 v7, 0, v7, s0
	s_mov_b32 s0, s5
	s_wait_loadcnt 0x0
	s_delay_alu instid0(VALU_DEP_1) | instskip(NEXT) | instid1(VALU_DEP_1)
	v_dual_mul_f32 v5, v0, v7 :: v_dual_cndmask_b32 v4, 0, v4
	v_dual_mul_f32 v8, s11, v7 :: v_dual_fmac_f32 v5, v9, v4
	s_delay_alu instid0(VALU_DEP_1) | instskip(NEXT) | instid1(VALU_DEP_1)
	v_mov_b32_e32 v6, v8
	v_fmac_f32_e32 v6, v10, v4
	s_cbranch_scc0 .LBB44_3
	s_branch .LBB44_5
.LBB44_4:
	s_wait_kmcnt 0x0
	v_mov_b32_e32 v6, s11
.LBB44_5:
	s_wait_loadcnt 0x0
	s_delay_alu instid0(VALU_DEP_1) | instskip(NEXT) | instid1(VALU_DEP_1)
	v_div_scale_f32 v0, null, v6, v6, v5
	v_rcp_f32_e32 v3, v0
	s_delay_alu instid0(TRANS32_DEP_1) | instskip(NEXT) | instid1(VALU_DEP_1)
	v_fma_f32 v4, -v0, v3, 1.0
	v_fmac_f32_e32 v3, v4, v3
	v_div_scale_f32 v4, vcc_lo, v5, v6, v5
	s_delay_alu instid0(VALU_DEP_1) | instskip(NEXT) | instid1(VALU_DEP_1)
	v_mul_f32_e32 v7, v4, v3
	v_fma_f32 v8, -v0, v7, v4
	s_delay_alu instid0(VALU_DEP_1) | instskip(NEXT) | instid1(VALU_DEP_1)
	v_fmac_f32_e32 v7, v8, v3
	v_fma_f32 v0, -v0, v7, v4
	s_wait_alu 0xfffd
	s_delay_alu instid0(VALU_DEP_1) | instskip(NEXT) | instid1(VALU_DEP_1)
	v_div_fmas_f32 v0, v0, v3, v7
	v_div_fixup_f32 v0, v0, v6, v5
	global_store_b32 v[1:2], v0, off
.LBB44_6:
	s_endpgm
	.section	.rodata,"a",@progbits
	.p2align	6, 0x0
	.amdhsa_kernel _ZL33flash_attn_stream_k_fixup_uniformILi64ELi4ELi2EEvPfPK15HIP_vector_typeIfLj2EEiiiiiiS1_IjLj3EES5_S5_
		.amdhsa_group_segment_fixed_size 0
		.amdhsa_private_segment_fixed_size 0
		.amdhsa_kernarg_size 76
		.amdhsa_user_sgpr_count 2
		.amdhsa_user_sgpr_dispatch_ptr 0
		.amdhsa_user_sgpr_queue_ptr 0
		.amdhsa_user_sgpr_kernarg_segment_ptr 1
		.amdhsa_user_sgpr_dispatch_id 0
		.amdhsa_user_sgpr_private_segment_size 0
		.amdhsa_wavefront_size32 1
		.amdhsa_uses_dynamic_stack 0
		.amdhsa_enable_private_segment 0
		.amdhsa_system_sgpr_workgroup_id_x 1
		.amdhsa_system_sgpr_workgroup_id_y 1
		.amdhsa_system_sgpr_workgroup_id_z 1
		.amdhsa_system_sgpr_workgroup_info 0
		.amdhsa_system_vgpr_workitem_id 0
		.amdhsa_next_free_vgpr 11
		.amdhsa_next_free_sgpr 16
		.amdhsa_reserve_vcc 1
		.amdhsa_float_round_mode_32 0
		.amdhsa_float_round_mode_16_64 0
		.amdhsa_float_denorm_mode_32 3
		.amdhsa_float_denorm_mode_16_64 3
		.amdhsa_fp16_overflow 0
		.amdhsa_workgroup_processor_mode 1
		.amdhsa_memory_ordered 1
		.amdhsa_forward_progress 1
		.amdhsa_inst_pref_size 9
		.amdhsa_round_robin_scheduling 0
		.amdhsa_exception_fp_ieee_invalid_op 0
		.amdhsa_exception_fp_denorm_src 0
		.amdhsa_exception_fp_ieee_div_zero 0
		.amdhsa_exception_fp_ieee_overflow 0
		.amdhsa_exception_fp_ieee_underflow 0
		.amdhsa_exception_fp_ieee_inexact 0
		.amdhsa_exception_int_div_zero 0
	.end_amdhsa_kernel
	.section	.text._ZL33flash_attn_stream_k_fixup_uniformILi64ELi4ELi2EEvPfPK15HIP_vector_typeIfLj2EEiiiiiiS1_IjLj3EES5_S5_,"axG",@progbits,_ZL33flash_attn_stream_k_fixup_uniformILi64ELi4ELi2EEvPfPK15HIP_vector_typeIfLj2EEiiiiiiS1_IjLj3EES5_S5_,comdat
.Lfunc_end44:
	.size	_ZL33flash_attn_stream_k_fixup_uniformILi64ELi4ELi2EEvPfPK15HIP_vector_typeIfLj2EEiiiiiiS1_IjLj3EES5_S5_, .Lfunc_end44-_ZL33flash_attn_stream_k_fixup_uniformILi64ELi4ELi2EEvPfPK15HIP_vector_typeIfLj2EEiiiiiiS1_IjLj3EES5_S5_
                                        ; -- End function
	.set _ZL33flash_attn_stream_k_fixup_uniformILi64ELi4ELi2EEvPfPK15HIP_vector_typeIfLj2EEiiiiiiS1_IjLj3EES5_S5_.num_vgpr, 11
	.set _ZL33flash_attn_stream_k_fixup_uniformILi64ELi4ELi2EEvPfPK15HIP_vector_typeIfLj2EEiiiiiiS1_IjLj3EES5_S5_.num_agpr, 0
	.set _ZL33flash_attn_stream_k_fixup_uniformILi64ELi4ELi2EEvPfPK15HIP_vector_typeIfLj2EEiiiiiiS1_IjLj3EES5_S5_.numbered_sgpr, 16
	.set _ZL33flash_attn_stream_k_fixup_uniformILi64ELi4ELi2EEvPfPK15HIP_vector_typeIfLj2EEiiiiiiS1_IjLj3EES5_S5_.num_named_barrier, 0
	.set _ZL33flash_attn_stream_k_fixup_uniformILi64ELi4ELi2EEvPfPK15HIP_vector_typeIfLj2EEiiiiiiS1_IjLj3EES5_S5_.private_seg_size, 0
	.set _ZL33flash_attn_stream_k_fixup_uniformILi64ELi4ELi2EEvPfPK15HIP_vector_typeIfLj2EEiiiiiiS1_IjLj3EES5_S5_.uses_vcc, 1
	.set _ZL33flash_attn_stream_k_fixup_uniformILi64ELi4ELi2EEvPfPK15HIP_vector_typeIfLj2EEiiiiiiS1_IjLj3EES5_S5_.uses_flat_scratch, 0
	.set _ZL33flash_attn_stream_k_fixup_uniformILi64ELi4ELi2EEvPfPK15HIP_vector_typeIfLj2EEiiiiiiS1_IjLj3EES5_S5_.has_dyn_sized_stack, 0
	.set _ZL33flash_attn_stream_k_fixup_uniformILi64ELi4ELi2EEvPfPK15HIP_vector_typeIfLj2EEiiiiiiS1_IjLj3EES5_S5_.has_recursion, 0
	.set _ZL33flash_attn_stream_k_fixup_uniformILi64ELi4ELi2EEvPfPK15HIP_vector_typeIfLj2EEiiiiiiS1_IjLj3EES5_S5_.has_indirect_call, 0
	.section	.AMDGPU.csdata,"",@progbits
; Kernel info:
; codeLenInByte = 1140
; TotalNumSgprs: 18
; NumVgprs: 11
; ScratchSize: 0
; MemoryBound: 0
; FloatMode: 240
; IeeeMode: 1
; LDSByteSize: 0 bytes/workgroup (compile time only)
; SGPRBlocks: 0
; VGPRBlocks: 1
; NumSGPRsForWavesPerEU: 18
; NumVGPRsForWavesPerEU: 11
; Occupancy: 16
; WaveLimiterHint : 0
; COMPUTE_PGM_RSRC2:SCRATCH_EN: 0
; COMPUTE_PGM_RSRC2:USER_SGPR: 2
; COMPUTE_PGM_RSRC2:TRAP_HANDLER: 0
; COMPUTE_PGM_RSRC2:TGID_X_EN: 1
; COMPUTE_PGM_RSRC2:TGID_Y_EN: 1
; COMPUTE_PGM_RSRC2:TGID_Z_EN: 1
; COMPUTE_PGM_RSRC2:TIDIG_COMP_CNT: 0
	.section	.text._ZL33flash_attn_stream_k_fixup_generalILi64ELi4ELi2EEvPfPK15HIP_vector_typeIfLj2EEiiiiS1_IjLj3EES5_S5_S5_,"axG",@progbits,_ZL33flash_attn_stream_k_fixup_generalILi64ELi4ELi2EEvPfPK15HIP_vector_typeIfLj2EEiiiiS1_IjLj3EES5_S5_S5_,comdat
	.globl	_ZL33flash_attn_stream_k_fixup_generalILi64ELi4ELi2EEvPfPK15HIP_vector_typeIfLj2EEiiiiS1_IjLj3EES5_S5_S5_ ; -- Begin function _ZL33flash_attn_stream_k_fixup_generalILi64ELi4ELi2EEvPfPK15HIP_vector_typeIfLj2EEiiiiS1_IjLj3EES5_S5_S5_
	.p2align	8
	.type	_ZL33flash_attn_stream_k_fixup_generalILi64ELi4ELi2EEvPfPK15HIP_vector_typeIfLj2EEiiiiS1_IjLj3EES5_S5_S5_,@function
_ZL33flash_attn_stream_k_fixup_generalILi64ELi4ELi2EEvPfPK15HIP_vector_typeIfLj2EEiiiiS1_IjLj3EES5_S5_S5_: ; @_ZL33flash_attn_stream_k_fixup_generalILi64ELi4ELi2EEvPfPK15HIP_vector_typeIfLj2EEiiiiS1_IjLj3EES5_S5_S5_
; %bb.0:
	s_clause 0x1
	s_load_b128 s[4:7], s[0:1], 0x10
	s_load_b32 s16, s[0:1], 0x50
	s_mov_b32 s2, ttmp9
	s_ashr_i32 s3, ttmp9, 31
	s_mov_b32 s17, 0
	s_delay_alu instid0(SALU_CYCLE_1) | instskip(SKIP_3) | instid1(SALU_CYCLE_1)
	s_mov_b32 s8, s17
	s_wait_kmcnt 0x0
	s_ashr_i32 s19, s7, 31
	s_mov_b32 s18, s7
	s_mul_u64 s[2:3], s[18:19], s[2:3]
	s_delay_alu instid0(SALU_CYCLE_1) | instskip(NEXT) | instid1(SALU_CYCLE_1)
	s_mov_b32 s9, s3
	s_cmp_lg_u64 s[8:9], 0
	s_cbranch_scc0 .LBB45_21
; %bb.1:
	s_add_nc_u64 s[8:9], s[16:17], 0
	s_mov_b32 s15, s17
	s_xor_b64 s[8:9], s[8:9], 0
	s_mov_b32 s23, s17
	s_cvt_f32_u32 s7, s8
	s_cvt_f32_u32 s10, s9
	s_sub_nc_u64 s[12:13], 0, s[8:9]
	s_delay_alu instid0(SALU_CYCLE_2) | instskip(NEXT) | instid1(SALU_CYCLE_3)
	s_fmamk_f32 s7, s10, 0x4f800000, s7
	v_s_rcp_f32 s7, s7
	s_delay_alu instid0(TRANS32_DEP_1) | instskip(SKIP_1) | instid1(SALU_CYCLE_2)
	s_mul_f32 s7, s7, 0x5f7ffffc
	s_wait_alu 0xfffe
	s_mul_f32 s10, s7, 0x2f800000
	s_delay_alu instid0(SALU_CYCLE_3) | instskip(NEXT) | instid1(SALU_CYCLE_3)
	s_trunc_f32 s10, s10
	s_fmamk_f32 s7, s10, 0xcf800000, s7
	s_cvt_u32_f32 s11, s10
	s_wait_alu 0xfffe
	s_delay_alu instid0(SALU_CYCLE_1) | instskip(NEXT) | instid1(SALU_CYCLE_3)
	s_cvt_u32_f32 s10, s7
	s_mul_u64 s[20:21], s[12:13], s[10:11]
	s_delay_alu instid0(SALU_CYCLE_1)
	s_mul_hi_u32 s25, s10, s21
	s_mul_i32 s24, s10, s21
	s_mul_hi_u32 s14, s10, s20
	s_mul_i32 s22, s11, s20
	s_add_nc_u64 s[14:15], s[14:15], s[24:25]
	s_mul_hi_u32 s7, s11, s20
	s_mul_hi_u32 s26, s11, s21
	s_add_co_u32 s14, s14, s22
	s_wait_alu 0xfffe
	s_add_co_ci_u32 s22, s15, s7
	s_mul_i32 s20, s11, s21
	s_add_co_ci_u32 s21, s26, 0
	s_delay_alu instid0(SALU_CYCLE_1)
	s_add_nc_u64 s[14:15], s[22:23], s[20:21]
	s_mov_b32 s21, s17
	s_add_co_u32 s10, s10, s14
	s_cselect_b32 s7, -1, 0
	s_wait_alu 0xfffe
	s_cmp_lg_u32 s7, 0
	s_add_co_ci_u32 s11, s11, s15
	s_mov_b32 s15, s17
	s_mul_u64 s[12:13], s[12:13], s[10:11]
	s_delay_alu instid0(SALU_CYCLE_1)
	s_mul_hi_u32 s23, s10, s13
	s_mul_i32 s22, s10, s13
	s_mul_hi_u32 s14, s10, s12
	s_mul_i32 s20, s11, s12
	s_add_nc_u64 s[14:15], s[14:15], s[22:23]
	s_mul_hi_u32 s7, s11, s12
	s_mul_hi_u32 s24, s11, s13
	s_mul_i32 s12, s11, s13
	s_add_co_u32 s13, s14, s20
	s_wait_alu 0xfffe
	s_add_co_ci_u32 s20, s15, s7
	s_add_co_ci_u32 s13, s24, 0
	s_mov_b32 s15, s17
	s_add_nc_u64 s[12:13], s[20:21], s[12:13]
	s_delay_alu instid0(SALU_CYCLE_1) | instskip(SKIP_1) | instid1(SALU_CYCLE_1)
	s_add_co_u32 s7, s10, s12
	s_cselect_b32 s10, -1, 0
	s_cmp_lg_u32 s10, 0
	s_add_co_ci_u32 s20, s11, s13
	s_ashr_i32 s10, s3, 31
	s_delay_alu instid0(SALU_CYCLE_1) | instskip(NEXT) | instid1(SALU_CYCLE_1)
	s_mov_b32 s11, s10
	s_add_nc_u64 s[12:13], s[2:3], s[10:11]
	s_delay_alu instid0(SALU_CYCLE_1) | instskip(NEXT) | instid1(SALU_CYCLE_1)
	s_xor_b64 s[12:13], s[12:13], s[10:11]
	s_mul_hi_u32 s23, s12, s20
	s_mul_i32 s22, s12, s20
	s_wait_alu 0xfffe
	s_mul_hi_u32 s14, s12, s7
	s_mul_hi_u32 s24, s13, s7
	s_mul_i32 s7, s13, s7
	s_add_nc_u64 s[14:15], s[14:15], s[22:23]
	s_mul_hi_u32 s3, s13, s20
	s_wait_alu 0xfffe
	s_add_co_u32 s7, s14, s7
	s_mul_i32 s22, s13, s20
	s_add_co_ci_u32 s20, s15, s24
	s_add_co_ci_u32 s23, s3, 0
	s_delay_alu instid0(SALU_CYCLE_1) | instskip(NEXT) | instid1(SALU_CYCLE_1)
	s_add_nc_u64 s[14:15], s[20:21], s[22:23]
	s_mul_u64 s[20:21], s[8:9], s[14:15]
	s_delay_alu instid0(SALU_CYCLE_1)
	s_sub_co_u32 s3, s12, s20
	s_cselect_b32 s7, -1, 0
	s_sub_co_i32 s12, s13, s21
	s_wait_alu 0xfffe
	s_cmp_lg_u32 s7, 0
	s_sub_co_ci_u32 s12, s12, s9
	s_sub_co_u32 s20, s3, s8
	s_cselect_b32 s22, -1, 0
	s_delay_alu instid0(SALU_CYCLE_1) | instskip(SKIP_2) | instid1(SALU_CYCLE_1)
	s_cmp_lg_u32 s22, 0
	s_add_nc_u64 s[22:23], s[14:15], 1
	s_sub_co_ci_u32 s12, s12, 0
	s_cmp_ge_u32 s12, s9
	s_cselect_b32 s24, -1, 0
	s_cmp_ge_u32 s20, s8
	s_cselect_b32 s20, -1, 0
	s_cmp_eq_u32 s12, s9
	s_cselect_b32 s12, s20, s24
	s_add_nc_u64 s[24:25], s[14:15], 2
	s_cmp_lg_u32 s12, 0
	s_cselect_b32 s12, s24, s22
	s_cselect_b32 s20, s25, s23
	s_cmp_lg_u32 s7, 0
	s_sub_co_ci_u32 s7, s13, s21
	s_wait_alu 0xfffe
	s_cmp_ge_u32 s7, s9
	s_cselect_b32 s13, -1, 0
	s_cmp_ge_u32 s3, s8
	s_cselect_b32 s3, -1, 0
	s_cmp_eq_u32 s7, s9
	s_cselect_b32 s3, s3, s13
	s_delay_alu instid0(SALU_CYCLE_1) | instskip(SKIP_4) | instid1(SALU_CYCLE_1)
	s_cmp_lg_u32 s3, 0
	s_mov_b32 s3, s17
	s_cselect_b32 s9, s20, s15
	s_cselect_b32 s8, s12, s14
	s_xor_b64 s[10:11], s[10:11], 0
	s_xor_b64 s[8:9], s[8:9], s[10:11]
	s_delay_alu instid0(SALU_CYCLE_1)
	s_sub_nc_u64 s[20:21], s[8:9], s[10:11]
	s_and_not1_b32 vcc_lo, exec_lo, s3
	s_cbranch_vccnz .LBB45_3
.LBB45_2:
	v_cvt_f32_u32_e32 v1, s16
	s_sub_co_i32 s7, 0, s16
	s_delay_alu instid0(VALU_DEP_1) | instskip(NEXT) | instid1(TRANS32_DEP_1)
	v_rcp_iflag_f32_e32 v1, v1
	v_mul_f32_e32 v1, 0x4f7ffffe, v1
	s_delay_alu instid0(VALU_DEP_1) | instskip(NEXT) | instid1(VALU_DEP_1)
	v_cvt_u32_f32_e32 v1, v1
	v_readfirstlane_b32 s3, v1
	s_wait_alu 0xfffe
	s_mul_i32 s7, s7, s3
	s_wait_alu 0xfffe
	s_mul_hi_u32 s7, s3, s7
	s_wait_alu 0xfffe
	s_add_co_i32 s3, s3, s7
	s_delay_alu instid0(SALU_CYCLE_1) | instskip(NEXT) | instid1(SALU_CYCLE_1)
	s_mul_hi_u32 s3, s2, s3
	s_mul_i32 s7, s3, s16
	s_wait_alu 0xfffe
	s_sub_co_i32 s2, s2, s7
	s_add_co_i32 s7, s3, 1
	s_sub_co_i32 s8, s2, s16
	s_cmp_ge_u32 s2, s16
	s_wait_alu 0xfffe
	s_cselect_b32 s3, s7, s3
	s_cselect_b32 s2, s8, s2
	s_add_co_i32 s7, s3, 1
	s_cmp_ge_u32 s2, s16
	s_wait_alu 0xfffe
	s_cselect_b32 s20, s7, s3
.LBB45_3:
	s_add_co_i32 s2, ttmp9, 1
	s_mov_b32 s8, 0
	s_ashr_i32 s3, s2, 31
	s_delay_alu instid0(SALU_CYCLE_1) | instskip(NEXT) | instid1(SALU_CYCLE_1)
	s_mul_u64 s[2:3], s[18:19], s[2:3]
	s_mov_b32 s9, s3
	s_delay_alu instid0(SALU_CYCLE_1)
	s_cmp_lg_u64 s[8:9], 0
	s_cbranch_scc0 .LBB45_22
; %bb.4:
	s_add_nc_u64 s[10:11], s[16:17], 0
	s_mov_b32 s23, s8
	s_xor_b64 s[10:11], s[10:11], 0
	s_mov_b32 s27, s8
	s_cvt_f32_u32 s7, s10
	s_cvt_f32_u32 s9, s11
	s_sub_nc_u64 s[14:15], 0, s[10:11]
	s_wait_alu 0xfffe
	s_delay_alu instid0(SALU_CYCLE_1) | instskip(SKIP_1) | instid1(SALU_CYCLE_2)
	s_fmamk_f32 s7, s9, 0x4f800000, s7
	s_wait_alu 0xfffe
	v_s_rcp_f32 s7, s7
	s_delay_alu instid0(TRANS32_DEP_1) | instskip(SKIP_1) | instid1(SALU_CYCLE_2)
	s_mul_f32 s7, s7, 0x5f7ffffc
	s_wait_alu 0xfffe
	s_mul_f32 s9, s7, 0x2f800000
	s_delay_alu instid0(SALU_CYCLE_3) | instskip(NEXT) | instid1(SALU_CYCLE_3)
	s_trunc_f32 s9, s9
	s_fmamk_f32 s7, s9, 0xcf800000, s7
	s_cvt_u32_f32 s13, s9
	s_wait_alu 0xfffe
	s_delay_alu instid0(SALU_CYCLE_1) | instskip(NEXT) | instid1(SALU_CYCLE_3)
	s_cvt_u32_f32 s12, s7
	s_mul_u64 s[24:25], s[14:15], s[12:13]
	s_delay_alu instid0(SALU_CYCLE_1)
	s_mul_hi_u32 s29, s12, s25
	s_mul_i32 s28, s12, s25
	s_mul_hi_u32 s22, s12, s24
	s_mul_i32 s9, s13, s24
	s_add_nc_u64 s[22:23], s[22:23], s[28:29]
	s_mul_hi_u32 s7, s13, s24
	s_mul_hi_u32 s21, s13, s25
	s_add_co_u32 s9, s22, s9
	s_wait_alu 0xfffe
	s_add_co_ci_u32 s26, s23, s7
	s_mul_i32 s24, s13, s25
	s_add_co_ci_u32 s25, s21, 0
	s_delay_alu instid0(SALU_CYCLE_1)
	s_add_nc_u64 s[22:23], s[26:27], s[24:25]
	s_mov_b32 s25, s8
	s_add_co_u32 s12, s12, s22
	s_cselect_b32 s7, -1, 0
	s_wait_alu 0xfffe
	s_cmp_lg_u32 s7, 0
	s_add_co_ci_u32 s13, s13, s23
	s_mov_b32 s23, s8
	s_mul_u64 s[14:15], s[14:15], s[12:13]
	s_delay_alu instid0(SALU_CYCLE_1)
	s_mul_hi_u32 s27, s12, s15
	s_mul_i32 s26, s12, s15
	s_mul_hi_u32 s22, s12, s14
	s_mul_i32 s9, s13, s14
	s_add_nc_u64 s[22:23], s[22:23], s[26:27]
	s_mul_hi_u32 s7, s13, s14
	s_mul_hi_u32 s21, s13, s15
	s_add_co_u32 s9, s22, s9
	s_wait_alu 0xfffe
	s_add_co_ci_u32 s24, s23, s7
	s_mul_i32 s14, s13, s15
	s_add_co_ci_u32 s15, s21, 0
	s_mov_b32 s23, s8
	s_add_nc_u64 s[14:15], s[24:25], s[14:15]
	s_delay_alu instid0(SALU_CYCLE_1) | instskip(SKIP_1) | instid1(SALU_CYCLE_1)
	s_add_co_u32 s7, s12, s14
	s_cselect_b32 s9, -1, 0
	s_cmp_lg_u32 s9, 0
	s_add_co_ci_u32 s9, s13, s15
	s_ashr_i32 s12, s3, 31
	s_delay_alu instid0(SALU_CYCLE_1) | instskip(NEXT) | instid1(SALU_CYCLE_1)
	s_mov_b32 s13, s12
	s_add_nc_u64 s[14:15], s[2:3], s[12:13]
	s_delay_alu instid0(SALU_CYCLE_1) | instskip(NEXT) | instid1(SALU_CYCLE_1)
	s_xor_b64 s[14:15], s[14:15], s[12:13]
	s_mul_hi_u32 s27, s14, s9
	s_mul_i32 s26, s14, s9
	s_wait_alu 0xfffe
	s_mul_hi_u32 s22, s14, s7
	s_mul_hi_u32 s21, s15, s7
	s_mul_i32 s7, s15, s7
	s_add_nc_u64 s[22:23], s[22:23], s[26:27]
	s_mul_hi_u32 s3, s15, s9
	s_wait_alu 0xfffe
	s_add_co_u32 s7, s22, s7
	s_add_co_ci_u32 s24, s23, s21
	s_mul_i32 s26, s15, s9
	s_add_co_ci_u32 s27, s3, 0
	s_delay_alu instid0(SALU_CYCLE_1) | instskip(NEXT) | instid1(SALU_CYCLE_1)
	s_add_nc_u64 s[22:23], s[24:25], s[26:27]
	s_mul_u64 s[24:25], s[10:11], s[22:23]
	s_add_nc_u64 s[26:27], s[22:23], 1
	s_sub_co_u32 s3, s14, s24
	s_cselect_b32 s7, -1, 0
	s_sub_co_i32 s9, s15, s25
	s_wait_alu 0xfffe
	s_cmp_lg_u32 s7, 0
	s_add_nc_u64 s[28:29], s[22:23], 2
	s_sub_co_ci_u32 s9, s9, s11
	s_sub_co_u32 s14, s3, s10
	s_cselect_b32 s21, -1, 0
	s_delay_alu instid0(SALU_CYCLE_1) | instskip(SKIP_1) | instid1(SALU_CYCLE_1)
	s_cmp_lg_u32 s21, 0
	s_sub_co_ci_u32 s9, s9, 0
	s_cmp_ge_u32 s9, s11
	s_cselect_b32 s21, -1, 0
	s_cmp_ge_u32 s14, s10
	s_cselect_b32 s14, -1, 0
	s_cmp_eq_u32 s9, s11
	s_cselect_b32 s9, s14, s21
	s_delay_alu instid0(SALU_CYCLE_1)
	s_cmp_lg_u32 s9, 0
	s_cselect_b32 s9, s28, s26
	s_cselect_b32 s14, s29, s27
	s_cmp_lg_u32 s7, 0
	s_sub_co_ci_u32 s7, s15, s25
	s_wait_alu 0xfffe
	s_cmp_ge_u32 s7, s11
	s_cselect_b32 s15, -1, 0
	s_cmp_ge_u32 s3, s10
	s_cselect_b32 s3, -1, 0
	s_cmp_eq_u32 s7, s11
	s_cselect_b32 s3, s3, s15
	s_delay_alu instid0(SALU_CYCLE_1) | instskip(SKIP_3) | instid1(SALU_CYCLE_1)
	s_cmp_lg_u32 s3, 0
	s_cselect_b32 s11, s14, s23
	s_cselect_b32 s10, s9, s22
	s_xor_b64 s[12:13], s[12:13], 0
	s_xor_b64 s[10:11], s[10:11], s[12:13]
	s_delay_alu instid0(SALU_CYCLE_1)
	s_sub_nc_u64 s[10:11], s[10:11], s[12:13]
	s_load_b96 s[12:14], s[0:1], 0x44
	s_and_not1_b32 vcc_lo, exec_lo, s8
	s_cbranch_vccnz .LBB45_6
.LBB45_5:
	v_cvt_f32_u32_e32 v1, s16
	s_sub_co_i32 s7, 0, s16
	s_delay_alu instid0(VALU_DEP_1) | instskip(NEXT) | instid1(TRANS32_DEP_1)
	v_rcp_iflag_f32_e32 v1, v1
	v_mul_f32_e32 v1, 0x4f7ffffe, v1
	s_delay_alu instid0(VALU_DEP_1) | instskip(NEXT) | instid1(VALU_DEP_1)
	v_cvt_u32_f32_e32 v1, v1
	v_readfirstlane_b32 s3, v1
	s_wait_alu 0xfffe
	s_mul_i32 s7, s7, s3
	s_wait_alu 0xfffe
	s_mul_hi_u32 s7, s3, s7
	s_wait_alu 0xfffe
	s_add_co_i32 s3, s3, s7
	s_delay_alu instid0(SALU_CYCLE_1) | instskip(NEXT) | instid1(SALU_CYCLE_1)
	s_mul_hi_u32 s3, s2, s3
	s_mul_i32 s7, s3, s16
	s_wait_alu 0xfffe
	s_sub_co_i32 s2, s2, s7
	s_add_co_i32 s7, s3, 1
	s_sub_co_i32 s8, s2, s16
	s_cmp_ge_u32 s2, s16
	s_wait_alu 0xfffe
	s_cselect_b32 s3, s7, s3
	s_cselect_b32 s2, s8, s2
	s_add_co_i32 s7, s3, 1
	s_cmp_ge_u32 s2, s16
	s_wait_alu 0xfffe
	s_cselect_b32 s10, s7, s3
.LBB45_6:
	s_mov_b32 s21, 0
	s_wait_kmcnt 0x0
	s_mov_b32 s22, s12
	s_mov_b32 s23, s21
	s_cmp_eq_u32 s20, s10
	s_mul_u64 s[2:3], s[20:21], s[22:23]
	s_cselect_b32 s7, -1, 0
	s_add_co_i32 s2, s3, s20
	s_mov_b32 s11, s21
	s_lshr_b32 s12, s2, s13
	s_mul_u64 s[2:3], s[10:11], s[22:23]
	s_mul_i32 s2, s12, s14
	s_delay_alu instid0(SALU_CYCLE_1) | instskip(SKIP_2) | instid1(SALU_CYCLE_1)
	s_cmp_eq_u32 s2, s20
	s_cselect_b32 s2, -1, 0
	s_add_co_i32 s3, s3, s10
	s_lshr_b32 s3, s3, s13
	s_delay_alu instid0(SALU_CYCLE_1)
	s_cmp_eq_u32 s12, s3
	s_mul_i32 s3, s3, s14
	s_cselect_b32 s8, -1, 0
	s_cmp_lg_u32 s3, s10
	s_cselect_b32 s3, -1, 0
	s_wait_alu 0xfffe
	s_or_b32 s2, s7, s2
	s_and_b32 s3, s8, s3
	s_delay_alu instid0(SALU_CYCLE_1) | instskip(NEXT) | instid1(SALU_CYCLE_1)
	s_or_b32 s2, s2, s3
	s_and_b32 vcc_lo, exec_lo, s2
	s_cbranch_vccnz .LBB45_24
; %bb.7:
	s_load_b256 s[24:31], s[0:1], 0x20
	s_mov_b32 s3, s21
	s_wait_kmcnt 0x0
	s_mov_b32 s2, s24
	s_delay_alu instid0(SALU_CYCLE_1) | instskip(NEXT) | instid1(SALU_CYCLE_1)
	s_mul_u64 s[2:3], s[20:21], s[2:3]
	s_add_co_i32 s2, s3, s20
	s_delay_alu instid0(SALU_CYCLE_1) | instskip(SKIP_2) | instid1(SALU_CYCLE_1)
	s_lshr_b32 s7, s2, s25
	s_load_b32 s2, s[0:1], 0x40
	s_mul_i32 s3, s7, s26
	s_sub_co_i32 s3, s20, s3
	s_delay_alu instid0(SALU_CYCLE_1) | instskip(NEXT) | instid1(SALU_CYCLE_1)
	s_mul_hi_u32 s8, s3, s27
	s_add_co_i32 s8, s3, s8
	s_delay_alu instid0(SALU_CYCLE_1) | instskip(NEXT) | instid1(SALU_CYCLE_1)
	s_lshr_b32 s8, s8, s28
	s_mul_i32 s9, s8, s29
	s_delay_alu instid0(SALU_CYCLE_1) | instskip(NEXT) | instid1(SALU_CYCLE_1)
	s_sub_co_i32 s9, s3, s9
	s_mul_hi_u32 s3, s9, s30
	s_delay_alu instid0(SALU_CYCLE_1) | instskip(NEXT) | instid1(SALU_CYCLE_1)
	s_add_co_i32 s3, s9, s3
	s_lshr_b32 s24, s3, s31
	s_mov_b32 s3, s21
	s_wait_kmcnt 0x0
	s_mul_i32 s2, s24, s2
	s_lshl_b32 s21, s24, 1
	s_sub_co_i32 s2, s9, s2
	s_delay_alu instid0(SALU_CYCLE_1) | instskip(SKIP_2) | instid1(SALU_CYCLE_1)
	s_mul_u64 s[10:11], s[2:3], s[22:23]
	s_lshr_b32 s3, ttmp7, 16
	s_add_co_i32 s2, s2, s11
	s_lshr_b32 s15, s2, s13
	s_and_b32 s2, ttmp7, 0xffff
	s_lshl_b32 s9, s15, 2
	s_delay_alu instid0(SALU_CYCLE_1) | instskip(NEXT) | instid1(SALU_CYCLE_1)
	s_add_co_i32 s9, s9, s2
	s_cmp_lt_i32 s9, s4
	s_cselect_b32 s9, -1, 0
	s_add_co_i32 s10, s21, s3
	s_delay_alu instid0(SALU_CYCLE_1) | instskip(SKIP_1) | instid1(SALU_CYCLE_1)
	s_cmp_lt_i32 s10, s6
	s_cselect_b32 s10, -1, 0
	s_and_b32 s9, s9, s10
	s_delay_alu instid0(SALU_CYCLE_1)
	s_and_not1_b32 vcc_lo, exec_lo, s9
	s_cbranch_vccnz .LBB45_24
; %bb.8:
	s_mul_i32 s4, s7, s4
	s_mul_i32 s6, s8, s6
	s_add_co_i32 s4, s4, s2
	s_load_b128 s[8:11], s[0:1], 0x0
	s_mul_i32 s4, s4, s5
	s_mul_i32 s1, s5, s15
	s_add_co_i32 s4, s4, s3
	s_lshl_b32 s1, s1, 8
	s_add_co_i32 s0, s4, s6
	s_lshl_b32 s15, s2, 1
	s_add_co_i32 s0, s0, s21
	s_add_co_i32 s15, s15, s3
	s_lshl_b32 s0, s0, 6
	v_cvt_f32_u32_e32 v4, s16
	s_add_co_i32 s1, s1, s0
	s_add_co_i32 s34, ttmp9, -1
	v_or_b32_e32 v1, s1, v0
	s_add_nc_u64 s[0:1], s[16:17], 0
	v_rcp_iflag_f32_e32 v4, v4
	s_wait_alu 0xfffe
	s_xor_b64 s[6:7], s[0:1], 0
	s_lshl_b32 s0, ttmp9, 3
	v_ashrrev_i32_e32 v2, 31, v1
	s_wait_alu 0xfffe
	s_cvt_f32_u32 s1, s6
	s_cvt_f32_u32 s2, s7
	s_add_co_i32 s0, s15, s0
	v_lshl_or_b32 v0, s15, 6, v0
	v_lshlrev_b64_e32 v[1:2], 2, v[1:2]
	s_wait_alu 0xfffe
	s_fmamk_f32 s2, s2, 0x4f800000, s1
	s_ashr_i32 s1, s0, 31
	s_sub_nc_u64 s[30:31], 0, s[6:7]
	s_wait_alu 0xfffe
	s_lshl_b64 s[0:1], s[0:1], 3
	v_s_rcp_f32 s2, s2
	s_wait_kmcnt 0x0
	v_add_co_u32 v1, vcc_lo, s8, v1
	s_delay_alu instid0(VALU_DEP_1)
	v_add_co_ci_u32_e64 v2, null, s9, v2, vcc_lo
	s_wait_alu 0xfffe
	s_add_nc_u64 s[0:1], s[10:11], s[0:1]
	s_mov_b32 s8, 0
	s_load_b64 s[26:27], s[0:1], 0x0
	global_load_b32 v3, v[1:2], off
	s_mul_f32 s2, s2, 0x5f7ffffc
	v_mul_f32_e32 v4, 0x4f7ffffe, v4
	s_lshl_b32 s0, s16, 5
	s_wait_alu 0xfffe
	s_mul_f32 s1, s2, 0x2f800000
	s_wait_alu 0xfffe
	s_delay_alu instid0(SALU_CYCLE_2)
	s_trunc_f32 s3, s1
	s_mov_b32 s1, s8
	s_wait_alu 0xfffe
	s_lshl_b64 s[0:1], s[0:1], 2
	s_fmamk_f32 s2, s3, 0xcf800000, s2
	s_cvt_u32_f32 s29, s3
	s_wait_alu 0xfffe
	s_add_nc_u64 s[24:25], s[10:11], s[0:1]
	s_cvt_u32_f32 s28, s2
	s_wait_kmcnt 0x0
	v_mov_b32_e32 v5, s27
	v_cvt_u32_f32_e32 v4, v4
.LBB45_9:                               ; =>This Inner Loop Header: Depth=1
	s_wait_alu 0xfffe
	s_ashr_i32 s35, s34, 31
	s_mov_b32 s2, -1
	s_wait_alu 0xfffe
	s_mul_u64 s[0:1], s[34:35], s[18:19]
                                        ; implicit-def: $sgpr38_sgpr39
	s_wait_alu 0xfffe
	s_mov_b32 s9, s1
	s_wait_alu 0xfffe
	s_cmp_lg_u64 s[8:9], 0
	s_cbranch_scc0 .LBB45_11
; %bb.10:                               ;   in Loop: Header=BB45_9 Depth=1
	s_mul_u64 s[2:3], s[30:31], s[28:29]
	s_mov_b32 s37, s8
	s_wait_alu 0xfffe
	s_mul_hi_u32 s5, s28, s3
	s_mul_i32 s4, s28, s3
	s_mul_hi_u32 s36, s28, s2
	s_mul_hi_u32 s9, s29, s2
	s_wait_alu 0xfffe
	s_add_nc_u64 s[4:5], s[36:37], s[4:5]
	s_mul_i32 s2, s29, s2
	s_mul_hi_u32 s17, s29, s3
	s_wait_alu 0xfffe
	s_add_co_u32 s2, s4, s2
	s_add_co_ci_u32 s2, s5, s9
	s_add_co_ci_u32 s5, s17, 0
	s_mul_i32 s4, s29, s3
	s_mov_b32 s3, s8
	s_mov_b32 s39, s8
	s_wait_alu 0xfffe
	s_add_nc_u64 s[2:3], s[2:3], s[4:5]
	s_wait_alu 0xfffe
	s_add_co_u32 s2, s28, s2
	s_cselect_b32 s4, -1, 0
	s_wait_alu 0xfffe
	s_cmp_lg_u32 s4, 0
	s_add_co_ci_u32 s3, s29, s3
	s_wait_alu 0xfffe
	s_mul_u64 s[4:5], s[30:31], s[2:3]
	s_wait_alu 0xfffe
	s_mul_hi_u32 s37, s2, s5
	s_mul_i32 s36, s2, s5
	s_mul_hi_u32 s38, s2, s4
	s_mul_hi_u32 s9, s3, s4
	s_mul_i32 s4, s3, s4
	s_wait_alu 0xfffe
	s_add_nc_u64 s[36:37], s[38:39], s[36:37]
	s_mul_hi_u32 s17, s3, s5
	s_wait_alu 0xfffe
	s_add_co_u32 s4, s36, s4
	s_add_co_ci_u32 s4, s37, s9
	s_add_co_ci_u32 s37, s17, 0
	s_mul_i32 s36, s3, s5
	s_mov_b32 s5, s8
	s_wait_alu 0xfffe
	s_add_nc_u64 s[4:5], s[4:5], s[36:37]
	s_mov_b32 s37, s8
	s_wait_alu 0xfffe
	s_add_co_u32 s9, s2, s4
	s_cselect_b32 s2, -1, 0
	s_wait_alu 0xfffe
	s_cmp_lg_u32 s2, 0
	s_add_co_ci_u32 s17, s3, s5
	s_ashr_i32 s2, s1, 31
	s_wait_alu 0xfffe
	s_mov_b32 s3, s2
	s_wait_alu 0xfffe
	s_add_nc_u64 s[4:5], s[0:1], s[2:3]
	s_wait_alu 0xfffe
	s_xor_b64 s[4:5], s[4:5], s[2:3]
	s_wait_alu 0xfffe
	s_mul_hi_u32 s39, s4, s17
	s_mul_i32 s38, s4, s17
	s_mul_hi_u32 s36, s4, s9
	s_mul_i32 s21, s5, s9
	s_wait_alu 0xfffe
	s_add_nc_u64 s[36:37], s[36:37], s[38:39]
	s_mul_hi_u32 s9, s5, s9
	s_mul_hi_u32 s1, s5, s17
	s_wait_alu 0xfffe
	s_add_co_u32 s21, s36, s21
	s_add_co_ci_u32 s36, s37, s9
	s_add_co_ci_u32 s39, s1, 0
	s_mul_i32 s38, s5, s17
	s_mov_b32 s37, s8
	s_wait_alu 0xfffe
	s_add_nc_u64 s[36:37], s[36:37], s[38:39]
	s_wait_alu 0xfffe
	s_mul_u64 s[38:39], s[6:7], s[36:37]
	s_add_nc_u64 s[40:41], s[36:37], 1
	s_sub_co_u32 s1, s4, s38
	s_cselect_b32 s4, -1, 0
	s_sub_co_i32 s9, s5, s39
	s_wait_alu 0xfffe
	s_cmp_lg_u32 s4, 0
	s_add_nc_u64 s[42:43], s[36:37], 2
	s_sub_co_ci_u32 s9, s9, s7
	s_sub_co_u32 s17, s1, s6
	s_cselect_b32 s21, -1, 0
	s_delay_alu instid0(SALU_CYCLE_1)
	s_cmp_lg_u32 s21, 0
	s_wait_alu 0xfffe
	s_sub_co_ci_u32 s9, s9, 0
	s_wait_alu 0xfffe
	s_cmp_ge_u32 s9, s7
	s_cselect_b32 s21, -1, 0
	s_cmp_ge_u32 s17, s6
	s_cselect_b32 s17, -1, 0
	s_cmp_eq_u32 s9, s7
	s_wait_alu 0xfffe
	s_cselect_b32 s9, s17, s21
	s_wait_alu 0xfffe
	s_cmp_lg_u32 s9, 0
	s_cselect_b32 s9, s42, s40
	s_cselect_b32 s17, s43, s41
	s_cmp_lg_u32 s4, 0
	s_sub_co_ci_u32 s4, s5, s39
	s_wait_alu 0xfffe
	s_cmp_ge_u32 s4, s7
	s_cselect_b32 s5, -1, 0
	s_cmp_ge_u32 s1, s6
	s_cselect_b32 s1, -1, 0
	s_cmp_eq_u32 s4, s7
	s_wait_alu 0xfffe
	s_cselect_b32 s1, s1, s5
	s_wait_alu 0xfffe
	s_cmp_lg_u32 s1, 0
	s_cselect_b32 s5, s17, s37
	s_cselect_b32 s4, s9, s36
	s_xor_b64 s[2:3], s[2:3], 0
	s_wait_alu 0xfffe
	s_xor_b64 s[4:5], s[4:5], s[2:3]
	s_wait_alu 0xfffe
	s_sub_nc_u64 s[38:39], s[4:5], s[2:3]
	s_mov_b32 s2, 0
.LBB45_11:                              ;   in Loop: Header=BB45_9 Depth=1
	s_wait_alu 0xfffe
	s_and_not1_b32 vcc_lo, exec_lo, s2
	s_wait_alu 0xfffe
	s_cbranch_vccnz .LBB45_13
; %bb.12:                               ;   in Loop: Header=BB45_9 Depth=1
	v_readfirstlane_b32 s1, v4
	s_sub_co_i32 s2, 0, s16
	s_wait_alu 0xfffe
	s_mul_i32 s2, s2, s1
	s_wait_alu 0xfffe
	s_mul_hi_u32 s2, s1, s2
	s_wait_alu 0xfffe
	s_add_co_i32 s1, s1, s2
	s_wait_alu 0xfffe
	s_mul_hi_u32 s1, s0, s1
	s_wait_alu 0xfffe
	s_mul_i32 s2, s1, s16
	s_wait_alu 0xfffe
	s_sub_co_i32 s0, s0, s2
	s_add_co_i32 s2, s1, 1
	s_wait_alu 0xfffe
	s_sub_co_i32 s3, s0, s16
	s_cmp_ge_u32 s0, s16
	s_cselect_b32 s1, s2, s1
	s_wait_alu 0xfffe
	s_cselect_b32 s0, s3, s0
	s_add_co_i32 s2, s1, 1
	s_wait_alu 0xfffe
	s_cmp_ge_u32 s0, s16
	s_cselect_b32 s38, s2, s1
.LBB45_13:                              ;   in Loop: Header=BB45_9 Depth=1
	v_readfirstlane_b32 s9, v0
	s_cmp_lg_u32 s20, s38
	s_mov_b32 s0, -1
                                        ; implicit-def: $sgpr21
                                        ; implicit-def: $vgpr6
                                        ; implicit-def: $vgpr7
                                        ; implicit-def: $sgpr17
                                        ; implicit-def: $sgpr27
	s_cbranch_scc1 .LBB45_16
; %bb.14:                               ;   in Loop: Header=BB45_9 Depth=1
	s_wait_alu 0xfffe
	s_and_not1_b32 vcc_lo, exec_lo, s0
	s_wait_alu 0xfffe
	s_cbranch_vccz .LBB45_19
.LBB45_15:                              ;   in Loop: Header=BB45_9 Depth=1
	s_and_not1_b32 vcc_lo, exec_lo, s21
	s_wait_alu 0xfffe
	s_cbranch_vccnz .LBB45_20
	s_branch .LBB45_23
.LBB45_16:                              ;   in Loop: Header=BB45_9 Depth=1
	s_add_co_i32 s0, s34, s16
	s_mov_b32 s1, s8
	s_wait_alu 0xfffe
	s_lshl_b32 s0, s0, 3
	v_max_num_f32_e64 v6, s26, s26
	s_wait_alu 0xfffe
	s_add_co_i32 s0, s0, s15
	s_mov_b32 s39, s8
	s_wait_alu 0xfffe
	s_lshl_b64 s[0:1], s[0:1], 3
	s_mul_u64 s[40:41], s[38:39], s[22:23]
	s_wait_alu 0xfffe
	s_add_nc_u64 s[0:1], s[10:11], s[0:1]
	s_mov_b32 s27, s20
	s_load_b64 s[36:37], s[0:1], 0x0
	v_readfirstlane_b32 s0, v6
	s_wait_kmcnt 0x0
	v_max_num_f32_e64 v7, s36, s36
	s_delay_alu instid0(VALU_DEP_1) | instskip(SKIP_2) | instid1(SALU_CYCLE_2)
	v_readfirstlane_b32 s1, v7
	s_max_num_f32 s9, s0, s1
	s_wait_alu 0xfffe
	s_sub_f32 s33, s26, s9
	s_sub_f32 s35, s36, s9
	s_wait_alu 0xfffe
	s_delay_alu instid0(SALU_CYCLE_1)
	s_cmp_nlt_f32 s33, 0xc2ce8ed0
	s_cselect_b32 s0, -1, 0
	s_cmp_ngt_f32 s33, 0x42b17218
	s_cselect_b32 s1, -1, 0
	s_cmp_ge_f32 s33, 0xc1a00000
	s_cselect_b32 s2, -1, 0
	s_cmp_nlt_f32 s35, 0xc2ce8ed0
	s_cselect_b32 s3, -1, 0
	s_cmp_ngt_f32 s35, 0x42b17218
	s_cselect_b32 s4, -1, 0
	s_cmp_ge_f32 s35, 0xc1a00000
	s_cselect_b32 s5, -1, 0
	s_add_co_i32 s17, s41, s38
	s_wait_alu 0xfffe
	s_lshr_b32 s17, s17, s13
	s_wait_alu 0xfffe
	s_mul_i32 s21, s17, s14
	s_delay_alu instid0(SALU_CYCLE_1)
	s_cmp_eq_u32 s21, s38
	s_cselect_b32 s21, -1, 0
	s_cmp_lt_u32 s17, s12
	s_cselect_b32 s17, -1, 0
	s_wait_alu 0xfffe
	s_or_b32 s17, s17, s21
	s_mov_b32 s21, -1
	s_wait_alu 0xfffe
	s_and_b32 vcc_lo, exec_lo, s17
	s_mov_b32 s17, s34
	s_wait_alu 0xfffe
	s_cbranch_vccnz .LBB45_18
; %bb.17:                               ;   in Loop: Header=BB45_9 Depth=1
	s_add_co_i32 s17, s34, -1
	s_mov_b32 s21, 0
	s_mov_b32 s27, s38
.LBB45_18:                              ;   in Loop: Header=BB45_9 Depth=1
	v_lshl_add_u32 v6, s34, 9, v0
	s_mul_f32 s36, s35, 0x3fb8aa3b
	s_mul_f32 s38, s33, 0x3fb8aa3b
	s_wait_alu 0xfffe
	s_delay_alu instid0(SALU_CYCLE_1)
	s_xor_b32 s39, s36, 0x80000000
	v_ashrrev_i32_e32 v7, 31, v6
	s_rndne_f32 s40, s36
	s_fmamk_f32 s39, s35, 0x3fb8aa3b, s39
	s_xor_b32 s41, s38, 0x80000000
	s_rndne_f32 s42, s38
	v_lshlrev_b64_e32 v[6:7], 2, v[6:7]
	s_sub_f32 s36, s36, s40
	s_fmamk_f32 s35, s35, 0x32a5705f, s39
	s_fmamk_f32 s39, s33, 0x3fb8aa3b, s41
	s_sub_f32 s38, s38, s42
	s_delay_alu instid0(VALU_DEP_1)
	v_add_co_u32 v6, vcc_lo, s24, v6
	s_wait_alu 0xfffd
	v_add_co_ci_u32_e64 v7, null, s25, v7, vcc_lo
	s_wait_alu 0xfffe
	s_add_f32 s35, s36, s35
	s_fmamk_f32 s33, s33, 0x32a5705f, s39
	s_cvt_i32_f32 s36, s40
	global_load_b32 v6, v[6:7], off
	s_wait_alu 0xfffe
	v_s_exp_f32 s35, s35
	s_add_f32 s33, s38, s33
	s_wait_alu 0xfffe
	s_delay_alu instid0(SALU_CYCLE_2) | instskip(NEXT) | instid1(TRANS32_DEP_2)
	v_s_exp_f32 s33, s33
	v_ldexp_f32 v7, s35, s36
	s_cvt_i32_f32 s35, s42
	s_wait_alu 0xf1fe
	s_delay_alu instid0(TRANS32_DEP_1) | instid1(SALU_CYCLE_2)
	v_ldexp_f32 v8, s33, s35
	s_delay_alu instid0(VALU_DEP_2) | instskip(NEXT) | instid1(VALU_DEP_2)
	v_cndmask_b32_e64 v7, 0, v7, s3
	v_cndmask_b32_e64 v8, 0, v8, s0
	s_delay_alu instid0(VALU_DEP_2) | instskip(NEXT) | instid1(VALU_DEP_2)
	v_cndmask_b32_e64 v7, 0x7f800000, v7, s4
	v_cndmask_b32_e64 v8, 0x7f800000, v8, s1
	;; [unrolled: 3-line block ×3, first 2 shown]
	s_wait_loadcnt 0x0
	s_delay_alu instid0(VALU_DEP_2) | instskip(SKIP_1) | instid1(VALU_DEP_1)
	v_mul_f32_e32 v6, v6, v7
	v_mul_f32_e32 v7, s37, v7
	v_fmac_f32_e32 v7, v5, v8
	s_delay_alu instid0(VALU_DEP_3)
	v_fmac_f32_e32 v6, v3, v8
	s_cbranch_execnz .LBB45_15
.LBB45_19:                              ;   in Loop: Header=BB45_9 Depth=1
	s_wait_loadcnt 0x0
	v_dual_mov_b32 v7, v5 :: v_dual_mov_b32 v6, v3
	s_add_co_i32 s17, s34, -1
	s_mov_b32 s27, s20
	s_mov_b32 s9, s26
	s_cbranch_execz .LBB45_23
.LBB45_20:                              ;   in Loop: Header=BB45_9 Depth=1
	v_mov_b32_e32 v5, v7
	s_wait_loadcnt 0x0
	v_mov_b32_e32 v3, v6
	s_wait_alu 0xfffe
	s_mov_b32 s20, s27
	s_mov_b32 s34, s17
	s_mov_b32 s26, s9
	s_branch .LBB45_9
.LBB45_21:
                                        ; implicit-def: $sgpr20_sgpr21
	s_branch .LBB45_2
.LBB45_22:
                                        ; implicit-def: $sgpr10_sgpr11
	s_load_b96 s[12:14], s[0:1], 0x44
	s_branch .LBB45_5
.LBB45_23:
	v_div_scale_f32 v0, null, v7, v7, v6
	s_wait_loadcnt 0x0
	s_delay_alu instid0(VALU_DEP_1) | instskip(NEXT) | instid1(TRANS32_DEP_1)
	v_rcp_f32_e32 v3, v0
	v_fma_f32 v4, -v0, v3, 1.0
	s_delay_alu instid0(VALU_DEP_1) | instskip(SKIP_1) | instid1(VALU_DEP_1)
	v_fmac_f32_e32 v3, v4, v3
	v_div_scale_f32 v4, vcc_lo, v6, v7, v6
	v_mul_f32_e32 v5, v4, v3
	s_delay_alu instid0(VALU_DEP_1) | instskip(NEXT) | instid1(VALU_DEP_1)
	v_fma_f32 v8, -v0, v5, v4
	v_fmac_f32_e32 v5, v8, v3
	s_delay_alu instid0(VALU_DEP_1) | instskip(SKIP_1) | instid1(VALU_DEP_1)
	v_fma_f32 v0, -v0, v5, v4
	s_wait_alu 0xfffd
	v_div_fmas_f32 v0, v0, v3, v5
	s_delay_alu instid0(VALU_DEP_1)
	v_div_fixup_f32 v0, v0, v7, v6
	global_store_b32 v[1:2], v0, off
.LBB45_24:
	s_endpgm
	.section	.rodata,"a",@progbits
	.p2align	6, 0x0
	.amdhsa_kernel _ZL33flash_attn_stream_k_fixup_generalILi64ELi4ELi2EEvPfPK15HIP_vector_typeIfLj2EEiiiiS1_IjLj3EES5_S5_S5_
		.amdhsa_group_segment_fixed_size 0
		.amdhsa_private_segment_fixed_size 0
		.amdhsa_kernarg_size 336
		.amdhsa_user_sgpr_count 2
		.amdhsa_user_sgpr_dispatch_ptr 0
		.amdhsa_user_sgpr_queue_ptr 0
		.amdhsa_user_sgpr_kernarg_segment_ptr 1
		.amdhsa_user_sgpr_dispatch_id 0
		.amdhsa_user_sgpr_private_segment_size 0
		.amdhsa_wavefront_size32 1
		.amdhsa_uses_dynamic_stack 0
		.amdhsa_enable_private_segment 0
		.amdhsa_system_sgpr_workgroup_id_x 1
		.amdhsa_system_sgpr_workgroup_id_y 1
		.amdhsa_system_sgpr_workgroup_id_z 1
		.amdhsa_system_sgpr_workgroup_info 0
		.amdhsa_system_vgpr_workitem_id 0
		.amdhsa_next_free_vgpr 9
		.amdhsa_next_free_sgpr 44
		.amdhsa_reserve_vcc 1
		.amdhsa_float_round_mode_32 0
		.amdhsa_float_round_mode_16_64 0
		.amdhsa_float_denorm_mode_32 3
		.amdhsa_float_denorm_mode_16_64 3
		.amdhsa_fp16_overflow 0
		.amdhsa_workgroup_processor_mode 1
		.amdhsa_memory_ordered 1
		.amdhsa_forward_progress 1
		.amdhsa_inst_pref_size 28
		.amdhsa_round_robin_scheduling 0
		.amdhsa_exception_fp_ieee_invalid_op 0
		.amdhsa_exception_fp_denorm_src 0
		.amdhsa_exception_fp_ieee_div_zero 0
		.amdhsa_exception_fp_ieee_overflow 0
		.amdhsa_exception_fp_ieee_underflow 0
		.amdhsa_exception_fp_ieee_inexact 0
		.amdhsa_exception_int_div_zero 0
	.end_amdhsa_kernel
	.section	.text._ZL33flash_attn_stream_k_fixup_generalILi64ELi4ELi2EEvPfPK15HIP_vector_typeIfLj2EEiiiiS1_IjLj3EES5_S5_S5_,"axG",@progbits,_ZL33flash_attn_stream_k_fixup_generalILi64ELi4ELi2EEvPfPK15HIP_vector_typeIfLj2EEiiiiS1_IjLj3EES5_S5_S5_,comdat
.Lfunc_end45:
	.size	_ZL33flash_attn_stream_k_fixup_generalILi64ELi4ELi2EEvPfPK15HIP_vector_typeIfLj2EEiiiiS1_IjLj3EES5_S5_S5_, .Lfunc_end45-_ZL33flash_attn_stream_k_fixup_generalILi64ELi4ELi2EEvPfPK15HIP_vector_typeIfLj2EEiiiiS1_IjLj3EES5_S5_S5_
                                        ; -- End function
	.set _ZL33flash_attn_stream_k_fixup_generalILi64ELi4ELi2EEvPfPK15HIP_vector_typeIfLj2EEiiiiS1_IjLj3EES5_S5_S5_.num_vgpr, 9
	.set _ZL33flash_attn_stream_k_fixup_generalILi64ELi4ELi2EEvPfPK15HIP_vector_typeIfLj2EEiiiiS1_IjLj3EES5_S5_S5_.num_agpr, 0
	.set _ZL33flash_attn_stream_k_fixup_generalILi64ELi4ELi2EEvPfPK15HIP_vector_typeIfLj2EEiiiiS1_IjLj3EES5_S5_S5_.numbered_sgpr, 44
	.set _ZL33flash_attn_stream_k_fixup_generalILi64ELi4ELi2EEvPfPK15HIP_vector_typeIfLj2EEiiiiS1_IjLj3EES5_S5_S5_.num_named_barrier, 0
	.set _ZL33flash_attn_stream_k_fixup_generalILi64ELi4ELi2EEvPfPK15HIP_vector_typeIfLj2EEiiiiS1_IjLj3EES5_S5_S5_.private_seg_size, 0
	.set _ZL33flash_attn_stream_k_fixup_generalILi64ELi4ELi2EEvPfPK15HIP_vector_typeIfLj2EEiiiiS1_IjLj3EES5_S5_S5_.uses_vcc, 1
	.set _ZL33flash_attn_stream_k_fixup_generalILi64ELi4ELi2EEvPfPK15HIP_vector_typeIfLj2EEiiiiS1_IjLj3EES5_S5_S5_.uses_flat_scratch, 0
	.set _ZL33flash_attn_stream_k_fixup_generalILi64ELi4ELi2EEvPfPK15HIP_vector_typeIfLj2EEiiiiS1_IjLj3EES5_S5_S5_.has_dyn_sized_stack, 0
	.set _ZL33flash_attn_stream_k_fixup_generalILi64ELi4ELi2EEvPfPK15HIP_vector_typeIfLj2EEiiiiS1_IjLj3EES5_S5_S5_.has_recursion, 0
	.set _ZL33flash_attn_stream_k_fixup_generalILi64ELi4ELi2EEvPfPK15HIP_vector_typeIfLj2EEiiiiS1_IjLj3EES5_S5_S5_.has_indirect_call, 0
	.section	.AMDGPU.csdata,"",@progbits
; Kernel info:
; codeLenInByte = 3548
; TotalNumSgprs: 46
; NumVgprs: 9
; ScratchSize: 0
; MemoryBound: 0
; FloatMode: 240
; IeeeMode: 1
; LDSByteSize: 0 bytes/workgroup (compile time only)
; SGPRBlocks: 0
; VGPRBlocks: 1
; NumSGPRsForWavesPerEU: 46
; NumVGPRsForWavesPerEU: 9
; Occupancy: 16
; WaveLimiterHint : 0
; COMPUTE_PGM_RSRC2:SCRATCH_EN: 0
; COMPUTE_PGM_RSRC2:USER_SGPR: 2
; COMPUTE_PGM_RSRC2:TRAP_HANDLER: 0
; COMPUTE_PGM_RSRC2:TGID_X_EN: 1
; COMPUTE_PGM_RSRC2:TGID_Y_EN: 1
; COMPUTE_PGM_RSRC2:TGID_Z_EN: 1
; COMPUTE_PGM_RSRC2:TIDIG_COMP_CNT: 0
	.section	.text._ZL15flash_attn_tileILi64ELi64ELi2ELi2ELb0EEvPKcS1_S1_S1_S1_PKiPfP15HIP_vector_typeIfLj2EEffffjfiS5_IjLj3EEiiiiiiiiiiiliiliiiiil,"axG",@progbits,_ZL15flash_attn_tileILi64ELi64ELi2ELi2ELb0EEvPKcS1_S1_S1_S1_PKiPfP15HIP_vector_typeIfLj2EEffffjfiS5_IjLj3EEiiiiiiiiiiiliiliiiiil,comdat
	.globl	_ZL15flash_attn_tileILi64ELi64ELi2ELi2ELb0EEvPKcS1_S1_S1_S1_PKiPfP15HIP_vector_typeIfLj2EEffffjfiS5_IjLj3EEiiiiiiiiiiiliiliiiiil ; -- Begin function _ZL15flash_attn_tileILi64ELi64ELi2ELi2ELb0EEvPKcS1_S1_S1_S1_PKiPfP15HIP_vector_typeIfLj2EEffffjfiS5_IjLj3EEiiiiiiiiiiiliiliiiiil
	.p2align	8
	.type	_ZL15flash_attn_tileILi64ELi64ELi2ELi2ELb0EEvPKcS1_S1_S1_S1_PKiPfP15HIP_vector_typeIfLj2EEffffjfiS5_IjLj3EEiiiiiiiiiiiliiliiiiil,@function
_ZL15flash_attn_tileILi64ELi64ELi2ELi2ELb0EEvPKcS1_S1_S1_S1_PKiPfP15HIP_vector_typeIfLj2EEffffjfiS5_IjLj3EEiiiiiiiiiiiliiliiiiil: ; @_ZL15flash_attn_tileILi64ELi64ELi2ELi2ELb0EEvPKcS1_S1_S1_S1_PKiPfP15HIP_vector_typeIfLj2EEffffjfiS5_IjLj3EEiiiiiiiiiiiliiliiiiil
; %bb.0:
	s_clause 0x1
	s_load_b128 s[20:23], s[0:1], 0x5c
	s_load_b64 s[34:35], s[0:1], 0x80
	s_lshr_b32 s5, ttmp7, 16
	s_load_b64 s[38:39], s[0:1], 0xb8
	s_mov_b64 s[36:37], 0
	s_wait_kmcnt 0x0
	s_lshr_b32 s2, s23, 31
	s_delay_alu instid0(SALU_CYCLE_1) | instskip(NEXT) | instid1(SALU_CYCLE_1)
	s_add_co_i32 s2, s23, s2
	s_ashr_i32 s2, s2, 1
	s_delay_alu instid0(SALU_CYCLE_1) | instskip(SKIP_1) | instid1(SALU_CYCLE_2)
	s_cvt_f32_u32 s3, s2
	s_sub_co_i32 s4, 0, s2
	v_rcp_iflag_f32_e32 v1, s3
	s_delay_alu instid0(TRANS32_DEP_1) | instskip(SKIP_2) | instid1(SALU_CYCLE_2)
	v_readfirstlane_b32 s3, v1
	s_mul_f32 s3, s3, 0x4f7ffffe
	s_wait_alu 0xfffe
	s_cvt_u32_f32 s3, s3
	s_wait_alu 0xfffe
	s_delay_alu instid0(SALU_CYCLE_2) | instskip(NEXT) | instid1(SALU_CYCLE_1)
	s_mul_i32 s4, s4, s3
	s_mul_hi_u32 s4, s3, s4
	s_delay_alu instid0(SALU_CYCLE_1)
	s_add_co_i32 s3, s3, s4
	s_wait_alu 0xfffe
	s_mul_hi_u32 s3, s5, s3
	s_wait_alu 0xfffe
	s_mul_i32 s4, s3, s2
	s_add_co_i32 s6, s3, 1
	s_sub_co_i32 s4, s5, s4
	s_delay_alu instid0(SALU_CYCLE_1)
	s_sub_co_i32 s7, s4, s2
	s_cmp_ge_u32 s4, s2
	s_cselect_b32 s3, s6, s3
	s_cselect_b32 s4, s7, s4
	s_wait_alu 0xfffe
	s_add_co_i32 s6, s3, 1
	s_cmp_ge_u32 s4, s2
	s_cselect_b32 s28, s6, s3
	s_abs_i32 s2, s35
	s_abs_i32 s7, s23
	s_wait_alu 0xfffe
	s_cvt_f32_u32 s3, s2
	s_sub_co_i32 s4, 0, s2
	s_lshl_b32 s5, s5, 1
	s_mul_i32 s6, s28, s23
	s_wait_alu 0xfffe
	v_rcp_iflag_f32_e32 v1, s3
	s_sub_co_i32 s30, s5, s6
	s_delay_alu instid0(TRANS32_DEP_1) | instskip(SKIP_2) | instid1(SALU_CYCLE_2)
	v_readfirstlane_b32 s3, v1
	s_mul_f32 s3, s3, 0x4f7ffffe
	s_wait_alu 0xfffe
	s_cvt_u32_f32 s3, s3
	s_wait_alu 0xfffe
	s_delay_alu instid0(SALU_CYCLE_2) | instskip(NEXT) | instid1(SALU_CYCLE_1)
	s_mul_i32 s4, s4, s3
	s_mul_hi_u32 s4, s3, s4
	s_delay_alu instid0(SALU_CYCLE_1)
	s_add_co_i32 s3, s3, s4
	s_xor_b32 s4, s23, s35
	s_wait_alu 0xfffe
	s_mul_hi_u32 s3, s7, s3
	s_ashr_i32 s24, s4, 31
	s_wait_alu 0xfffe
	s_mul_i32 s5, s3, s2
	s_delay_alu instid0(SALU_CYCLE_1)
	s_sub_co_i32 s4, s7, s5
	s_add_co_i32 s5, s3, 1
	s_sub_co_i32 s6, s4, s2
	s_cmp_ge_u32 s4, s2
	s_cselect_b32 s3, s5, s3
	s_cselect_b32 s4, s6, s4
	s_wait_alu 0xfffe
	s_add_co_i32 s5, s3, 1
	s_cmp_ge_u32 s4, s2
	s_cselect_b32 s2, s5, s3
	s_load_b512 s[4:19], s[0:1], 0x0
	s_xor_b32 s2, s2, s24
	s_mov_b32 s3, 0
	s_wait_alu 0xfffe
	s_sub_co_i32 s33, s2, s24
	s_delay_alu instid0(SALU_CYCLE_1) | instskip(NEXT) | instid1(SALU_CYCLE_1)
	s_abs_i32 s31, s33
	s_cvt_f32_u32 s2, s31
	s_wait_alu 0xfffe
	s_delay_alu instid0(SALU_CYCLE_2) | instskip(SKIP_2) | instid1(TRANS32_DEP_1)
	v_rcp_iflag_f32_e32 v1, s2
	s_wait_kmcnt 0x0
	s_cmp_eq_u64 s[10:11], 0
	v_readfirstlane_b32 s2, v1
	s_cbranch_scc1 .LBB46_2
; %bb.1:
	s_abs_i32 s26, s38
	s_delay_alu instid0(SALU_CYCLE_1) | instskip(NEXT) | instid1(SALU_CYCLE_3)
	s_cvt_f32_u32 s24, s26
	v_rcp_iflag_f32_e32 v1, s24
	s_delay_alu instid0(TRANS32_DEP_1) | instskip(SKIP_2) | instid1(SALU_CYCLE_2)
	v_readfirstlane_b32 s24, v1
	s_mul_f32 s24, s24, 0x4f7ffffe
	s_wait_alu 0xfffe
	s_cvt_u32_f32 s27, s24
	s_sub_co_i32 s24, 0, s26
	s_wait_alu 0xfffe
	s_delay_alu instid0(SALU_CYCLE_1) | instskip(SKIP_4) | instid1(SALU_CYCLE_1)
	s_mul_i32 s24, s24, s27
	s_wait_alu 0xfffe
	s_mul_hi_u32 s29, s27, s24
	s_load_b64 s[24:25], s[0:1], 0xc8
	s_add_co_i32 s27, s27, s29
	s_mul_hi_u32 s27, s28, s27
	s_delay_alu instid0(SALU_CYCLE_1) | instskip(NEXT) | instid1(SALU_CYCLE_1)
	s_mul_i32 s27, s27, s26
	s_sub_co_i32 s27, s28, s27
	s_delay_alu instid0(SALU_CYCLE_1) | instskip(SKIP_2) | instid1(SALU_CYCLE_1)
	s_sub_co_i32 s29, s27, s26
	s_cmp_ge_u32 s27, s26
	s_cselect_b32 s27, s29, s27
	s_sub_co_i32 s29, s27, s26
	s_cmp_ge_u32 s27, s26
	s_cselect_b32 s26, s29, s27
	s_delay_alu instid0(SALU_CYCLE_1)
	s_ashr_i32 s27, s26, 31
	s_wait_kmcnt 0x0
	s_mul_u64 s[24:25], s[24:25], s[26:27]
	s_wait_alu 0xfffe
	s_add_nc_u64 s[36:37], s[10:11], s[24:25]
.LBB46_2:
	v_bfe_u32 v2, v0, 10, 10
	s_load_b96 s[24:26], s[0:1], 0x70
	v_and_b32_e32 v0, 0x3ff, v0
	s_delay_alu instid0(VALU_DEP_2) | instskip(SKIP_1) | instid1(VALU_DEP_2)
	v_lshl_add_u32 v1, ttmp9, 1, v2
	v_lshl_add_u32 v21, v2, 8, 0x1200
	v_mul_hi_u32 v3, s20, v1
	s_delay_alu instid0(VALU_DEP_2) | instskip(NEXT) | instid1(VALU_DEP_2)
	v_lshl_add_u32 v8, v0, 2, v21
	v_add_nc_u32_e32 v3, v1, v3
	s_wait_kmcnt 0x0
	s_ashr_i32 s11, s24, 31
	s_mov_b32 s10, s24
	s_delay_alu instid0(VALU_DEP_1) | instskip(SKIP_2) | instid1(VALU_DEP_1)
	v_lshrrev_b32_e32 v3, s21, v3
	s_lshr_b64 s[20:21], s[10:11], 2
	s_lshr_b32 s10, s11, 2
	v_mul_lo_u32 v3, v3, s22
	s_delay_alu instid0(VALU_DEP_1) | instskip(SKIP_1) | instid1(VALU_DEP_1)
	v_sub_nc_u32_e32 v3, v1, v3
	s_wait_alu 0xfffe
	v_mad_co_u64_u32 v[4:5], null, s20, v3, 0
	s_mul_i32 s20, s30, s25
	s_wait_alu 0xfffe
	s_ashr_i32 s21, s20, 31
	v_mad_co_u64_u32 v[5:6], null, s10, v3, v[5:6]
	s_mul_i32 s10, s28, s26
	v_lshlrev_b32_e32 v6, 3, v0
	s_wait_alu 0xfffe
	s_ashr_i32 s11, s10, 31
	s_wait_alu 0xfffe
	s_add_nc_u64 s[4:5], s[4:5], s[10:11]
	s_delay_alu instid0(SALU_CYCLE_1) | instskip(SKIP_1) | instid1(VALU_DEP_1)
	s_add_nc_u64 s[4:5], s[4:5], s[20:21]
	v_lshlrev_b64_e32 v[4:5], 2, v[4:5]
	v_add_co_u32 v4, vcc_lo, s4, v4
	s_delay_alu instid0(VALU_DEP_1)
	v_add_co_ci_u32_e64 v5, null, s5, v5, vcc_lo
	s_and_b32 s5, s25, -4
	v_add_co_u32 v4, vcc_lo, v4, v6
	s_wait_alu 0xfffd
	v_add_co_ci_u32_e64 v5, null, 0, v5, vcc_lo
	s_ashr_i32 s4, s25, 31
	s_wait_alu 0xfffe
	v_add_co_u32 v6, vcc_lo, v4, s5
	s_wait_alu 0xfffd
	v_add_co_ci_u32_e64 v7, null, s4, v5, vcc_lo
	s_load_b32 s4, s[0:1], 0x40
	s_clause 0x1
	global_load_b64 v[4:5], v[4:5], off
	global_load_b64 v[6:7], v[6:7], off
	s_cmp_eq_u64 s[14:15], 0
	s_wait_loadcnt 0x1
	s_wait_kmcnt 0x0
	v_fma_mixlo_f16 v5, s4, v5, 0
	v_fma_mixlo_f16 v4, s4, v4, 0
	s_wait_loadcnt 0x0
	v_fma_mixlo_f16 v7, s4, v7, 0
	v_fma_mixlo_f16 v6, s4, v6, 0
	v_lshlrev_b32_e32 v5, 16, v5
	v_and_b32_e32 v4, 0xffff, v4
	s_delay_alu instid0(VALU_DEP_4) | instskip(NEXT) | instid1(VALU_DEP_4)
	v_lshlrev_b32_e32 v7, 16, v7
	v_and_b32_e32 v6, 0xffff, v6
	s_delay_alu instid0(VALU_DEP_3) | instskip(NEXT) | instid1(VALU_DEP_2)
	v_or_b32_e32 v4, v5, v4
	v_or_b32_e32 v5, v7, v6
	ds_store_2addr_b32 v8, v4, v5 offset1:32
	s_wait_dscnt 0x0
	s_barrier_signal -1
	s_barrier_wait -1
	global_inv scope:SCOPE_SE
	s_cbranch_scc1 .LBB46_4
; %bb.3:
	s_load_b32 s4, s[0:1], 0xd0
	s_mov_b32 s5, 0
	s_wait_kmcnt 0x0
	s_mul_i32 s4, s4, s28
	s_wait_alu 0xfffe
	s_add_co_i32 s4, s4, ttmp9
	s_wait_alu 0xfffe
	s_lshl_b64 s[4:5], s[4:5], 2
	s_wait_alu 0xfffe
	s_add_nc_u64 s[4:5], s[14:15], s[4:5]
	s_load_b32 s34, s[4:5], 0x0
.LBB46_4:
	s_and_b32 s10, ttmp7, 0xffff
	v_mbcnt_lo_u32_b32 v23, -1, 0
	s_wait_alu 0xfffe
	s_lshl_b32 s14, s10, 5
	s_wait_kmcnt 0x0
	s_cmp_lt_i32 s14, s34
	s_cbranch_scc1 .LBB46_7
; %bb.5:
	v_mbcnt_lo_u32_b32 v4, -1, 0
	v_mov_b32_e32 v24, 32
	s_delay_alu instid0(VALU_DEP_2)
	v_xor_b32_e32 v31, 16, v4
	v_xor_b32_e32 v28, 8, v4
	;; [unrolled: 1-line block ×5, first 2 shown]
	s_mov_b32 s29, 0
	s_cbranch_execz .LBB46_8
; %bb.6:
	v_dual_mov_b32 v30, 0 :: v_dual_mov_b32 v47, 0
	v_dual_mov_b32 v3, 0xfeffffff :: v_dual_mov_b32 v2, 0xfeffffff
	v_mov_b32_e32 v48, 0
	v_mov_b32_e32 v22, 0
	s_branch .LBB46_11
.LBB46_7:
                                        ; implicit-def: $vgpr4
                                        ; implicit-def: $vgpr24
                                        ; implicit-def: $vgpr31
                                        ; implicit-def: $vgpr28
                                        ; implicit-def: $vgpr27
                                        ; implicit-def: $vgpr26
                                        ; implicit-def: $vgpr25
	s_mov_b32 s29, 0
.LBB46_8:
	s_mul_f32 s2, s2, 0x4f7ffffe
	s_clause 0x1
	s_load_b128 s[24:27], s[0:1], 0x98
	s_load_b64 s[4:5], s[0:1], 0x8c
	s_sub_co_i32 s15, 0, s31
	s_mov_b32 s21, s3
	s_cvt_u32_f32 s11, s2
	s_abs_i32 s2, s30
	s_load_b64 s[40:41], s[0:1], 0xa8
	s_ashr_i32 s35, s30, 31
	s_mul_i32 s15, s15, s11
	s_ashr_i32 s33, s33, 31
	s_mul_hi_u32 s15, s11, s15
	v_lshrrev_b32_e32 v4, 3, v0
	s_add_co_i32 s20, s11, s15
	s_ashr_i32 s11, s39, 1
	s_wait_alu 0xfffe
	s_mul_u64 s[20:21], s[2:3], s[20:21]
	s_xor_b32 s15, s35, s33
	s_wait_alu 0xfffe
	s_mul_i32 s3, s21, s31
	s_add_co_i32 s33, s21, 1
	s_wait_alu 0xfffe
	s_sub_co_i32 s2, s2, s3
	v_lshl_add_u32 v4, v2, 2, v4
	s_wait_kmcnt 0x0
	s_ashr_i32 s20, s26, 2
	s_ashr_i32 s26, s4, 2
	s_wait_alu 0xfffe
	s_sub_co_i32 s3, s2, s31
	s_cmp_ge_u32 s2, s31
	v_mul_lo_u32 v6, s26, v4
	s_cselect_b32 s4, s33, s21
	s_wait_alu 0xfffe
	s_cselect_b32 s2, s3, s2
	s_add_co_i32 s3, s4, 1
	s_wait_alu 0xfffe
	s_cmp_ge_u32 s2, s31
	v_mul_lo_u32 v13, s20, v4
	s_cselect_b32 s4, s3, s4
	s_mul_u64 s[2:3], s[24:25], s[28:29]
	s_wait_alu 0xfffe
	s_xor_b32 s4, s4, s15
	s_mul_u64 s[24:25], s[40:41], s[28:29]
	s_wait_alu 0xfffe
	s_sub_co_i32 s15, s4, s15
	s_add_nc_u64 s[2:3], s[6:7], s[2:3]
	s_mul_i32 s4, s15, s5
	s_add_nc_u64 s[8:9], s[8:9], s[24:25]
	s_wait_alu 0xfffe
	s_ashr_i32 s5, s4, 31
	s_mul_i32 s24, s15, s27
	s_lshl_b32 s15, s26, 3
	s_wait_alu 0xfffe
	s_add_nc_u64 s[6:7], s[2:3], s[4:5]
	s_lshl_b32 s2, s20, 3
	v_dual_mov_b32 v47, 0 :: v_dual_add_nc_u32 v8, s15, v6
	s_wait_alu 0xfffe
	v_dual_mov_b32 v48, 0 :: v_dual_add_nc_u32 v17, s2, v13
	v_dual_mov_b32 v22, 0 :: v_dual_lshlrev_b32 v29, 2, v0
	s_delay_alu instid0(VALU_DEP_3) | instskip(NEXT) | instid1(VALU_DEP_3)
	v_add_nc_u32_e32 v10, s15, v8
	v_add_nc_u32_e32 v19, s2, v17
	v_ashrrev_i32_e32 v7, 31, v6
	s_delay_alu instid0(VALU_DEP_4) | instskip(SKIP_3) | instid1(VALU_DEP_4)
	v_and_b32_e32 v12, 28, v29
	v_ashrrev_i32_e32 v9, 31, v8
	v_dual_mov_b32 v30, 0 :: v_dual_add_nc_u32 v15, s15, v10
	v_add_nc_u32_e32 v44, s2, v19
	v_lshlrev_b32_e32 v5, 2, v12
	v_ashrrev_i32_e32 v11, 31, v10
	s_delay_alu instid0(VALU_DEP_4)
	v_ashrrev_i32_e32 v16, 31, v15
	v_ashrrev_i32_e32 v14, 31, v13
	;; [unrolled: 1-line block ×5, first 2 shown]
	v_lshl_add_u32 v38, v2, 7, 0x1400
	v_mov_b32_e32 v2, 0xfeffffff
	v_mad_u32_u24 v32, 0x90, v4, v5
	v_lshl_or_b32 v37, v4, 7, v5
	v_mad_co_u64_u32 v[4:5], null, v3, s11, v[0:1]
	v_lshlrev_b64_e32 v[5:6], 2, v[6:7]
	v_lshlrev_b64_e32 v[7:8], 2, v[8:9]
	;; [unrolled: 1-line block ×4, first 2 shown]
	v_dual_mov_b32 v3, 0xfeffffff :: v_dual_lshlrev_b32 v42, 2, v12
	v_lshlrev_b64_e32 v[11:12], 2, v[15:16]
	v_lshlrev_b64_e32 v[15:16], 2, v[17:18]
	;; [unrolled: 1-line block ×4, first 2 shown]
	v_dual_mov_b32 v24, 32 :: v_dual_add_nc_u32 v33, 0x480, v32
	v_add_nc_u32_e32 v34, 0x900, v32
	v_add_nc_u32_e32 v35, 0xd80, v32
	v_mul_u32_u24_e32 v36, 0x90, v0
	v_add_nc_u32_e32 v39, 0x400, v37
	v_add_nc_u32_e32 v40, 0x800, v37
	;; [unrolled: 1-line block ×3, first 2 shown]
	v_xor_b32_e32 v31, 16, v23
	v_xor_b32_e32 v28, 8, v23
	;; [unrolled: 1-line block ×5, first 2 shown]
	v_add_nc_u32_e32 v43, v38, v29
	v_add_nc_u32_e32 v44, 0x400, v29
	;; [unrolled: 1-line block ×4, first 2 shown]
	s_ashr_i32 s25, s24, 31
	s_ashr_i32 s27, s26, 31
	s_wait_alu 0xfffe
	s_add_nc_u64 s[8:9], s[8:9], s[24:25]
	s_ashr_i32 s21, s20, 31
	s_add_nc_u64 s[24:25], s[0:1], 0xd0
.LBB46_9:                               ; =>This Inner Loop Header: Depth=1
	s_ashr_i32 s15, s14, 31
	v_dual_mov_b32 v67, 0 :: v_dual_mov_b32 v70, v3
	s_wait_alu 0xfffe
	s_mul_u64 s[2:3], s[14:15], s[26:27]
	v_dual_mov_b32 v68, 0 :: v_dual_add_nc_u32 v65, s14, v4
	s_wait_alu 0xfffe
	s_lshl_b64 s[2:3], s[2:3], 2
	v_mov_b32_e32 v71, v2
	s_wait_alu 0xfffe
	s_add_nc_u64 s[2:3], s[6:7], s[2:3]
	v_ashrrev_i32_e32 v66, 31, v65
	s_wait_alu 0xfffe
	v_add_co_u32 v49, vcc_lo, s2, v5
	s_wait_alu 0xfffd
	v_add_co_ci_u32_e64 v50, null, s3, v6, vcc_lo
	v_add_co_u32 v51, vcc_lo, s2, v7
	s_wait_alu 0xfffd
	v_add_co_ci_u32_e64 v52, null, s3, v8, vcc_lo
	;; [unrolled: 3-line block ×8, first 2 shown]
	s_clause 0x3
	global_load_b128 v[49:52], v[49:50], off
	global_load_b128 v[53:56], v[53:54], off
	;; [unrolled: 1-line block ×4, first 2 shown]
	v_lshlrev_b64_e32 v[65:66], 1, v[65:66]
	s_mul_u64 s[2:3], s[14:15], s[20:21]
	s_wait_loadcnt 0x3
	ds_store_b128 v32, v[49:52]
	s_wait_loadcnt 0x2
	ds_store_b128 v33, v[53:56]
	;; [unrolled: 2-line block ×4, first 2 shown]
	s_wait_dscnt 0x0
	s_barrier_signal -1
	s_barrier_wait -1
	global_inv scope:SCOPE_SE
	ds_load_b128 v[49:52], v36
	ds_load_b128 v[53:56], v21
	ds_load_b128 v[57:60], v21 offset:128
	s_wait_dscnt 0x1
	;;#ASMSTART
	v_dot2_f32_f16 v67, v49, v53, v67
	;;#ASMEND
	;;#ASMSTART
	v_dot2_f32_f16 v67, v50, v54, v67
	;;#ASMEND
	;;#ASMSTART
	v_dot2_f32_f16 v67, v51, v55, v67
	;;#ASMEND
	;;#ASMSTART
	v_dot2_f32_f16 v67, v52, v56, v67
	;;#ASMEND
	s_wait_dscnt 0x0
	;;#ASMSTART
	v_dot2_f32_f16 v68, v49, v57, v68
	;;#ASMEND
	;;#ASMSTART
	v_dot2_f32_f16 v68, v50, v58, v68
	;;#ASMEND
	;;#ASMSTART
	v_dot2_f32_f16 v68, v51, v59, v68
	;;#ASMEND
	;;#ASMSTART
	v_dot2_f32_f16 v68, v52, v60, v68
	;;#ASMEND
	ds_load_b128 v[49:52], v36 offset:16
	ds_load_b128 v[53:56], v21 offset:16
	ds_load_b128 v[57:60], v21 offset:144
	s_wait_dscnt 0x1
	;;#ASMSTART
	v_dot2_f32_f16 v67, v49, v53, v67
	;;#ASMEND
	;;#ASMSTART
	v_dot2_f32_f16 v67, v50, v54, v67
	;;#ASMEND
	;;#ASMSTART
	v_dot2_f32_f16 v67, v51, v55, v67
	;;#ASMEND
	;;#ASMSTART
	v_dot2_f32_f16 v67, v52, v56, v67
	;;#ASMEND
	s_wait_dscnt 0x0
	;;#ASMSTART
	v_dot2_f32_f16 v68, v49, v57, v68
	;;#ASMEND
	;;#ASMSTART
	v_dot2_f32_f16 v68, v50, v58, v68
	;;#ASMEND
	;;#ASMSTART
	v_dot2_f32_f16 v68, v51, v59, v68
	;;#ASMEND
	;;#ASMSTART
	v_dot2_f32_f16 v68, v52, v60, v68
	;;#ASMEND
	ds_load_b128 v[49:52], v36 offset:32
	ds_load_b128 v[53:56], v21 offset:32
	;; [unrolled: 29-line block ×7, first 2 shown]
	ds_load_b128 v[57:60], v21 offset:240
	v_add_co_u32 v65, vcc_lo, s36, v65
	s_wait_dscnt 0x1
	;;#ASMSTART
	v_dot2_f32_f16 v67, v49, v53, v67
	;;#ASMEND
	s_wait_alu 0xfffd
	v_add_co_ci_u32_e64 v66, null, s37, v66, vcc_lo
	;;#ASMSTART
	v_dot2_f32_f16 v67, v50, v54, v67
	;;#ASMEND
	;;#ASMSTART
	v_dot2_f32_f16 v67, v51, v55, v67
	;;#ASMEND
	;; [unrolled: 3-line block ×3, first 2 shown]
	s_wait_dscnt 0x0
	;;#ASMSTART
	v_dot2_f32_f16 v68, v49, v57, v68
	;;#ASMEND
	;;#ASMSTART
	v_dot2_f32_f16 v68, v50, v58, v68
	;;#ASMEND
	;; [unrolled: 3-line block ×4, first 2 shown]
	global_load_u16 v50, v[65:66], off
	v_cmp_gt_i32_e32 vcc_lo, 32, v31
	v_mov_b32_e32 v69, v48
	s_wait_alu 0xfffe
	s_lshl_b64 s[2:3], s[2:3], 2
	s_wait_loadcnt 0x0
	s_wait_alu 0xfffe
	s_add_nc_u64 s[2:3], s[8:9], s[2:3]
	s_wait_alu 0xfffd
	v_cndmask_b32_e32 v2, v23, v31, vcc_lo
	v_cmp_gt_i32_e32 vcc_lo, 32, v28
	s_barrier_signal -1
	s_barrier_wait -1
	global_inv scope:SCOPE_SE
	s_wait_alu 0xfffd
	v_dual_cndmask_b32 v3, v23, v28 :: v_dual_lshlrev_b32 v72, 2, v2
	v_cmp_gt_i32_e32 vcc_lo, 32, v27
	s_delay_alu instid0(VALU_DEP_2) | instskip(SKIP_4) | instid1(VALU_DEP_2)
	v_dual_max_num_f32 v78, v70, v70 :: v_dual_lshlrev_b32 v73, 2, v3
	s_wait_alu 0xfffd
	v_cndmask_b32_e32 v48, v23, v27, vcc_lo
	v_cmp_gt_i32_e32 vcc_lo, 32, v26
	s_wait_alu 0xfffd
	v_dual_cndmask_b32 v51, v23, v26 :: v_dual_lshlrev_b32 v74, 2, v48
	v_cmp_gt_i32_e32 vcc_lo, 32, v25
	s_wait_alu 0xfffd
	s_delay_alu instid0(VALU_DEP_2)
	v_dual_cndmask_b32 v52, v23, v25 :: v_dual_lshlrev_b32 v75, 2, v51
	s_wait_alu 0xfffe
	v_add_co_u32 v2, vcc_lo, s2, v13
	v_mov_b32_e32 v49, v47
	s_wait_alu 0xfffd
	v_add_co_ci_u32_e64 v3, null, s3, v14, vcc_lo
	v_add_co_u32 v47, vcc_lo, s2, v15
	s_wait_alu 0xfffd
	v_add_co_ci_u32_e64 v48, null, s3, v16, vcc_lo
	v_add_co_u32 v51, vcc_lo, s2, v17
	v_lshlrev_b32_e32 v76, 2, v52
	s_wait_alu 0xfffd
	v_add_co_ci_u32_e64 v52, null, s3, v18, vcc_lo
	v_add_co_u32 v53, vcc_lo, s2, v19
	s_wait_alu 0xfffd
	v_add_co_ci_u32_e64 v54, null, s3, v20, vcc_lo
	v_add_co_u32 v2, vcc_lo, v2, v42
	;; [unrolled: 3-line block ×5, first 2 shown]
	s_wait_alu 0xfffd
	v_add_co_ci_u32_e64 v64, null, 0, v54, vcc_lo
	s_clause 0x3
	global_load_b128 v[51:54], v[2:3], off
	global_load_b128 v[55:58], v[47:48], off
	;; [unrolled: 1-line block ×4, first 2 shown]
	v_cvt_f32_f16_e32 v2, v50
	s_delay_alu instid0(VALU_DEP_1) | instskip(SKIP_1) | instid1(VALU_DEP_2)
	v_dual_max_num_f32 v77, v71, v71 :: v_dual_add_f32 v48, v68, v2
	v_add_f32_e32 v47, v67, v2
	v_add_f32_e32 v3, 0x40051340, v48
	s_delay_alu instid0(VALU_DEP_1) | instskip(SKIP_3) | instid1(VALU_DEP_1)
	v_max_num_f32_e32 v3, v78, v3
	ds_bpermute_b32 v67, v72, v3
	s_wait_dscnt 0x0
	v_max_num_f32_e32 v67, v67, v67
	v_max_num_f32_e32 v3, v3, v67
	ds_bpermute_b32 v67, v73, v3
	s_wait_dscnt 0x0
	v_max_num_f32_e32 v67, v67, v67
	s_delay_alu instid0(VALU_DEP_1) | instskip(SKIP_3) | instid1(VALU_DEP_1)
	v_max_num_f32_e32 v3, v3, v67
	ds_bpermute_b32 v67, v74, v3
	s_wait_dscnt 0x0
	v_max_num_f32_e32 v67, v67, v67
	v_max_num_f32_e32 v3, v3, v67
	ds_bpermute_b32 v67, v75, v3
	s_wait_dscnt 0x0
	v_max_num_f32_e32 v67, v67, v67
	s_delay_alu instid0(VALU_DEP_1) | instskip(SKIP_3) | instid1(VALU_DEP_1)
	v_max_num_f32_e32 v3, v3, v67
	ds_bpermute_b32 v67, v76, v3
	s_wait_dscnt 0x0
	v_max_num_f32_e32 v67, v67, v67
	v_max_num_f32_e32 v3, v3, v67
	s_delay_alu instid0(VALU_DEP_1) | instskip(SKIP_2) | instid1(VALU_DEP_3)
	v_sub_f32_e32 v48, v48, v3
	v_add_f32_e32 v2, 0x40051340, v47
	v_sub_f32_e32 v67, v70, v3
	v_cmp_ngt_f32_e64 s3, 0xc2ce8ed0, v48
	s_delay_alu instid0(VALU_DEP_3) | instskip(SKIP_2) | instid1(VALU_DEP_1)
	v_max_num_f32_e32 v2, v77, v2
	ds_bpermute_b32 v50, v72, v2
	v_mul_f32_e32 v72, 0x3fb8aa3b, v48
	v_fma_f32 v79, 0x3fb8aa3b, v48, -v72
	v_rndne_f32_e32 v80, v72
	s_delay_alu instid0(VALU_DEP_1) | instskip(SKIP_3) | instid1(VALU_DEP_1)
	v_sub_f32_e32 v72, v72, v80
	v_cvt_i32_f32_e32 v80, v80
	s_wait_dscnt 0x0
	v_max_num_f32_e32 v50, v50, v50
	v_max_num_f32_e32 v2, v2, v50
	ds_bpermute_b32 v50, v73, v2
	s_wait_dscnt 0x0
	v_max_num_f32_e32 v50, v50, v50
	s_delay_alu instid0(VALU_DEP_1) | instskip(SKIP_3) | instid1(VALU_DEP_1)
	v_max_num_f32_e32 v2, v2, v50
	ds_bpermute_b32 v50, v74, v2
	s_wait_dscnt 0x0
	v_max_num_f32_e32 v50, v50, v50
	v_max_num_f32_e32 v2, v2, v50
	ds_bpermute_b32 v50, v75, v2
	s_wait_dscnt 0x0
	v_max_num_f32_e32 v50, v50, v50
	s_delay_alu instid0(VALU_DEP_1) | instskip(SKIP_3) | instid1(VALU_DEP_1)
	v_max_num_f32_e32 v2, v2, v50
	ds_bpermute_b32 v50, v76, v2
	s_wait_dscnt 0x0
	v_max_num_f32_e32 v50, v50, v50
	v_max_num_f32_e32 v2, v2, v50
	s_delay_alu instid0(VALU_DEP_1) | instskip(SKIP_1) | instid1(VALU_DEP_2)
	v_sub_f32_e32 v50, v71, v2
	v_sub_f32_e32 v47, v47, v2
	v_mul_f32_e32 v68, 0x3fb8aa3b, v50
	s_delay_alu instid0(VALU_DEP_2) | instskip(SKIP_1) | instid1(VALU_DEP_3)
	v_cmp_ngt_f32_e32 vcc_lo, 0xc2ce8ed0, v47
	v_cmp_ngt_f32_e64 s4, 0xc2ce8ed0, v50
	v_rndne_f32_e32 v74, v68
	v_fma_f32 v73, 0x3fb8aa3b, v50, -v68
	s_delay_alu instid0(VALU_DEP_2) | instskip(SKIP_2) | instid1(VALU_DEP_3)
	v_dual_sub_f32 v68, v68, v74 :: v_dual_mul_f32 v71, 0x3fb8aa3b, v67
	v_cvt_i32_f32_e32 v74, v74
	v_cmp_ngt_f32_e64 s2, 0xc2ce8ed0, v67
	v_fma_f32 v77, 0x3fb8aa3b, v67, -v71
	v_rndne_f32_e32 v78, v71
	s_delay_alu instid0(VALU_DEP_2) | instskip(NEXT) | instid1(VALU_DEP_2)
	v_fmac_f32_e32 v77, 0x32a5705f, v67
	v_dual_sub_f32 v71, v71, v78 :: v_dual_mul_f32 v70, 0x3fb8aa3b, v47
	v_cvt_i32_f32_e32 v78, v78
	s_delay_alu instid0(VALU_DEP_2) | instskip(NEXT) | instid1(VALU_DEP_3)
	v_add_f32_e32 v71, v71, v77
	v_fma_f32 v75, 0x3fb8aa3b, v47, -v70
	v_rndne_f32_e32 v76, v70
	v_fmac_f32_e32 v73, 0x32a5705f, v50
	s_delay_alu instid0(VALU_DEP_4) | instskip(NEXT) | instid1(VALU_DEP_2)
	v_exp_f32_e32 v71, v71
	v_dual_fmac_f32 v75, 0x32a5705f, v47 :: v_dual_sub_f32 v70, v70, v76
	s_delay_alu instid0(VALU_DEP_2) | instskip(SKIP_1) | instid1(VALU_DEP_3)
	v_dual_fmac_f32 v79, 0x32a5705f, v48 :: v_dual_add_f32 v68, v68, v73
	v_cvt_i32_f32_e32 v76, v76
	v_add_f32_e32 v70, v70, v75
	s_delay_alu instid0(VALU_DEP_3) | instskip(NEXT) | instid1(VALU_DEP_4)
	v_add_f32_e32 v72, v72, v79
	v_exp_f32_e32 v68, v68
	s_delay_alu instid0(TRANS32_DEP_2) | instskip(NEXT) | instid1(VALU_DEP_3)
	v_ldexp_f32 v71, v71, v78
	v_exp_f32_e32 v70, v70
	s_delay_alu instid0(VALU_DEP_2) | instskip(NEXT) | instid1(TRANS32_DEP_3)
	v_exp_f32_e32 v72, v72
	v_ldexp_f32 v68, v68, v74
	s_delay_alu instid0(TRANS32_DEP_2) | instskip(NEXT) | instid1(TRANS32_DEP_1)
	v_ldexp_f32 v70, v70, v76
	v_ldexp_f32 v72, v72, v80
	s_wait_alu 0xf1ff
	s_delay_alu instid0(VALU_DEP_3)
	v_cndmask_b32_e64 v68, 0, v68, s4
	v_cmp_nlt_f32_e64 s4, 0x42b17218, v50
	s_wait_alu 0xfffd
	v_cndmask_b32_e32 v50, 0, v70, vcc_lo
	v_cndmask_b32_e64 v70, 0, v71, s2
	v_cndmask_b32_e64 v71, 0, v72, s3
	v_cmp_nlt_f32_e64 s2, 0x42b17218, v48
	v_cmp_nlt_f32_e64 s3, 0x42b17218, v47
	v_cmp_nlt_f32_e32 vcc_lo, 0x42b17218, v67
	s_wait_alu 0xf1ff
	v_cndmask_b32_e64 v67, 0x7f800000, v68, s4
	v_cndmask_b32_e64 v47, 0x7f800000, v71, s2
	;; [unrolled: 1-line block ×3, first 2 shown]
	s_wait_alu 0xfffd
	v_cndmask_b32_e32 v50, 0x7f800000, v70, vcc_lo
	s_delay_alu instid0(VALU_DEP_3) | instskip(NEXT) | instid1(VALU_DEP_3)
	v_cvt_f16_f32_e32 v70, v47
	v_cvt_f16_f32_e32 v68, v48
	s_delay_alu instid0(VALU_DEP_3) | instskip(NEXT) | instid1(VALU_DEP_2)
	v_fmac_f32_e32 v47, v49, v50
	v_pack_b32_f16 v68, v68, v70
	ds_store_b32 v43, v68
	s_wait_loadcnt 0x3
	ds_store_b128 v37, v[51:54]
	s_wait_loadcnt 0x2
	ds_store_b128 v39, v[55:58]
	;; [unrolled: 2-line block ×4, first 2 shown]
	s_wait_dscnt 0x0
	s_barrier_signal -1
	s_barrier_wait -1
	global_inv scope:SCOPE_SE
	ds_load_b128 v[51:54], v38
	v_fmac_f32_e32 v48, v69, v67
	v_cvt_f16_f32_e32 v67, v67
	v_cvt_f16_f32_e32 v69, v50
	s_delay_alu instid0(VALU_DEP_2) | instskip(NEXT) | instid1(VALU_DEP_2)
	v_and_b32_e32 v67, 0xffff, v67
	v_and_b32_e32 v69, 0xffff, v69
	s_delay_alu instid0(VALU_DEP_2) | instskip(NEXT) | instid1(VALU_DEP_2)
	v_mul_u32_u24_e32 v93, 0x10001, v67
	v_mul_u32_u24_e32 v94, 0x10001, v69
	ds_load_2addr_b32 v[75:76], v29 offset1:32
	ds_load_b128 v[55:58], v38 offset:16
	ds_load_b128 v[59:62], v38 offset:32
	ds_load_b128 v[63:66], v38 offset:48
	ds_load_2addr_b32 v[77:78], v29 offset0:64 offset1:96
	ds_load_2addr_b32 v[79:80], v29 offset0:128 offset1:160
	;; [unrolled: 1-line block ×3, first 2 shown]
	ds_load_2addr_b32 v[83:84], v44 offset1:32
	ds_load_2addr_b32 v[85:86], v44 offset0:64 offset1:96
	ds_load_2addr_b32 v[87:88], v44 offset0:128 offset1:160
	;; [unrolled: 1-line block ×3, first 2 shown]
	ds_load_2addr_b32 v[91:92], v45 offset1:32
	ds_load_b128 v[67:70], v38 offset:64
	ds_load_b128 v[71:74], v38 offset:80
	s_wait_dscnt 0xe
	v_lshrrev_b32_e32 v95, 16, v51
	v_and_b32_e32 v51, 0xffff, v51
	v_lshrrev_b32_e32 v96, 16, v52
	v_and_b32_e32 v52, 0xffff, v52
	;; [unrolled: 2-line block ×3, first 2 shown]
	v_mul_u32_u24_e32 v51, 0x10001, v51
	v_lshrrev_b32_e32 v98, 16, v54
	v_and_b32_e32 v99, 0xffff, v54
	s_wait_dscnt 0xc
	v_lshrrev_b32_e32 v102, 16, v57
	v_and_b32_e32 v103, 0xffff, v57
	v_pk_mul_f16 v51, v75, v51
	v_mul_u32_u24_e32 v57, 0x10001, v97
	v_lshrrev_b32_e32 v100, 16, v55
	v_and_b32_e32 v55, 0xffff, v55
	v_lshrrev_b32_e32 v104, 16, v58
	v_pk_fma_f16 v30, v30, v93, v51
	v_mul_u32_u24_e32 v51, 0x10001, v95
	v_and_b32_e32 v105, 0xffff, v58
	v_mul_u32_u24_e32 v58, 0x10001, v99
	v_lshrrev_b32_e32 v101, 16, v56
	v_and_b32_e32 v56, 0xffff, v56
	v_pk_mul_f16 v51, v75, v51
	v_mul_u32_u24_e32 v55, 0x10001, v55
	s_wait_dscnt 0xb
	v_lshrrev_b32_e32 v106, 16, v59
	v_mul_u32_u24_e32 v75, 0x10001, v101
	v_mul_u32_u24_e32 v56, 0x10001, v56
	v_pk_fma_f16 v22, v22, v94, v51
	v_mul_u32_u24_e32 v51, 0x10001, v52
	v_mul_u32_u24_e32 v52, 0x10001, v53
	v_and_b32_e32 v107, 0xffff, v59
	v_mul_u32_u24_e32 v93, 0x10001, v104
	v_lshrrev_b32_e32 v108, 16, v60
	v_pk_fma_f16 v30, v76, v51, v30
	v_mul_u32_u24_e32 v51, 0x10001, v96
	v_and_b32_e32 v109, 0xffff, v60
	v_lshrrev_b32_e32 v110, 16, v61
	v_and_b32_e32 v111, 0xffff, v61
	s_wait_dscnt 0x9
	v_pk_fma_f16 v30, v77, v52, v30
	v_pk_fma_f16 v22, v76, v51, v22
	v_lshrrev_b32_e32 v112, 16, v62
	v_and_b32_e32 v113, 0xffff, v62
	v_lshrrev_b32_e32 v114, 16, v63
	v_pk_fma_f16 v30, v78, v58, v30
	v_pk_fma_f16 v22, v77, v57, v22
	v_mul_u32_u24_e32 v57, 0x10001, v98
	v_mul_u32_u24_e32 v77, 0x10001, v103
	v_and_b32_e32 v115, 0xffff, v63
	s_wait_dscnt 0x8
	v_pk_fma_f16 v30, v79, v55, v30
	v_lshrrev_b32_e32 v116, 16, v64
	v_pk_fma_f16 v22, v78, v57, v22
	v_mul_u32_u24_e32 v57, 0x10001, v100
	v_mul_u32_u24_e32 v78, 0x10001, v102
	v_pk_fma_f16 v30, v80, v56, v30
	v_and_b32_e32 v117, 0xffff, v64
	v_lshrrev_b32_e32 v118, 16, v65
	v_pk_fma_f16 v22, v79, v57, v22
	v_and_b32_e32 v119, 0xffff, v65
	s_wait_dscnt 0x7
	v_pk_fma_f16 v30, v81, v77, v30
	v_mul_u32_u24_e32 v77, 0x10001, v107
	v_lshrrev_b32_e32 v120, 16, v66
	v_pk_fma_f16 v22, v80, v75, v22
	v_mul_u32_u24_e32 v80, 0x10001, v105
	v_and_b32_e32 v121, 0xffff, v66
	s_wait_dscnt 0x1
	v_lshrrev_b32_e32 v122, 16, v67
	v_and_b32_e32 v123, 0xffff, v67
	v_pk_fma_f16 v22, v81, v78, v22
	v_mul_u32_u24_e32 v78, 0x10001, v106
	v_pk_fma_f16 v30, v82, v80, v30
	v_mul_u32_u24_e32 v81, 0x10001, v109
	ds_load_2addr_b32 v[59:60], v45 offset0:64 offset1:96
	v_pk_fma_f16 v22, v82, v93, v22
	v_mul_u32_u24_e32 v82, 0x10001, v108
	v_pk_fma_f16 v30, v83, v77, v30
	v_mul_u32_u24_e32 v77, 0x10001, v111
	v_lshrrev_b32_e32 v124, 16, v68
	v_pk_fma_f16 v22, v83, v78, v22
	v_mul_u32_u24_e32 v78, 0x10001, v110
	v_pk_fma_f16 v30, v84, v81, v30
	v_mul_u32_u24_e32 v83, 0x10001, v112
	v_and_b32_e32 v125, 0xffff, v68
	v_pk_fma_f16 v22, v84, v82, v22
	v_mul_u32_u24_e32 v82, 0x10001, v113
	v_pk_fma_f16 v30, v85, v77, v30
	v_mul_u32_u24_e32 v77, 0x10001, v115
	v_mul_u32_u24_e32 v84, 0x10001, v116
	v_pk_fma_f16 v22, v85, v78, v22
	v_mul_u32_u24_e32 v78, 0x10001, v114
	v_pk_fma_f16 v30, v86, v82, v30
	v_mul_u32_u24_e32 v85, 0x10001, v120
	v_lshrrev_b32_e32 v126, 16, v69
	v_pk_fma_f16 v22, v86, v83, v22
	v_mul_u32_u24_e32 v83, 0x10001, v117
	v_pk_fma_f16 v30, v87, v77, v30
	v_mul_u32_u24_e32 v77, 0x10001, v119
	v_and_b32_e32 v127, 0xffff, v69
	v_pk_fma_f16 v22, v87, v78, v22
	v_mul_u32_u24_e32 v78, 0x10001, v118
	v_pk_fma_f16 v30, v88, v83, v30
	ds_load_2addr_b32 v[61:62], v45 offset0:128 offset1:160
	v_mul_u32_u24_e32 v86, 0x10001, v124
	v_pk_fma_f16 v22, v88, v84, v22
	v_mul_u32_u24_e32 v84, 0x10001, v121
	v_pk_fma_f16 v30, v89, v77, v30
	v_mul_u32_u24_e32 v77, 0x10001, v123
	v_lshrrev_b32_e32 v128, 16, v70
	v_pk_fma_f16 v22, v89, v78, v22
	v_mul_u32_u24_e32 v78, 0x10001, v122
	v_pk_fma_f16 v30, v90, v84, v30
	v_and_b32_e32 v129, 0xffff, v70
	ds_load_2addr_b32 v[63:64], v45 offset0:192 offset1:224
	v_pk_fma_f16 v22, v90, v85, v22
	v_mul_u32_u24_e32 v85, 0x10001, v125
	v_pk_fma_f16 v30, v91, v77, v30
	v_mul_u32_u24_e32 v77, 0x10001, v127
	ds_load_b128 v[51:54], v38 offset:96
	ds_load_b128 v[55:58], v38 offset:112
	v_pk_fma_f16 v22, v91, v78, v22
	v_mul_u32_u24_e32 v78, 0x10001, v126
	v_pk_fma_f16 v30, v92, v85, v30
	s_wait_dscnt 0x5
	v_lshrrev_b32_e32 v79, 16, v71
	v_and_b32_e32 v71, 0xffff, v71
	v_pk_fma_f16 v22, v92, v86, v22
	v_mul_u32_u24_e32 v86, 0x10001, v129
	v_mul_u32_u24_e32 v87, 0x10001, v128
	s_wait_dscnt 0x4
	v_pk_fma_f16 v30, v59, v77, v30
	v_lshrrev_b32_e32 v80, 16, v72
	v_pk_fma_f16 v22, v59, v78, v22
	v_and_b32_e32 v72, 0xffff, v72
	v_mul_u32_u24_e32 v59, 0x10001, v71
	v_mul_u32_u24_e32 v71, 0x10001, v79
	v_pk_fma_f16 v30, v60, v86, v30
	v_pk_fma_f16 v22, v60, v87, v22
	ds_load_2addr_b32 v[65:66], v46 offset1:32
	v_lshrrev_b32_e32 v81, 16, v73
	v_and_b32_e32 v73, 0xffff, v73
	v_mul_u32_u24_e32 v72, 0x10001, v72
	v_mul_u32_u24_e32 v77, 0x10001, v80
	s_wait_dscnt 0x4
	v_pk_fma_f16 v30, v61, v59, v30
	v_pk_fma_f16 v22, v61, v71, v22
	v_lshrrev_b32_e32 v82, 16, v74
	v_and_b32_e32 v74, 0xffff, v74
	v_mul_u32_u24_e32 v59, 0x10001, v73
	v_mul_u32_u24_e32 v61, 0x10001, v81
	v_pk_fma_f16 v30, v62, v72, v30
	v_pk_fma_f16 v22, v62, v77, v22
	ds_load_2addr_b32 v[67:68], v46 offset0:64 offset1:96
	s_wait_dscnt 0x3
	v_lshrrev_b32_e32 v83, 16, v51
	v_and_b32_e32 v51, 0xffff, v51
	v_mul_u32_u24_e32 v71, 0x10001, v74
	v_mul_u32_u24_e32 v72, 0x10001, v82
	v_pk_fma_f16 v30, v63, v59, v30
	v_pk_fma_f16 v22, v63, v61, v22
	v_lshrrev_b32_e32 v84, 16, v52
	v_and_b32_e32 v52, 0xffff, v52
	v_mul_u32_u24_e32 v51, 0x10001, v51
	v_mul_u32_u24_e32 v59, 0x10001, v83
	v_pk_fma_f16 v30, v64, v71, v30
	v_pk_fma_f16 v22, v64, v72, v22
	ds_load_2addr_b32 v[69:70], v46 offset0:128 offset1:160
	v_lshrrev_b32_e32 v85, 16, v53
	v_and_b32_e32 v53, 0xffff, v53
	v_mul_u32_u24_e32 v52, 0x10001, v52
	v_mul_u32_u24_e32 v63, 0x10001, v84
	s_wait_dscnt 0x2
	v_pk_fma_f16 v30, v65, v51, v30
	v_pk_fma_f16 v22, v65, v59, v22
	v_lshrrev_b32_e32 v60, 16, v54
	v_and_b32_e32 v54, 0xffff, v54
	v_lshrrev_b32_e32 v61, 16, v56
	v_and_b32_e32 v51, 0xffff, v56
	v_mul_u32_u24_e32 v53, 0x10001, v53
	v_mul_u32_u24_e32 v56, 0x10001, v85
	v_pk_fma_f16 v30, v66, v52, v30
	v_pk_fma_f16 v22, v66, v63, v22
	ds_load_2addr_b32 v[75:76], v46 offset0:192 offset1:224
	v_lshrrev_b32_e32 v62, 16, v55
	v_and_b32_e32 v55, 0xffff, v55
	v_mul_u32_u24_e32 v54, 0x10001, v54
	v_mul_u32_u24_e32 v59, 0x10001, v60
	s_wait_dscnt 0x2
	v_pk_fma_f16 v30, v67, v53, v30
	v_pk_fma_f16 v22, v67, v56, v22
	s_wait_loadcnt_dscnt 0x0
	s_barrier_signal -1
	s_barrier_wait -1
	global_inv scope:SCOPE_SE
	s_load_b32 s2, s[24:25], 0x4
	v_mul_u32_u24_e32 v55, 0x10001, v55
	v_mul_u32_u24_e32 v56, 0x10001, v62
	v_pk_fma_f16 v30, v68, v54, v30
	v_pk_fma_f16 v22, v68, v59, v22
	v_lshrrev_b32_e32 v52, 16, v57
	v_and_b32_e32 v53, 0xffff, v57
	v_mul_u32_u24_e32 v51, 0x10001, v51
	v_mul_u32_u24_e32 v57, 0x10001, v61
	v_pk_fma_f16 v30, v69, v55, v30
	v_pk_fma_f16 v22, v69, v56, v22
	v_lshrrev_b32_e32 v54, 16, v58
	v_and_b32_e32 v55, 0xffff, v58
	v_mul_u32_u24_e32 v53, 0x10001, v53
	v_mul_u32_u24_e32 v52, 0x10001, v52
	v_pk_fma_f16 v30, v70, v51, v30
	v_pk_fma_f16 v22, v70, v57, v22
	v_mul_u32_u24_e32 v49, 0x10001, v55
	v_mul_u32_u24_e32 v50, 0x10001, v54
	s_delay_alu instid0(VALU_DEP_4) | instskip(NEXT) | instid1(VALU_DEP_4)
	v_pk_fma_f16 v30, v75, v53, v30
	v_pk_fma_f16 v22, v75, v52, v22
	s_wait_kmcnt 0x0
	s_lshl_b32 s2, s2, 5
	s_wait_alu 0xfffe
	s_add_co_i32 s14, s2, s14
	v_pk_fma_f16 v30, v76, v49, v30
	v_pk_fma_f16 v22, v76, v50, v22
	s_wait_alu 0xfffe
	s_cmp_ge_i32 s14, s34
	s_cbranch_scc0 .LBB46_9
; %bb.10:
	v_mov_b32_e32 v4, v23
.LBB46_11:
	v_lshlrev_b32_e32 v10, 1, v0
	v_cmp_lt_i32_e32 vcc_lo, v31, v24
	s_cmp_lg_u64 s[12:13], 0
	s_cselect_b32 s2, -1, 0
	s_cmp_eq_u32 s10, 0
	s_wait_alu 0xfffd
	v_cndmask_b32_e32 v5, v4, v31, vcc_lo
	v_cmp_lt_i32_e32 vcc_lo, v28, v24
	s_cselect_b32 s3, -1, 0
	s_wait_alu 0xfffe
	s_and_b32 s2, s3, s2
	v_lshlrev_b32_e32 v5, 2, v5
	s_wait_alu 0xfffd
	v_cndmask_b32_e32 v7, v4, v28, vcc_lo
	v_cmp_lt_i32_e32 vcc_lo, v27, v24
	ds_bpermute_b32 v6, v5, v48
	v_lshlrev_b32_e32 v7, 2, v7
	s_wait_alu 0xfffd
	v_cndmask_b32_e32 v9, v4, v27, vcc_lo
	v_cmp_lt_i32_e32 vcc_lo, v26, v24
	s_wait_dscnt 0x0
	s_delay_alu instid0(VALU_DEP_2)
	v_dual_add_f32 v6, v48, v6 :: v_dual_lshlrev_b32 v9, 2, v9
	ds_bpermute_b32 v5, v5, v47
	ds_bpermute_b32 v8, v7, v6
	s_wait_dscnt 0x0
	v_dual_add_f32 v6, v6, v8 :: v_dual_add_f32 v5, v47, v5
	ds_bpermute_b32 v7, v7, v5
	s_wait_dscnt 0x0
	v_add_f32_e32 v5, v5, v7
	ds_bpermute_b32 v7, v9, v6
	ds_bpermute_b32 v8, v9, v5
	s_wait_alu 0xfffd
	v_cndmask_b32_e32 v9, v4, v26, vcc_lo
	v_cmp_lt_i32_e32 vcc_lo, v25, v24
	s_delay_alu instid0(VALU_DEP_2) | instskip(SKIP_4) | instid1(VALU_DEP_1)
	v_lshlrev_b32_e32 v9, 2, v9
	s_wait_alu 0xfffd
	v_cndmask_b32_e32 v4, v4, v25, vcc_lo
	s_wait_alu 0xfffe
	s_and_b32 vcc_lo, exec_lo, s2
	v_lshlrev_b32_e32 v4, 2, v4
	s_wait_dscnt 0x0
	v_dual_add_f32 v6, v6, v7 :: v_dual_add_f32 v5, v5, v8
	ds_bpermute_b32 v7, v9, v6
	ds_bpermute_b32 v8, v9, v5
	s_wait_dscnt 0x0
	v_dual_add_f32 v6, v6, v7 :: v_dual_add_f32 v5, v5, v8
	ds_bpermute_b32 v7, v4, v6
	ds_bpermute_b32 v8, v4, v5
	s_wait_dscnt 0x0
	v_dual_add_f32 v4, v6, v7 :: v_dual_add_f32 v5, v5, v8
	s_wait_alu 0xfffe
	s_cbranch_vccz .LBB46_13
; %bb.12:
	s_ashr_i32 s31, s30, 31
	v_dual_mov_b32 v6, 0 :: v_dual_max_num_f32 v11, v3, v3
	s_lshl_b64 s[2:3], s[30:31], 2
	s_wait_alu 0xfffe
	s_add_nc_u64 s[2:3], s[12:13], s[2:3]
	global_load_b64 v[6:7], v6, s[2:3]
	s_wait_loadcnt 0x0
	v_dual_max_num_f32 v9, v6, v6 :: v_dual_max_num_f32 v12, v7, v7
	v_max_num_f32_e32 v8, v2, v2
	s_delay_alu instid0(VALU_DEP_1) | instskip(NEXT) | instid1(VALU_DEP_1)
	v_dual_max_num_f32 v8, v8, v9 :: v_dual_max_num_f32 v9, v11, v12
	v_dual_sub_f32 v2, v2, v8 :: v_dual_sub_f32 v3, v3, v9
	v_sub_f32_e32 v7, v7, v9
	s_delay_alu instid0(VALU_DEP_2) | instskip(NEXT) | instid1(VALU_DEP_3)
	v_dual_mul_f32 v11, 0x3fb8aa3b, v2 :: v_dual_sub_f32 v6, v6, v8
	v_mul_f32_e32 v13, 0x3fb8aa3b, v3
	v_cmp_ngt_f32_e32 vcc_lo, 0xc2ce8ed0, v2
	s_delay_alu instid0(VALU_DEP_3) | instskip(NEXT) | instid1(VALU_DEP_4)
	v_fma_f32 v15, 0x3fb8aa3b, v2, -v11
	v_mul_f32_e32 v12, 0x3fb8aa3b, v6
	v_rndne_f32_e32 v16, v11
	v_mul_f32_e32 v14, 0x3fb8aa3b, v7
	v_rndne_f32_e32 v19, v13
	v_fma_f32 v18, 0x3fb8aa3b, v3, -v13
	v_fma_f32 v17, 0x3fb8aa3b, v6, -v12
	v_rndne_f32_e32 v20, v12
	v_fmac_f32_e32 v15, 0x32a5705f, v2
	v_sub_f32_e32 v11, v11, v16
	v_sub_f32_e32 v13, v13, v19
	v_rndne_f32_e32 v23, v14
	v_dual_fmac_f32 v17, 0x32a5705f, v6 :: v_dual_sub_f32 v12, v12, v20
	v_fmac_f32_e32 v18, 0x32a5705f, v3
	v_fma_f32 v21, 0x3fb8aa3b, v7, -v14
	s_delay_alu instid0(VALU_DEP_4) | instskip(NEXT) | instid1(VALU_DEP_4)
	v_sub_f32_e32 v14, v14, v23
	v_dual_add_f32 v11, v11, v15 :: v_dual_add_f32 v12, v12, v17
	v_cvt_i32_f32_e32 v17, v20
	v_cvt_i32_f32_e32 v15, v16
	v_cvt_i32_f32_e32 v16, v19
	s_delay_alu instid0(VALU_DEP_4) | instskip(SKIP_1) | instid1(TRANS32_DEP_2)
	v_exp_f32_e32 v11, v11
	v_exp_f32_e32 v12, v12
	v_ldexp_f32 v11, v11, v15
	s_delay_alu instid0(TRANS32_DEP_1)
	v_ldexp_f32 v12, v12, v17
	v_fmac_f32_e32 v21, 0x32a5705f, v7
	v_add_f32_e32 v13, v13, v18
	v_cvt_i32_f32_e32 v15, v23
	s_wait_alu 0xfffd
	v_cndmask_b32_e32 v11, 0, v11, vcc_lo
	v_cmp_ngt_f32_e32 vcc_lo, 0xc2ce8ed0, v3
	v_add_f32_e32 v14, v14, v21
	v_exp_f32_e32 v13, v13
	s_delay_alu instid0(VALU_DEP_1) | instskip(NEXT) | instid1(TRANS32_DEP_2)
	v_exp_f32_e32 v14, v14
	v_ldexp_f32 v13, v13, v16
	s_wait_alu 0xfffd
	s_delay_alu instid0(VALU_DEP_1) | instskip(SKIP_4) | instid1(TRANS32_DEP_1)
	v_cndmask_b32_e32 v13, 0, v13, vcc_lo
	v_cmp_nlt_f32_e32 vcc_lo, 0x42b17218, v2
	s_wait_alu 0xfffd
	v_cndmask_b32_e32 v2, 0x7f800000, v11, vcc_lo
	v_cmp_nlt_f32_e32 vcc_lo, 0x42b17218, v3
	v_ldexp_f32 v11, v14, v15
	s_wait_alu 0xfffd
	v_cndmask_b32_e32 v3, 0x7f800000, v13, vcc_lo
	v_cmp_ngt_f32_e32 vcc_lo, 0xc2ce8ed0, v6
	v_cvt_f16_f32_e32 v13, v2
	s_wait_alu 0xfffd
	v_cndmask_b32_e32 v12, 0, v12, vcc_lo
	v_cmp_ngt_f32_e32 vcc_lo, 0xc2ce8ed0, v7
	s_wait_alu 0xfffd
	v_cndmask_b32_e32 v11, 0, v11, vcc_lo
	v_cmp_nlt_f32_e32 vcc_lo, 0x42b17218, v6
	s_wait_alu 0xfffd
	v_cndmask_b32_e32 v6, 0x7f800000, v12, vcc_lo
	v_cmp_nlt_f32_e32 vcc_lo, 0x42b17218, v7
	v_and_b32_e32 v12, 0xffff, v13
	s_wait_alu 0xfffd
	s_delay_alu instid0(VALU_DEP_3) | instskip(NEXT) | instid1(VALU_DEP_2)
	v_dual_fmac_f32 v6, v4, v2 :: v_dual_cndmask_b32 v7, 0x7f800000, v11
	v_mul_u32_u24_e32 v11, 0x10001, v12
	s_delay_alu instid0(VALU_DEP_2) | instskip(SKIP_1) | instid1(VALU_DEP_4)
	v_mov_b32_e32 v4, v6
	v_cvt_f16_f32_e32 v14, v3
	v_dual_fmac_f32 v7, v5, v3 :: v_dual_mov_b32 v2, v8
	v_mov_b32_e32 v3, v9
	v_pk_mul_f16 v30, v30, v11
	s_delay_alu instid0(VALU_DEP_4) | instskip(NEXT) | instid1(VALU_DEP_4)
	v_and_b32_e32 v13, 0xffff, v14
	v_mov_b32_e32 v5, v7
	s_delay_alu instid0(VALU_DEP_2) | instskip(NEXT) | instid1(VALU_DEP_1)
	v_mul_u32_u24_e32 v12, 0x10001, v13
	v_pk_mul_f16 v22, v22, v12
	s_mov_b32 s2, exec_lo
	v_cmpx_gt_i32_e64 s22, v1
	s_cbranch_execnz .LBB46_14
	s_branch .LBB46_22
.LBB46_13:
	s_delay_alu instid0(VALU_DEP_1)
	v_dual_mov_b32 v7, v5 :: v_dual_mov_b32 v6, v4
	s_mov_b32 s2, exec_lo
	v_cmpx_gt_i32_e64 s22, v1
	s_cbranch_execz .LBB46_22
.LBB46_14:
	s_load_b32 s1, s[0:1], 0xd4
	v_mov_b32_e32 v11, 1.0
	s_wait_kmcnt 0x0
	s_cmp_lg_u32 s1, 1
	s_cselect_b32 s3, -1, 0
	s_cmp_eq_u32 s1, 1
	s_cselect_b32 s2, -1, 0
	s_wait_alu 0xfffe
	s_and_b32 vcc_lo, exec_lo, s3
	s_wait_alu 0xfffe
	s_cbranch_vccnz .LBB46_16
; %bb.15:
	v_div_scale_f32 v8, null, v4, v4, 1.0
	s_delay_alu instid0(VALU_DEP_1) | instskip(NEXT) | instid1(TRANS32_DEP_1)
	v_rcp_f32_e32 v9, v8
	v_fma_f32 v11, -v8, v9, 1.0
	s_delay_alu instid0(VALU_DEP_1) | instskip(SKIP_1) | instid1(VALU_DEP_1)
	v_fmac_f32_e32 v9, v11, v9
	v_div_scale_f32 v11, vcc_lo, 1.0, v4, 1.0
	v_mul_f32_e32 v12, v11, v9
	s_delay_alu instid0(VALU_DEP_1) | instskip(NEXT) | instid1(VALU_DEP_1)
	v_fma_f32 v13, -v8, v12, v11
	v_fmac_f32_e32 v12, v13, v9
	s_delay_alu instid0(VALU_DEP_1) | instskip(SKIP_1) | instid1(VALU_DEP_1)
	v_fma_f32 v8, -v8, v12, v11
	s_wait_alu 0xfffd
	v_div_fmas_f32 v8, v8, v9, v12
	s_delay_alu instid0(VALU_DEP_1)
	v_div_fixup_f32 v11, v8, v4, 1.0
.LBB46_16:
	v_mad_co_u64_u32 v[8:9], null, s28, s22, v[1:2]
	v_cvt_f32_f16_e32 v4, v30
	v_mov_b32_e32 v13, 0
	v_lshrrev_b32_e32 v1, 16, v30
	v_cmp_eq_u32_e32 vcc_lo, 0, v0
	s_delay_alu instid0(VALU_DEP_4) | instskip(SKIP_1) | instid1(VALU_DEP_4)
	v_mul_f32_e32 v0, v11, v4
	v_mad_co_u64_u32 v[8:9], null, v8, s23, s[30:31]
	v_cvt_f32_f16_e32 v1, v1
	s_delay_alu instid0(VALU_DEP_1) | instskip(NEXT) | instid1(VALU_DEP_3)
	v_mul_f32_e32 v1, v11, v1
	v_mad_co_u64_u32 v[8:9], null, s1, v8, s[10:11]
	s_delay_alu instid0(VALU_DEP_1) | instskip(NEXT) | instid1(VALU_DEP_1)
	v_lshl_add_u32 v12, v8, 6, v10
	v_lshlrev_b64_e32 v[12:13], 2, v[12:13]
	s_delay_alu instid0(VALU_DEP_1) | instskip(SKIP_1) | instid1(VALU_DEP_2)
	v_add_co_u32 v11, s0, s16, v12
	s_wait_alu 0xf1ff
	v_add_co_ci_u32_e64 v12, null, s17, v13, s0
	s_and_b32 s0, vcc_lo, s3
	global_store_b64 v[11:12], v[0:1], off
	s_wait_alu 0xfffe
	s_and_saveexec_b32 s3, s0
	s_cbranch_execz .LBB46_18
; %bb.17:
	v_ashrrev_i32_e32 v9, 31, v8
	v_dual_mov_b32 v11, v2 :: v_dual_mov_b32 v12, v6
	s_delay_alu instid0(VALU_DEP_2) | instskip(NEXT) | instid1(VALU_DEP_1)
	v_lshlrev_b64_e32 v[0:1], 3, v[8:9]
	v_add_co_u32 v0, vcc_lo, s18, v0
	s_wait_alu 0xfffd
	s_delay_alu instid0(VALU_DEP_2)
	v_add_co_ci_u32_e64 v1, null, s19, v1, vcc_lo
	global_store_b64 v[0:1], v[11:12], off
.LBB46_18:
	s_wait_alu 0xfffe
	s_or_b32 exec_lo, exec_lo, s3
	v_mov_b32_e32 v1, 1.0
	s_and_not1_b32 vcc_lo, exec_lo, s2
	s_wait_alu 0xfffe
	s_cbranch_vccnz .LBB46_20
; %bb.19:
	v_div_scale_f32 v0, null, v5, v5, 1.0
	s_delay_alu instid0(VALU_DEP_1) | instskip(NEXT) | instid1(TRANS32_DEP_1)
	v_rcp_f32_e32 v1, v0
	v_fma_f32 v2, -v0, v1, 1.0
	s_delay_alu instid0(VALU_DEP_1) | instskip(SKIP_1) | instid1(VALU_DEP_1)
	v_fmac_f32_e32 v1, v2, v1
	v_div_scale_f32 v2, vcc_lo, 1.0, v5, 1.0
	v_mul_f32_e32 v4, v2, v1
	s_delay_alu instid0(VALU_DEP_1) | instskip(NEXT) | instid1(VALU_DEP_1)
	v_fma_f32 v6, -v0, v4, v2
	v_fmac_f32_e32 v4, v6, v1
	s_delay_alu instid0(VALU_DEP_1) | instskip(SKIP_1) | instid1(VALU_DEP_1)
	v_fma_f32 v0, -v0, v4, v2
	s_wait_alu 0xfffd
	v_div_fmas_f32 v0, v0, v1, v4
	s_delay_alu instid0(VALU_DEP_1)
	v_div_fixup_f32 v1, v0, v5, 1.0
.LBB46_20:
	v_dual_mov_b32 v5, 0 :: v_dual_add_nc_u32 v0, s1, v8
	v_lshrrev_b32_e32 v2, 16, v22
	v_cvt_f32_f16_e32 v6, v22
	s_delay_alu instid0(VALU_DEP_3) | instskip(NEXT) | instid1(VALU_DEP_3)
	v_lshl_add_u32 v4, v0, 6, v10
	v_cvt_f32_f16_e32 v2, v2
	s_delay_alu instid0(VALU_DEP_3) | instskip(NEXT) | instid1(VALU_DEP_3)
	v_mul_f32_e32 v8, v1, v6
	v_lshlrev_b64_e32 v[4:5], 2, v[4:5]
	s_delay_alu instid0(VALU_DEP_3) | instskip(NEXT) | instid1(VALU_DEP_2)
	v_mul_f32_e32 v9, v1, v2
	v_add_co_u32 v1, vcc_lo, s16, v4
	s_wait_alu 0xfffd
	s_delay_alu instid0(VALU_DEP_3)
	v_add_co_ci_u32_e64 v2, null, s17, v5, vcc_lo
	global_store_b64 v[1:2], v[8:9], off
	s_and_b32 exec_lo, exec_lo, s0
	s_cbranch_execz .LBB46_22
; %bb.21:
	v_ashrrev_i32_e32 v1, 31, v0
	v_mov_b32_e32 v6, v3
	s_delay_alu instid0(VALU_DEP_2) | instskip(NEXT) | instid1(VALU_DEP_1)
	v_lshlrev_b64_e32 v[0:1], 3, v[0:1]
	v_add_co_u32 v0, vcc_lo, s18, v0
	s_wait_alu 0xfffd
	s_delay_alu instid0(VALU_DEP_2)
	v_add_co_ci_u32_e64 v1, null, s19, v1, vcc_lo
	global_store_b64 v[0:1], v[6:7], off
	s_nop 0
	s_sendmsg sendmsg(MSG_DEALLOC_VGPRS)
	s_endpgm
.LBB46_22:
	s_nop 0
	s_sendmsg sendmsg(MSG_DEALLOC_VGPRS)
	s_endpgm
	.section	.rodata,"a",@progbits
	.p2align	6, 0x0
	.amdhsa_kernel _ZL15flash_attn_tileILi64ELi64ELi2ELi2ELb0EEvPKcS1_S1_S1_S1_PKiPfP15HIP_vector_typeIfLj2EEffffjfiS5_IjLj3EEiiiiiiiiiiiliiliiiiil
		.amdhsa_group_segment_fixed_size 5376
		.amdhsa_private_segment_fixed_size 0
		.amdhsa_kernarg_size 464
		.amdhsa_user_sgpr_count 2
		.amdhsa_user_sgpr_dispatch_ptr 0
		.amdhsa_user_sgpr_queue_ptr 0
		.amdhsa_user_sgpr_kernarg_segment_ptr 1
		.amdhsa_user_sgpr_dispatch_id 0
		.amdhsa_user_sgpr_private_segment_size 0
		.amdhsa_wavefront_size32 1
		.amdhsa_uses_dynamic_stack 0
		.amdhsa_enable_private_segment 0
		.amdhsa_system_sgpr_workgroup_id_x 1
		.amdhsa_system_sgpr_workgroup_id_y 1
		.amdhsa_system_sgpr_workgroup_id_z 1
		.amdhsa_system_sgpr_workgroup_info 0
		.amdhsa_system_vgpr_workitem_id 1
		.amdhsa_next_free_vgpr 130
		.amdhsa_next_free_sgpr 42
		.amdhsa_reserve_vcc 1
		.amdhsa_float_round_mode_32 0
		.amdhsa_float_round_mode_16_64 0
		.amdhsa_float_denorm_mode_32 3
		.amdhsa_float_denorm_mode_16_64 3
		.amdhsa_fp16_overflow 0
		.amdhsa_workgroup_processor_mode 1
		.amdhsa_memory_ordered 1
		.amdhsa_forward_progress 1
		.amdhsa_inst_pref_size 54
		.amdhsa_round_robin_scheduling 0
		.amdhsa_exception_fp_ieee_invalid_op 0
		.amdhsa_exception_fp_denorm_src 0
		.amdhsa_exception_fp_ieee_div_zero 0
		.amdhsa_exception_fp_ieee_overflow 0
		.amdhsa_exception_fp_ieee_underflow 0
		.amdhsa_exception_fp_ieee_inexact 0
		.amdhsa_exception_int_div_zero 0
	.end_amdhsa_kernel
	.section	.text._ZL15flash_attn_tileILi64ELi64ELi2ELi2ELb0EEvPKcS1_S1_S1_S1_PKiPfP15HIP_vector_typeIfLj2EEffffjfiS5_IjLj3EEiiiiiiiiiiiliiliiiiil,"axG",@progbits,_ZL15flash_attn_tileILi64ELi64ELi2ELi2ELb0EEvPKcS1_S1_S1_S1_PKiPfP15HIP_vector_typeIfLj2EEffffjfiS5_IjLj3EEiiiiiiiiiiiliiliiiiil,comdat
.Lfunc_end46:
	.size	_ZL15flash_attn_tileILi64ELi64ELi2ELi2ELb0EEvPKcS1_S1_S1_S1_PKiPfP15HIP_vector_typeIfLj2EEffffjfiS5_IjLj3EEiiiiiiiiiiiliiliiiiil, .Lfunc_end46-_ZL15flash_attn_tileILi64ELi64ELi2ELi2ELb0EEvPKcS1_S1_S1_S1_PKiPfP15HIP_vector_typeIfLj2EEffffjfiS5_IjLj3EEiiiiiiiiiiiliiliiiiil
                                        ; -- End function
	.set _ZL15flash_attn_tileILi64ELi64ELi2ELi2ELb0EEvPKcS1_S1_S1_S1_PKiPfP15HIP_vector_typeIfLj2EEffffjfiS5_IjLj3EEiiiiiiiiiiiliiliiiiil.num_vgpr, 130
	.set _ZL15flash_attn_tileILi64ELi64ELi2ELi2ELb0EEvPKcS1_S1_S1_S1_PKiPfP15HIP_vector_typeIfLj2EEffffjfiS5_IjLj3EEiiiiiiiiiiiliiliiiiil.num_agpr, 0
	.set _ZL15flash_attn_tileILi64ELi64ELi2ELi2ELb0EEvPKcS1_S1_S1_S1_PKiPfP15HIP_vector_typeIfLj2EEffffjfiS5_IjLj3EEiiiiiiiiiiiliiliiiiil.numbered_sgpr, 42
	.set _ZL15flash_attn_tileILi64ELi64ELi2ELi2ELb0EEvPKcS1_S1_S1_S1_PKiPfP15HIP_vector_typeIfLj2EEffffjfiS5_IjLj3EEiiiiiiiiiiiliiliiiiil.num_named_barrier, 0
	.set _ZL15flash_attn_tileILi64ELi64ELi2ELi2ELb0EEvPKcS1_S1_S1_S1_PKiPfP15HIP_vector_typeIfLj2EEffffjfiS5_IjLj3EEiiiiiiiiiiiliiliiiiil.private_seg_size, 0
	.set _ZL15flash_attn_tileILi64ELi64ELi2ELi2ELb0EEvPKcS1_S1_S1_S1_PKiPfP15HIP_vector_typeIfLj2EEffffjfiS5_IjLj3EEiiiiiiiiiiiliiliiiiil.uses_vcc, 1
	.set _ZL15flash_attn_tileILi64ELi64ELi2ELi2ELb0EEvPKcS1_S1_S1_S1_PKiPfP15HIP_vector_typeIfLj2EEffffjfiS5_IjLj3EEiiiiiiiiiiiliiliiiiil.uses_flat_scratch, 0
	.set _ZL15flash_attn_tileILi64ELi64ELi2ELi2ELb0EEvPKcS1_S1_S1_S1_PKiPfP15HIP_vector_typeIfLj2EEffffjfiS5_IjLj3EEiiiiiiiiiiiliiliiiiil.has_dyn_sized_stack, 0
	.set _ZL15flash_attn_tileILi64ELi64ELi2ELi2ELb0EEvPKcS1_S1_S1_S1_PKiPfP15HIP_vector_typeIfLj2EEffffjfiS5_IjLj3EEiiiiiiiiiiiliiliiiiil.has_recursion, 0
	.set _ZL15flash_attn_tileILi64ELi64ELi2ELi2ELb0EEvPKcS1_S1_S1_S1_PKiPfP15HIP_vector_typeIfLj2EEffffjfiS5_IjLj3EEiiiiiiiiiiiliiliiiiil.has_indirect_call, 0
	.section	.AMDGPU.csdata,"",@progbits
; Kernel info:
; codeLenInByte = 6852
; TotalNumSgprs: 44
; NumVgprs: 130
; ScratchSize: 0
; MemoryBound: 0
; FloatMode: 240
; IeeeMode: 1
; LDSByteSize: 5376 bytes/workgroup (compile time only)
; SGPRBlocks: 0
; VGPRBlocks: 16
; NumSGPRsForWavesPerEU: 44
; NumVGPRsForWavesPerEU: 130
; Occupancy: 10
; WaveLimiterHint : 1
; COMPUTE_PGM_RSRC2:SCRATCH_EN: 0
; COMPUTE_PGM_RSRC2:USER_SGPR: 2
; COMPUTE_PGM_RSRC2:TRAP_HANDLER: 0
; COMPUTE_PGM_RSRC2:TGID_X_EN: 1
; COMPUTE_PGM_RSRC2:TGID_Y_EN: 1
; COMPUTE_PGM_RSRC2:TGID_Z_EN: 1
; COMPUTE_PGM_RSRC2:TIDIG_COMP_CNT: 1
	.section	.text._ZL33flash_attn_stream_k_fixup_uniformILi64ELi2ELi2EEvPfPK15HIP_vector_typeIfLj2EEiiiiiiS1_IjLj3EES5_S5_,"axG",@progbits,_ZL33flash_attn_stream_k_fixup_uniformILi64ELi2ELi2EEvPfPK15HIP_vector_typeIfLj2EEiiiiiiS1_IjLj3EES5_S5_,comdat
	.globl	_ZL33flash_attn_stream_k_fixup_uniformILi64ELi2ELi2EEvPfPK15HIP_vector_typeIfLj2EEiiiiiiS1_IjLj3EES5_S5_ ; -- Begin function _ZL33flash_attn_stream_k_fixup_uniformILi64ELi2ELi2EEvPfPK15HIP_vector_typeIfLj2EEiiiiiiS1_IjLj3EES5_S5_
	.p2align	8
	.type	_ZL33flash_attn_stream_k_fixup_uniformILi64ELi2ELi2EEvPfPK15HIP_vector_typeIfLj2EEiiiiiiS1_IjLj3EES5_S5_,@function
_ZL33flash_attn_stream_k_fixup_uniformILi64ELi2ELi2EEvPfPK15HIP_vector_typeIfLj2EEiiiiiiS1_IjLj3EES5_S5_: ; @_ZL33flash_attn_stream_k_fixup_uniformILi64ELi2ELi2EEvPfPK15HIP_vector_typeIfLj2EEiiiiiiS1_IjLj3EES5_S5_
; %bb.0:
	s_clause 0x1
	s_load_b256 s[4:11], s[0:1], 0x1c
	s_load_b128 s[12:15], s[0:1], 0x3c
	s_wait_kmcnt 0x0
	s_mul_hi_u32 s2, s7, ttmp9
	s_delay_alu instid0(SALU_CYCLE_1) | instskip(NEXT) | instid1(SALU_CYCLE_1)
	s_add_co_i32 s2, ttmp9, s2
	s_lshr_b32 s2, s2, s8
	s_delay_alu instid0(SALU_CYCLE_1) | instskip(SKIP_2) | instid1(SALU_CYCLE_1)
	s_mul_i32 s3, s2, s9
	s_load_b64 s[8:9], s[0:1], 0x10
	s_sub_co_i32 s7, ttmp9, s3
	s_mul_hi_u32 s3, s7, s10
	s_delay_alu instid0(SALU_CYCLE_1) | instskip(NEXT) | instid1(SALU_CYCLE_1)
	s_add_co_i32 s3, s7, s3
	s_lshr_b32 s3, s3, s11
	s_delay_alu instid0(SALU_CYCLE_1) | instskip(NEXT) | instid1(SALU_CYCLE_1)
	s_mul_i32 s10, s3, s12
	s_sub_co_i32 s7, s7, s10
	s_delay_alu instid0(SALU_CYCLE_1) | instskip(NEXT) | instid1(SALU_CYCLE_1)
	s_mul_hi_u32 s10, s7, s13
	s_add_co_i32 s10, s7, s10
	s_delay_alu instid0(SALU_CYCLE_1) | instskip(NEXT) | instid1(SALU_CYCLE_1)
	s_lshr_b32 s12, s10, s14
	s_mul_i32 s10, s12, s15
	s_lshl_b32 s12, s12, 1
	s_sub_co_i32 s11, s7, s10
	s_and_b32 s7, ttmp7, 0xffff
	s_lshl_b32 s13, s11, 1
	s_lshr_b32 s10, ttmp7, 16
	s_add_co_i32 s13, s13, s7
	s_wait_kmcnt 0x0
	s_cmp_lt_i32 s13, s8
	s_cselect_b32 s13, -1, 0
	s_add_co_i32 s14, s12, s10
	s_delay_alu instid0(SALU_CYCLE_1) | instskip(SKIP_1) | instid1(SALU_CYCLE_1)
	s_cmp_lt_i32 s14, s5
	s_cselect_b32 s14, -1, 0
	s_and_b32 s13, s13, s14
	s_delay_alu instid0(SALU_CYCLE_1)
	s_and_not1_b32 vcc_lo, exec_lo, s13
	s_cbranch_vccnz .LBB47_6
; %bb.1:
	s_mul_i32 s2, s2, s8
	s_mul_i32 s5, s3, s5
	s_add_co_i32 s2, s2, s7
	s_delay_alu instid0(SALU_CYCLE_1) | instskip(NEXT) | instid1(SALU_CYCLE_1)
	s_mul_i32 s2, s2, s9
	s_add_co_i32 s8, s2, s10
	s_load_b128 s[0:3], s[0:1], 0x0
	s_add_co_i32 s5, s8, s5
	s_mul_i32 s8, s9, s11
	s_add_co_i32 s5, s5, s12
	s_lshl_b32 s8, s8, 7
	s_lshl_b32 s5, s5, 6
	s_delay_alu instid0(SALU_CYCLE_1)
	s_add_co_i32 s8, s8, s5
	s_lshl_b32 s5, s7, 1
	v_or_b32_e32 v1, s8, v0
	s_mul_i32 s8, s6, ttmp9
	s_wait_alu 0xfffe
	s_add_co_i32 s9, s8, s6
	s_wait_alu 0xfffe
	s_add_co_i32 s12, s9, -2
	v_ashrrev_i32_e32 v2, 31, v1
	s_delay_alu instid0(VALU_DEP_1) | instskip(SKIP_1) | instid1(VALU_DEP_1)
	v_lshlrev_b64_e32 v[1:2], 2, v[1:2]
	s_wait_kmcnt 0x0
	v_add_co_u32 v1, vcc_lo, s0, v1
	s_delay_alu instid0(VALU_DEP_1)
	v_add_co_ci_u32_e64 v2, null, s1, v2, vcc_lo
	s_add_co_i32 s0, s5, s10
	s_lshl_b32 s1, s9, 2
	global_load_b32 v5, v[1:2], off
	s_wait_alu 0xfffe
	s_add_co_i32 s0, s0, s1
	s_wait_alu 0xfffe
	s_add_co_i32 s0, s0, -4
	s_wait_alu 0xfffe
	s_ashr_i32 s1, s0, 31
	s_wait_alu 0xfffe
	s_lshl_b64 s[0:1], s[0:1], 3
	s_cmp_lt_i32 s12, s8
	s_wait_alu 0xfffe
	s_add_nc_u64 s[0:1], s[2:3], s[0:1]
	s_load_b32 s11, s[0:1], 0x4
	s_cbranch_scc1 .LBB47_4
; %bb.2:
	s_load_b32 s0, s[0:1], 0x0
	s_add_co_i32 s13, ttmp9, 1
	s_lshl_b32 s12, s4, 4
	s_mul_i32 s1, s6, s13
	s_lshl_b32 s6, s7, 7
	s_lshl_b32 s7, s10, 6
	s_wait_alu 0xfffe
	s_lshl_b32 s14, s1, 8
	s_add_co_i32 s6, s7, s6
	s_lshl_b32 s1, s1, 2
	s_add_co_i32 s14, s6, s14
	s_wait_alu 0xfffe
	s_add_co_i32 s1, s10, s1
	v_or_b32_e32 v0, s14, v0
	s_lshl_b32 s4, s4, 2
	s_ashr_i32 s13, s12, 31
	s_wait_alu 0xfffe
	s_add_co_i32 s1, s1, s4
	s_wait_kmcnt 0x0
	v_dual_mov_b32 v6, s11 :: v_dual_add_nc_u32 v3, 0xfffffe00, v0
	s_lshl_b64 s[6:7], s[12:13], 2
	s_wait_alu 0xfffe
	s_add_co_i32 s4, s1, s5
	s_add_nc_u64 s[6:7], s[2:3], s[6:7]
	s_add_co_i32 s1, s9, -1
	s_add_co_i32 s4, s4, -8
.LBB47_3:                               ; =>This Inner Loop Header: Depth=1
	v_ashrrev_i32_e32 v4, 31, v3
	s_ashr_i32 s5, s4, 31
	v_mov_b32_e32 v10, v6
	s_lshl_b64 s[10:11], s[4:5], 3
	s_wait_loadcnt 0x0
	v_mov_b32_e32 v9, v5
	v_lshlrev_b64_e32 v[7:8], 2, v[3:4]
	s_wait_alu 0xfffe
	s_add_nc_u64 s[10:11], s[2:3], s[10:11]
	v_max_num_f32_e64 v4, s0, s0
	s_load_b64 s[10:11], s[10:11], 0x0
	v_add_nc_u32_e32 v3, 0xffffff00, v3
	v_add_co_u32 v7, vcc_lo, s6, v7
	s_wait_alu 0xfffd
	v_add_co_ci_u32_e64 v8, null, s7, v8, vcc_lo
	v_readfirstlane_b32 s5, v4
	global_load_b32 v0, v[7:8], off
	s_wait_kmcnt 0x0
	v_max_num_f32_e64 v4, s10, s10
	s_delay_alu instid0(VALU_DEP_1) | instskip(SKIP_1) | instid1(SALU_CYCLE_3)
	v_readfirstlane_b32 s9, v4
	s_max_num_f32 s5, s5, s9
	s_sub_f32 s0, s0, s5
	s_sub_f32 s9, s10, s5
	s_wait_alu 0xfffe
	s_delay_alu instid0(SALU_CYCLE_1) | instskip(NEXT) | instid1(SALU_CYCLE_1)
	s_mul_f32 s10, s0, 0x3fb8aa3b
	s_mul_f32 s12, s9, 0x3fb8aa3b
	s_wait_alu 0xfffe
	s_delay_alu instid0(SALU_CYCLE_1)
	s_xor_b32 s13, s10, 0x80000000
	s_rndne_f32 s14, s10
	s_fmamk_f32 s13, s0, 0x3fb8aa3b, s13
	s_cmp_nlt_f32 s0, 0xc2ce8ed0
	s_rndne_f32 s15, s12
	s_wait_alu 0xfffe
	s_sub_f32 s10, s10, s14
	s_fmamk_f32 s13, s0, 0x32a5705f, s13
	s_cvt_i32_f32 s14, s14
	s_cselect_b32 vcc_lo, -1, 0
	s_cmp_ngt_f32 s0, 0x42b17218
	s_wait_alu 0xfffe
	s_add_f32 s10, s10, s13
	s_sub_f32 s13, s12, s15
	s_wait_alu 0xfffe
	s_delay_alu instid0(SALU_CYCLE_1) | instskip(SKIP_1) | instid1(TRANS32_DEP_1)
	v_s_exp_f32 s10, s10
	s_wait_alu 0xf1ff
	v_ldexp_f32 v4, s10, s14
	s_cvt_i32_f32 s10, s15
	s_delay_alu instid0(VALU_DEP_1) | instskip(SKIP_3) | instid1(VALU_DEP_1)
	v_cndmask_b32_e32 v4, 0, v4, vcc_lo
	s_cselect_b32 vcc_lo, -1, 0
	s_cmp_ge_f32 s0, 0xc1a00000
	s_wait_alu 0xfffe
	v_cndmask_b32_e32 v4, 0x7f800000, v4, vcc_lo
	s_cselect_b32 vcc_lo, -1, 0
	s_xor_b32 s0, s12, 0x80000000
	s_cmp_nlt_f32 s9, 0xc2ce8ed0
	s_wait_alu 0xfffe
	s_fmamk_f32 s0, s9, 0x3fb8aa3b, s0
	s_wait_alu 0xfffe
	s_delay_alu instid0(SALU_CYCLE_2) | instskip(SKIP_1) | instid1(SALU_CYCLE_2)
	s_fmamk_f32 s0, s9, 0x32a5705f, s0
	s_wait_alu 0xfffe
	s_add_f32 s0, s13, s0
	s_wait_alu 0xfffe
	s_delay_alu instid0(SALU_CYCLE_2) | instskip(SKIP_1) | instid1(TRANS32_DEP_1)
	v_s_exp_f32 s0, s0
	s_wait_alu 0xf1ff
	v_ldexp_f32 v7, s0, s10
	s_cselect_b32 s0, -1, 0
	s_cmp_ngt_f32 s9, 0x42b17218
	s_wait_alu 0xfffe
	s_delay_alu instid0(VALU_DEP_1) | instskip(SKIP_3) | instid1(VALU_DEP_1)
	v_cndmask_b32_e64 v7, 0, v7, s0
	s_cselect_b32 s0, -1, 0
	s_cmp_ge_f32 s9, 0xc1a00000
	s_wait_alu 0xfffe
	v_cndmask_b32_e64 v7, 0x7f800000, v7, s0
	s_cselect_b32 s0, -1, 0
	s_add_co_i32 s1, s1, -1
	s_add_co_i32 s4, s4, -4
	s_wait_alu 0xfffe
	s_cmp_le_i32 s1, s8
	v_cndmask_b32_e64 v7, 0, v7, s0
	s_mov_b32 s0, s5
	s_wait_loadcnt 0x0
	s_delay_alu instid0(VALU_DEP_1) | instskip(NEXT) | instid1(VALU_DEP_1)
	v_dual_mul_f32 v5, v0, v7 :: v_dual_cndmask_b32 v4, 0, v4
	v_dual_mul_f32 v8, s11, v7 :: v_dual_fmac_f32 v5, v9, v4
	s_delay_alu instid0(VALU_DEP_1) | instskip(NEXT) | instid1(VALU_DEP_1)
	v_mov_b32_e32 v6, v8
	v_fmac_f32_e32 v6, v10, v4
	s_cbranch_scc0 .LBB47_3
	s_branch .LBB47_5
.LBB47_4:
	s_wait_kmcnt 0x0
	v_mov_b32_e32 v6, s11
.LBB47_5:
	s_wait_loadcnt 0x0
	s_delay_alu instid0(VALU_DEP_1) | instskip(NEXT) | instid1(VALU_DEP_1)
	v_div_scale_f32 v0, null, v6, v6, v5
	v_rcp_f32_e32 v3, v0
	s_delay_alu instid0(TRANS32_DEP_1) | instskip(NEXT) | instid1(VALU_DEP_1)
	v_fma_f32 v4, -v0, v3, 1.0
	v_fmac_f32_e32 v3, v4, v3
	v_div_scale_f32 v4, vcc_lo, v5, v6, v5
	s_delay_alu instid0(VALU_DEP_1) | instskip(NEXT) | instid1(VALU_DEP_1)
	v_mul_f32_e32 v7, v4, v3
	v_fma_f32 v8, -v0, v7, v4
	s_delay_alu instid0(VALU_DEP_1) | instskip(NEXT) | instid1(VALU_DEP_1)
	v_fmac_f32_e32 v7, v8, v3
	v_fma_f32 v0, -v0, v7, v4
	s_wait_alu 0xfffd
	s_delay_alu instid0(VALU_DEP_1) | instskip(NEXT) | instid1(VALU_DEP_1)
	v_div_fmas_f32 v0, v0, v3, v7
	v_div_fixup_f32 v0, v0, v6, v5
	global_store_b32 v[1:2], v0, off
.LBB47_6:
	s_endpgm
	.section	.rodata,"a",@progbits
	.p2align	6, 0x0
	.amdhsa_kernel _ZL33flash_attn_stream_k_fixup_uniformILi64ELi2ELi2EEvPfPK15HIP_vector_typeIfLj2EEiiiiiiS1_IjLj3EES5_S5_
		.amdhsa_group_segment_fixed_size 0
		.amdhsa_private_segment_fixed_size 0
		.amdhsa_kernarg_size 76
		.amdhsa_user_sgpr_count 2
		.amdhsa_user_sgpr_dispatch_ptr 0
		.amdhsa_user_sgpr_queue_ptr 0
		.amdhsa_user_sgpr_kernarg_segment_ptr 1
		.amdhsa_user_sgpr_dispatch_id 0
		.amdhsa_user_sgpr_private_segment_size 0
		.amdhsa_wavefront_size32 1
		.amdhsa_uses_dynamic_stack 0
		.amdhsa_enable_private_segment 0
		.amdhsa_system_sgpr_workgroup_id_x 1
		.amdhsa_system_sgpr_workgroup_id_y 1
		.amdhsa_system_sgpr_workgroup_id_z 1
		.amdhsa_system_sgpr_workgroup_info 0
		.amdhsa_system_vgpr_workitem_id 0
		.amdhsa_next_free_vgpr 11
		.amdhsa_next_free_sgpr 16
		.amdhsa_reserve_vcc 1
		.amdhsa_float_round_mode_32 0
		.amdhsa_float_round_mode_16_64 0
		.amdhsa_float_denorm_mode_32 3
		.amdhsa_float_denorm_mode_16_64 3
		.amdhsa_fp16_overflow 0
		.amdhsa_workgroup_processor_mode 1
		.amdhsa_memory_ordered 1
		.amdhsa_forward_progress 1
		.amdhsa_inst_pref_size 9
		.amdhsa_round_robin_scheduling 0
		.amdhsa_exception_fp_ieee_invalid_op 0
		.amdhsa_exception_fp_denorm_src 0
		.amdhsa_exception_fp_ieee_div_zero 0
		.amdhsa_exception_fp_ieee_overflow 0
		.amdhsa_exception_fp_ieee_underflow 0
		.amdhsa_exception_fp_ieee_inexact 0
		.amdhsa_exception_int_div_zero 0
	.end_amdhsa_kernel
	.section	.text._ZL33flash_attn_stream_k_fixup_uniformILi64ELi2ELi2EEvPfPK15HIP_vector_typeIfLj2EEiiiiiiS1_IjLj3EES5_S5_,"axG",@progbits,_ZL33flash_attn_stream_k_fixup_uniformILi64ELi2ELi2EEvPfPK15HIP_vector_typeIfLj2EEiiiiiiS1_IjLj3EES5_S5_,comdat
.Lfunc_end47:
	.size	_ZL33flash_attn_stream_k_fixup_uniformILi64ELi2ELi2EEvPfPK15HIP_vector_typeIfLj2EEiiiiiiS1_IjLj3EES5_S5_, .Lfunc_end47-_ZL33flash_attn_stream_k_fixup_uniformILi64ELi2ELi2EEvPfPK15HIP_vector_typeIfLj2EEiiiiiiS1_IjLj3EES5_S5_
                                        ; -- End function
	.set _ZL33flash_attn_stream_k_fixup_uniformILi64ELi2ELi2EEvPfPK15HIP_vector_typeIfLj2EEiiiiiiS1_IjLj3EES5_S5_.num_vgpr, 11
	.set _ZL33flash_attn_stream_k_fixup_uniformILi64ELi2ELi2EEvPfPK15HIP_vector_typeIfLj2EEiiiiiiS1_IjLj3EES5_S5_.num_agpr, 0
	.set _ZL33flash_attn_stream_k_fixup_uniformILi64ELi2ELi2EEvPfPK15HIP_vector_typeIfLj2EEiiiiiiS1_IjLj3EES5_S5_.numbered_sgpr, 16
	.set _ZL33flash_attn_stream_k_fixup_uniformILi64ELi2ELi2EEvPfPK15HIP_vector_typeIfLj2EEiiiiiiS1_IjLj3EES5_S5_.num_named_barrier, 0
	.set _ZL33flash_attn_stream_k_fixup_uniformILi64ELi2ELi2EEvPfPK15HIP_vector_typeIfLj2EEiiiiiiS1_IjLj3EES5_S5_.private_seg_size, 0
	.set _ZL33flash_attn_stream_k_fixup_uniformILi64ELi2ELi2EEvPfPK15HIP_vector_typeIfLj2EEiiiiiiS1_IjLj3EES5_S5_.uses_vcc, 1
	.set _ZL33flash_attn_stream_k_fixup_uniformILi64ELi2ELi2EEvPfPK15HIP_vector_typeIfLj2EEiiiiiiS1_IjLj3EES5_S5_.uses_flat_scratch, 0
	.set _ZL33flash_attn_stream_k_fixup_uniformILi64ELi2ELi2EEvPfPK15HIP_vector_typeIfLj2EEiiiiiiS1_IjLj3EES5_S5_.has_dyn_sized_stack, 0
	.set _ZL33flash_attn_stream_k_fixup_uniformILi64ELi2ELi2EEvPfPK15HIP_vector_typeIfLj2EEiiiiiiS1_IjLj3EES5_S5_.has_recursion, 0
	.set _ZL33flash_attn_stream_k_fixup_uniformILi64ELi2ELi2EEvPfPK15HIP_vector_typeIfLj2EEiiiiiiS1_IjLj3EES5_S5_.has_indirect_call, 0
	.section	.AMDGPU.csdata,"",@progbits
; Kernel info:
; codeLenInByte = 1140
; TotalNumSgprs: 18
; NumVgprs: 11
; ScratchSize: 0
; MemoryBound: 0
; FloatMode: 240
; IeeeMode: 1
; LDSByteSize: 0 bytes/workgroup (compile time only)
; SGPRBlocks: 0
; VGPRBlocks: 1
; NumSGPRsForWavesPerEU: 18
; NumVGPRsForWavesPerEU: 11
; Occupancy: 16
; WaveLimiterHint : 0
; COMPUTE_PGM_RSRC2:SCRATCH_EN: 0
; COMPUTE_PGM_RSRC2:USER_SGPR: 2
; COMPUTE_PGM_RSRC2:TRAP_HANDLER: 0
; COMPUTE_PGM_RSRC2:TGID_X_EN: 1
; COMPUTE_PGM_RSRC2:TGID_Y_EN: 1
; COMPUTE_PGM_RSRC2:TGID_Z_EN: 1
; COMPUTE_PGM_RSRC2:TIDIG_COMP_CNT: 0
	.section	.text._ZL33flash_attn_stream_k_fixup_generalILi64ELi2ELi2EEvPfPK15HIP_vector_typeIfLj2EEiiiiS1_IjLj3EES5_S5_S5_,"axG",@progbits,_ZL33flash_attn_stream_k_fixup_generalILi64ELi2ELi2EEvPfPK15HIP_vector_typeIfLj2EEiiiiS1_IjLj3EES5_S5_S5_,comdat
	.globl	_ZL33flash_attn_stream_k_fixup_generalILi64ELi2ELi2EEvPfPK15HIP_vector_typeIfLj2EEiiiiS1_IjLj3EES5_S5_S5_ ; -- Begin function _ZL33flash_attn_stream_k_fixup_generalILi64ELi2ELi2EEvPfPK15HIP_vector_typeIfLj2EEiiiiS1_IjLj3EES5_S5_S5_
	.p2align	8
	.type	_ZL33flash_attn_stream_k_fixup_generalILi64ELi2ELi2EEvPfPK15HIP_vector_typeIfLj2EEiiiiS1_IjLj3EES5_S5_S5_,@function
_ZL33flash_attn_stream_k_fixup_generalILi64ELi2ELi2EEvPfPK15HIP_vector_typeIfLj2EEiiiiS1_IjLj3EES5_S5_S5_: ; @_ZL33flash_attn_stream_k_fixup_generalILi64ELi2ELi2EEvPfPK15HIP_vector_typeIfLj2EEiiiiS1_IjLj3EES5_S5_S5_
; %bb.0:
	s_clause 0x1
	s_load_b128 s[4:7], s[0:1], 0x10
	s_load_b32 s16, s[0:1], 0x50
	s_mov_b32 s2, ttmp9
	s_ashr_i32 s3, ttmp9, 31
	s_mov_b32 s17, 0
	s_delay_alu instid0(SALU_CYCLE_1) | instskip(SKIP_3) | instid1(SALU_CYCLE_1)
	s_mov_b32 s8, s17
	s_wait_kmcnt 0x0
	s_ashr_i32 s19, s7, 31
	s_mov_b32 s18, s7
	s_mul_u64 s[2:3], s[18:19], s[2:3]
	s_delay_alu instid0(SALU_CYCLE_1) | instskip(NEXT) | instid1(SALU_CYCLE_1)
	s_mov_b32 s9, s3
	s_cmp_lg_u64 s[8:9], 0
	s_cbranch_scc0 .LBB48_21
; %bb.1:
	s_add_nc_u64 s[8:9], s[16:17], 0
	s_mov_b32 s15, s17
	s_xor_b64 s[8:9], s[8:9], 0
	s_mov_b32 s23, s17
	s_cvt_f32_u32 s7, s8
	s_cvt_f32_u32 s10, s9
	s_sub_nc_u64 s[12:13], 0, s[8:9]
	s_delay_alu instid0(SALU_CYCLE_2) | instskip(NEXT) | instid1(SALU_CYCLE_3)
	s_fmamk_f32 s7, s10, 0x4f800000, s7
	v_s_rcp_f32 s7, s7
	s_delay_alu instid0(TRANS32_DEP_1) | instskip(SKIP_1) | instid1(SALU_CYCLE_2)
	s_mul_f32 s7, s7, 0x5f7ffffc
	s_wait_alu 0xfffe
	s_mul_f32 s10, s7, 0x2f800000
	s_delay_alu instid0(SALU_CYCLE_3) | instskip(NEXT) | instid1(SALU_CYCLE_3)
	s_trunc_f32 s10, s10
	s_fmamk_f32 s7, s10, 0xcf800000, s7
	s_cvt_u32_f32 s11, s10
	s_wait_alu 0xfffe
	s_delay_alu instid0(SALU_CYCLE_1) | instskip(NEXT) | instid1(SALU_CYCLE_3)
	s_cvt_u32_f32 s10, s7
	s_mul_u64 s[20:21], s[12:13], s[10:11]
	s_delay_alu instid0(SALU_CYCLE_1)
	s_mul_hi_u32 s25, s10, s21
	s_mul_i32 s24, s10, s21
	s_mul_hi_u32 s14, s10, s20
	s_mul_i32 s22, s11, s20
	s_add_nc_u64 s[14:15], s[14:15], s[24:25]
	s_mul_hi_u32 s7, s11, s20
	s_mul_hi_u32 s26, s11, s21
	s_add_co_u32 s14, s14, s22
	s_wait_alu 0xfffe
	s_add_co_ci_u32 s22, s15, s7
	s_mul_i32 s20, s11, s21
	s_add_co_ci_u32 s21, s26, 0
	s_delay_alu instid0(SALU_CYCLE_1)
	s_add_nc_u64 s[14:15], s[22:23], s[20:21]
	s_mov_b32 s21, s17
	s_add_co_u32 s10, s10, s14
	s_cselect_b32 s7, -1, 0
	s_wait_alu 0xfffe
	s_cmp_lg_u32 s7, 0
	s_add_co_ci_u32 s11, s11, s15
	s_mov_b32 s15, s17
	s_mul_u64 s[12:13], s[12:13], s[10:11]
	s_delay_alu instid0(SALU_CYCLE_1)
	s_mul_hi_u32 s23, s10, s13
	s_mul_i32 s22, s10, s13
	s_mul_hi_u32 s14, s10, s12
	s_mul_i32 s20, s11, s12
	s_add_nc_u64 s[14:15], s[14:15], s[22:23]
	s_mul_hi_u32 s7, s11, s12
	s_mul_hi_u32 s24, s11, s13
	s_mul_i32 s12, s11, s13
	s_add_co_u32 s13, s14, s20
	s_wait_alu 0xfffe
	s_add_co_ci_u32 s20, s15, s7
	s_add_co_ci_u32 s13, s24, 0
	s_mov_b32 s15, s17
	s_add_nc_u64 s[12:13], s[20:21], s[12:13]
	s_delay_alu instid0(SALU_CYCLE_1) | instskip(SKIP_1) | instid1(SALU_CYCLE_1)
	s_add_co_u32 s7, s10, s12
	s_cselect_b32 s10, -1, 0
	s_cmp_lg_u32 s10, 0
	s_add_co_ci_u32 s20, s11, s13
	s_ashr_i32 s10, s3, 31
	s_delay_alu instid0(SALU_CYCLE_1) | instskip(NEXT) | instid1(SALU_CYCLE_1)
	s_mov_b32 s11, s10
	s_add_nc_u64 s[12:13], s[2:3], s[10:11]
	s_delay_alu instid0(SALU_CYCLE_1) | instskip(NEXT) | instid1(SALU_CYCLE_1)
	s_xor_b64 s[12:13], s[12:13], s[10:11]
	s_mul_hi_u32 s23, s12, s20
	s_mul_i32 s22, s12, s20
	s_wait_alu 0xfffe
	s_mul_hi_u32 s14, s12, s7
	s_mul_hi_u32 s24, s13, s7
	s_mul_i32 s7, s13, s7
	s_add_nc_u64 s[14:15], s[14:15], s[22:23]
	s_mul_hi_u32 s3, s13, s20
	s_wait_alu 0xfffe
	s_add_co_u32 s7, s14, s7
	s_mul_i32 s22, s13, s20
	s_add_co_ci_u32 s20, s15, s24
	s_add_co_ci_u32 s23, s3, 0
	s_delay_alu instid0(SALU_CYCLE_1) | instskip(NEXT) | instid1(SALU_CYCLE_1)
	s_add_nc_u64 s[14:15], s[20:21], s[22:23]
	s_mul_u64 s[20:21], s[8:9], s[14:15]
	s_delay_alu instid0(SALU_CYCLE_1)
	s_sub_co_u32 s3, s12, s20
	s_cselect_b32 s7, -1, 0
	s_sub_co_i32 s12, s13, s21
	s_wait_alu 0xfffe
	s_cmp_lg_u32 s7, 0
	s_sub_co_ci_u32 s12, s12, s9
	s_sub_co_u32 s20, s3, s8
	s_cselect_b32 s22, -1, 0
	s_delay_alu instid0(SALU_CYCLE_1) | instskip(SKIP_2) | instid1(SALU_CYCLE_1)
	s_cmp_lg_u32 s22, 0
	s_add_nc_u64 s[22:23], s[14:15], 1
	s_sub_co_ci_u32 s12, s12, 0
	s_cmp_ge_u32 s12, s9
	s_cselect_b32 s24, -1, 0
	s_cmp_ge_u32 s20, s8
	s_cselect_b32 s20, -1, 0
	s_cmp_eq_u32 s12, s9
	s_cselect_b32 s12, s20, s24
	s_add_nc_u64 s[24:25], s[14:15], 2
	s_cmp_lg_u32 s12, 0
	s_cselect_b32 s12, s24, s22
	s_cselect_b32 s20, s25, s23
	s_cmp_lg_u32 s7, 0
	s_sub_co_ci_u32 s7, s13, s21
	s_wait_alu 0xfffe
	s_cmp_ge_u32 s7, s9
	s_cselect_b32 s13, -1, 0
	s_cmp_ge_u32 s3, s8
	s_cselect_b32 s3, -1, 0
	s_cmp_eq_u32 s7, s9
	s_cselect_b32 s3, s3, s13
	s_delay_alu instid0(SALU_CYCLE_1) | instskip(SKIP_4) | instid1(SALU_CYCLE_1)
	s_cmp_lg_u32 s3, 0
	s_mov_b32 s3, s17
	s_cselect_b32 s9, s20, s15
	s_cselect_b32 s8, s12, s14
	s_xor_b64 s[10:11], s[10:11], 0
	s_xor_b64 s[8:9], s[8:9], s[10:11]
	s_delay_alu instid0(SALU_CYCLE_1)
	s_sub_nc_u64 s[20:21], s[8:9], s[10:11]
	s_and_not1_b32 vcc_lo, exec_lo, s3
	s_cbranch_vccnz .LBB48_3
.LBB48_2:
	v_cvt_f32_u32_e32 v1, s16
	s_sub_co_i32 s7, 0, s16
	s_delay_alu instid0(VALU_DEP_1) | instskip(NEXT) | instid1(TRANS32_DEP_1)
	v_rcp_iflag_f32_e32 v1, v1
	v_mul_f32_e32 v1, 0x4f7ffffe, v1
	s_delay_alu instid0(VALU_DEP_1) | instskip(NEXT) | instid1(VALU_DEP_1)
	v_cvt_u32_f32_e32 v1, v1
	v_readfirstlane_b32 s3, v1
	s_wait_alu 0xfffe
	s_mul_i32 s7, s7, s3
	s_wait_alu 0xfffe
	s_mul_hi_u32 s7, s3, s7
	s_wait_alu 0xfffe
	s_add_co_i32 s3, s3, s7
	s_delay_alu instid0(SALU_CYCLE_1) | instskip(NEXT) | instid1(SALU_CYCLE_1)
	s_mul_hi_u32 s3, s2, s3
	s_mul_i32 s7, s3, s16
	s_wait_alu 0xfffe
	s_sub_co_i32 s2, s2, s7
	s_add_co_i32 s7, s3, 1
	s_sub_co_i32 s8, s2, s16
	s_cmp_ge_u32 s2, s16
	s_wait_alu 0xfffe
	s_cselect_b32 s3, s7, s3
	s_cselect_b32 s2, s8, s2
	s_add_co_i32 s7, s3, 1
	s_cmp_ge_u32 s2, s16
	s_wait_alu 0xfffe
	s_cselect_b32 s20, s7, s3
.LBB48_3:
	s_add_co_i32 s2, ttmp9, 1
	s_mov_b32 s8, 0
	s_ashr_i32 s3, s2, 31
	s_delay_alu instid0(SALU_CYCLE_1) | instskip(NEXT) | instid1(SALU_CYCLE_1)
	s_mul_u64 s[2:3], s[18:19], s[2:3]
	s_mov_b32 s9, s3
	s_delay_alu instid0(SALU_CYCLE_1)
	s_cmp_lg_u64 s[8:9], 0
	s_cbranch_scc0 .LBB48_22
; %bb.4:
	s_add_nc_u64 s[10:11], s[16:17], 0
	s_mov_b32 s23, s8
	s_xor_b64 s[10:11], s[10:11], 0
	s_mov_b32 s27, s8
	s_cvt_f32_u32 s7, s10
	s_cvt_f32_u32 s9, s11
	s_sub_nc_u64 s[14:15], 0, s[10:11]
	s_wait_alu 0xfffe
	s_delay_alu instid0(SALU_CYCLE_1) | instskip(SKIP_1) | instid1(SALU_CYCLE_2)
	s_fmamk_f32 s7, s9, 0x4f800000, s7
	s_wait_alu 0xfffe
	v_s_rcp_f32 s7, s7
	s_delay_alu instid0(TRANS32_DEP_1) | instskip(SKIP_1) | instid1(SALU_CYCLE_2)
	s_mul_f32 s7, s7, 0x5f7ffffc
	s_wait_alu 0xfffe
	s_mul_f32 s9, s7, 0x2f800000
	s_delay_alu instid0(SALU_CYCLE_3) | instskip(NEXT) | instid1(SALU_CYCLE_3)
	s_trunc_f32 s9, s9
	s_fmamk_f32 s7, s9, 0xcf800000, s7
	s_cvt_u32_f32 s13, s9
	s_wait_alu 0xfffe
	s_delay_alu instid0(SALU_CYCLE_1) | instskip(NEXT) | instid1(SALU_CYCLE_3)
	s_cvt_u32_f32 s12, s7
	s_mul_u64 s[24:25], s[14:15], s[12:13]
	s_delay_alu instid0(SALU_CYCLE_1)
	s_mul_hi_u32 s29, s12, s25
	s_mul_i32 s28, s12, s25
	s_mul_hi_u32 s22, s12, s24
	s_mul_i32 s9, s13, s24
	s_add_nc_u64 s[22:23], s[22:23], s[28:29]
	s_mul_hi_u32 s7, s13, s24
	s_mul_hi_u32 s21, s13, s25
	s_add_co_u32 s9, s22, s9
	s_wait_alu 0xfffe
	s_add_co_ci_u32 s26, s23, s7
	s_mul_i32 s24, s13, s25
	s_add_co_ci_u32 s25, s21, 0
	s_delay_alu instid0(SALU_CYCLE_1)
	s_add_nc_u64 s[22:23], s[26:27], s[24:25]
	s_mov_b32 s25, s8
	s_add_co_u32 s12, s12, s22
	s_cselect_b32 s7, -1, 0
	s_wait_alu 0xfffe
	s_cmp_lg_u32 s7, 0
	s_add_co_ci_u32 s13, s13, s23
	s_mov_b32 s23, s8
	s_mul_u64 s[14:15], s[14:15], s[12:13]
	s_delay_alu instid0(SALU_CYCLE_1)
	s_mul_hi_u32 s27, s12, s15
	s_mul_i32 s26, s12, s15
	s_mul_hi_u32 s22, s12, s14
	s_mul_i32 s9, s13, s14
	s_add_nc_u64 s[22:23], s[22:23], s[26:27]
	s_mul_hi_u32 s7, s13, s14
	s_mul_hi_u32 s21, s13, s15
	s_add_co_u32 s9, s22, s9
	s_wait_alu 0xfffe
	s_add_co_ci_u32 s24, s23, s7
	s_mul_i32 s14, s13, s15
	s_add_co_ci_u32 s15, s21, 0
	s_mov_b32 s23, s8
	s_add_nc_u64 s[14:15], s[24:25], s[14:15]
	s_delay_alu instid0(SALU_CYCLE_1) | instskip(SKIP_1) | instid1(SALU_CYCLE_1)
	s_add_co_u32 s7, s12, s14
	s_cselect_b32 s9, -1, 0
	s_cmp_lg_u32 s9, 0
	s_add_co_ci_u32 s9, s13, s15
	s_ashr_i32 s12, s3, 31
	s_delay_alu instid0(SALU_CYCLE_1) | instskip(NEXT) | instid1(SALU_CYCLE_1)
	s_mov_b32 s13, s12
	s_add_nc_u64 s[14:15], s[2:3], s[12:13]
	s_delay_alu instid0(SALU_CYCLE_1) | instskip(NEXT) | instid1(SALU_CYCLE_1)
	s_xor_b64 s[14:15], s[14:15], s[12:13]
	s_mul_hi_u32 s27, s14, s9
	s_mul_i32 s26, s14, s9
	s_wait_alu 0xfffe
	s_mul_hi_u32 s22, s14, s7
	s_mul_hi_u32 s21, s15, s7
	s_mul_i32 s7, s15, s7
	s_add_nc_u64 s[22:23], s[22:23], s[26:27]
	s_mul_hi_u32 s3, s15, s9
	s_wait_alu 0xfffe
	s_add_co_u32 s7, s22, s7
	s_add_co_ci_u32 s24, s23, s21
	s_mul_i32 s26, s15, s9
	s_add_co_ci_u32 s27, s3, 0
	s_delay_alu instid0(SALU_CYCLE_1) | instskip(NEXT) | instid1(SALU_CYCLE_1)
	s_add_nc_u64 s[22:23], s[24:25], s[26:27]
	s_mul_u64 s[24:25], s[10:11], s[22:23]
	s_add_nc_u64 s[26:27], s[22:23], 1
	s_sub_co_u32 s3, s14, s24
	s_cselect_b32 s7, -1, 0
	s_sub_co_i32 s9, s15, s25
	s_wait_alu 0xfffe
	s_cmp_lg_u32 s7, 0
	s_add_nc_u64 s[28:29], s[22:23], 2
	s_sub_co_ci_u32 s9, s9, s11
	s_sub_co_u32 s14, s3, s10
	s_cselect_b32 s21, -1, 0
	s_delay_alu instid0(SALU_CYCLE_1) | instskip(SKIP_1) | instid1(SALU_CYCLE_1)
	s_cmp_lg_u32 s21, 0
	s_sub_co_ci_u32 s9, s9, 0
	s_cmp_ge_u32 s9, s11
	s_cselect_b32 s21, -1, 0
	s_cmp_ge_u32 s14, s10
	s_cselect_b32 s14, -1, 0
	s_cmp_eq_u32 s9, s11
	s_cselect_b32 s9, s14, s21
	s_delay_alu instid0(SALU_CYCLE_1)
	s_cmp_lg_u32 s9, 0
	s_cselect_b32 s9, s28, s26
	s_cselect_b32 s14, s29, s27
	s_cmp_lg_u32 s7, 0
	s_sub_co_ci_u32 s7, s15, s25
	s_wait_alu 0xfffe
	s_cmp_ge_u32 s7, s11
	s_cselect_b32 s15, -1, 0
	s_cmp_ge_u32 s3, s10
	s_cselect_b32 s3, -1, 0
	s_cmp_eq_u32 s7, s11
	s_cselect_b32 s3, s3, s15
	s_delay_alu instid0(SALU_CYCLE_1) | instskip(SKIP_3) | instid1(SALU_CYCLE_1)
	s_cmp_lg_u32 s3, 0
	s_cselect_b32 s11, s14, s23
	s_cselect_b32 s10, s9, s22
	s_xor_b64 s[12:13], s[12:13], 0
	s_xor_b64 s[10:11], s[10:11], s[12:13]
	s_delay_alu instid0(SALU_CYCLE_1)
	s_sub_nc_u64 s[10:11], s[10:11], s[12:13]
	s_load_b96 s[12:14], s[0:1], 0x44
	s_and_not1_b32 vcc_lo, exec_lo, s8
	s_cbranch_vccnz .LBB48_6
.LBB48_5:
	v_cvt_f32_u32_e32 v1, s16
	s_sub_co_i32 s7, 0, s16
	s_delay_alu instid0(VALU_DEP_1) | instskip(NEXT) | instid1(TRANS32_DEP_1)
	v_rcp_iflag_f32_e32 v1, v1
	v_mul_f32_e32 v1, 0x4f7ffffe, v1
	s_delay_alu instid0(VALU_DEP_1) | instskip(NEXT) | instid1(VALU_DEP_1)
	v_cvt_u32_f32_e32 v1, v1
	v_readfirstlane_b32 s3, v1
	s_wait_alu 0xfffe
	s_mul_i32 s7, s7, s3
	s_wait_alu 0xfffe
	s_mul_hi_u32 s7, s3, s7
	s_wait_alu 0xfffe
	s_add_co_i32 s3, s3, s7
	s_delay_alu instid0(SALU_CYCLE_1) | instskip(NEXT) | instid1(SALU_CYCLE_1)
	s_mul_hi_u32 s3, s2, s3
	s_mul_i32 s7, s3, s16
	s_wait_alu 0xfffe
	s_sub_co_i32 s2, s2, s7
	s_add_co_i32 s7, s3, 1
	s_sub_co_i32 s8, s2, s16
	s_cmp_ge_u32 s2, s16
	s_wait_alu 0xfffe
	s_cselect_b32 s3, s7, s3
	s_cselect_b32 s2, s8, s2
	s_add_co_i32 s7, s3, 1
	s_cmp_ge_u32 s2, s16
	s_wait_alu 0xfffe
	s_cselect_b32 s10, s7, s3
.LBB48_6:
	s_mov_b32 s21, 0
	s_wait_kmcnt 0x0
	s_mov_b32 s22, s12
	s_mov_b32 s23, s21
	s_cmp_eq_u32 s20, s10
	s_mul_u64 s[2:3], s[20:21], s[22:23]
	s_cselect_b32 s7, -1, 0
	s_add_co_i32 s2, s3, s20
	s_mov_b32 s11, s21
	s_lshr_b32 s12, s2, s13
	s_mul_u64 s[2:3], s[10:11], s[22:23]
	s_mul_i32 s2, s12, s14
	s_delay_alu instid0(SALU_CYCLE_1) | instskip(SKIP_2) | instid1(SALU_CYCLE_1)
	s_cmp_eq_u32 s2, s20
	s_cselect_b32 s2, -1, 0
	s_add_co_i32 s3, s3, s10
	s_lshr_b32 s3, s3, s13
	s_delay_alu instid0(SALU_CYCLE_1)
	s_cmp_eq_u32 s12, s3
	s_mul_i32 s3, s3, s14
	s_cselect_b32 s8, -1, 0
	s_cmp_lg_u32 s3, s10
	s_cselect_b32 s3, -1, 0
	s_wait_alu 0xfffe
	s_or_b32 s2, s7, s2
	s_and_b32 s3, s8, s3
	s_delay_alu instid0(SALU_CYCLE_1) | instskip(NEXT) | instid1(SALU_CYCLE_1)
	s_or_b32 s2, s2, s3
	s_and_b32 vcc_lo, exec_lo, s2
	s_cbranch_vccnz .LBB48_24
; %bb.7:
	s_load_b256 s[24:31], s[0:1], 0x20
	s_mov_b32 s3, s21
	s_wait_kmcnt 0x0
	s_mov_b32 s2, s24
	s_delay_alu instid0(SALU_CYCLE_1) | instskip(NEXT) | instid1(SALU_CYCLE_1)
	s_mul_u64 s[2:3], s[20:21], s[2:3]
	s_add_co_i32 s2, s3, s20
	s_delay_alu instid0(SALU_CYCLE_1) | instskip(SKIP_2) | instid1(SALU_CYCLE_1)
	s_lshr_b32 s7, s2, s25
	s_load_b32 s2, s[0:1], 0x40
	s_mul_i32 s3, s7, s26
	s_sub_co_i32 s3, s20, s3
	s_delay_alu instid0(SALU_CYCLE_1) | instskip(NEXT) | instid1(SALU_CYCLE_1)
	s_mul_hi_u32 s8, s3, s27
	s_add_co_i32 s8, s3, s8
	s_delay_alu instid0(SALU_CYCLE_1) | instskip(NEXT) | instid1(SALU_CYCLE_1)
	s_lshr_b32 s8, s8, s28
	s_mul_i32 s9, s8, s29
	s_delay_alu instid0(SALU_CYCLE_1) | instskip(NEXT) | instid1(SALU_CYCLE_1)
	s_sub_co_i32 s9, s3, s9
	s_mul_hi_u32 s3, s9, s30
	s_delay_alu instid0(SALU_CYCLE_1) | instskip(NEXT) | instid1(SALU_CYCLE_1)
	s_add_co_i32 s3, s9, s3
	s_lshr_b32 s24, s3, s31
	s_mov_b32 s3, s21
	s_wait_kmcnt 0x0
	s_mul_i32 s2, s24, s2
	s_lshl_b32 s21, s24, 1
	s_sub_co_i32 s2, s9, s2
	s_delay_alu instid0(SALU_CYCLE_1) | instskip(SKIP_2) | instid1(SALU_CYCLE_1)
	s_mul_u64 s[10:11], s[2:3], s[22:23]
	s_lshr_b32 s3, ttmp7, 16
	s_add_co_i32 s2, s2, s11
	s_lshr_b32 s15, s2, s13
	s_and_b32 s2, ttmp7, 0xffff
	s_lshl_b32 s9, s15, 1
	s_delay_alu instid0(SALU_CYCLE_1) | instskip(NEXT) | instid1(SALU_CYCLE_1)
	s_add_co_i32 s9, s9, s2
	s_cmp_lt_i32 s9, s4
	s_cselect_b32 s9, -1, 0
	s_add_co_i32 s10, s21, s3
	s_delay_alu instid0(SALU_CYCLE_1) | instskip(SKIP_1) | instid1(SALU_CYCLE_1)
	s_cmp_lt_i32 s10, s6
	s_cselect_b32 s10, -1, 0
	s_and_b32 s9, s9, s10
	s_delay_alu instid0(SALU_CYCLE_1)
	s_and_not1_b32 vcc_lo, exec_lo, s9
	s_cbranch_vccnz .LBB48_24
; %bb.8:
	s_mul_i32 s4, s7, s4
	s_mul_i32 s6, s8, s6
	s_add_co_i32 s4, s4, s2
	s_load_b128 s[8:11], s[0:1], 0x0
	s_mul_i32 s4, s4, s5
	s_mul_i32 s1, s5, s15
	s_add_co_i32 s4, s4, s3
	s_lshl_b32 s1, s1, 7
	s_add_co_i32 s0, s4, s6
	s_lshl_b32 s15, s2, 1
	s_add_co_i32 s0, s0, s21
	s_add_co_i32 s15, s15, s3
	s_lshl_b32 s0, s0, 6
	v_cvt_f32_u32_e32 v4, s16
	s_add_co_i32 s1, s1, s0
	s_add_co_i32 s34, ttmp9, -1
	v_or_b32_e32 v1, s1, v0
	s_add_nc_u64 s[0:1], s[16:17], 0
	v_rcp_iflag_f32_e32 v4, v4
	s_wait_alu 0xfffe
	s_xor_b64 s[6:7], s[0:1], 0
	s_lshl_b32 s0, ttmp9, 2
	v_ashrrev_i32_e32 v2, 31, v1
	s_wait_alu 0xfffe
	s_cvt_f32_u32 s1, s6
	s_cvt_f32_u32 s2, s7
	s_add_co_i32 s0, s15, s0
	v_lshl_or_b32 v0, s15, 6, v0
	v_lshlrev_b64_e32 v[1:2], 2, v[1:2]
	s_wait_alu 0xfffe
	s_fmamk_f32 s2, s2, 0x4f800000, s1
	s_ashr_i32 s1, s0, 31
	s_sub_nc_u64 s[30:31], 0, s[6:7]
	s_wait_alu 0xfffe
	s_lshl_b64 s[0:1], s[0:1], 3
	v_s_rcp_f32 s2, s2
	s_wait_kmcnt 0x0
	v_add_co_u32 v1, vcc_lo, s8, v1
	s_delay_alu instid0(VALU_DEP_1)
	v_add_co_ci_u32_e64 v2, null, s9, v2, vcc_lo
	s_wait_alu 0xfffe
	s_add_nc_u64 s[0:1], s[10:11], s[0:1]
	s_mov_b32 s8, 0
	s_load_b64 s[26:27], s[0:1], 0x0
	global_load_b32 v3, v[1:2], off
	s_mul_f32 s2, s2, 0x5f7ffffc
	v_mul_f32_e32 v4, 0x4f7ffffe, v4
	s_lshl_b32 s0, s16, 4
	s_wait_alu 0xfffe
	s_mul_f32 s1, s2, 0x2f800000
	s_wait_alu 0xfffe
	s_delay_alu instid0(SALU_CYCLE_2)
	s_trunc_f32 s3, s1
	s_mov_b32 s1, s8
	s_wait_alu 0xfffe
	s_lshl_b64 s[0:1], s[0:1], 2
	s_fmamk_f32 s2, s3, 0xcf800000, s2
	s_cvt_u32_f32 s29, s3
	s_wait_alu 0xfffe
	s_add_nc_u64 s[24:25], s[10:11], s[0:1]
	s_cvt_u32_f32 s28, s2
	s_wait_kmcnt 0x0
	v_mov_b32_e32 v5, s27
	v_cvt_u32_f32_e32 v4, v4
.LBB48_9:                               ; =>This Inner Loop Header: Depth=1
	s_wait_alu 0xfffe
	s_ashr_i32 s35, s34, 31
	s_mov_b32 s2, -1
	s_wait_alu 0xfffe
	s_mul_u64 s[0:1], s[34:35], s[18:19]
                                        ; implicit-def: $sgpr38_sgpr39
	s_wait_alu 0xfffe
	s_mov_b32 s9, s1
	s_wait_alu 0xfffe
	s_cmp_lg_u64 s[8:9], 0
	s_cbranch_scc0 .LBB48_11
; %bb.10:                               ;   in Loop: Header=BB48_9 Depth=1
	s_mul_u64 s[2:3], s[30:31], s[28:29]
	s_mov_b32 s37, s8
	s_wait_alu 0xfffe
	s_mul_hi_u32 s5, s28, s3
	s_mul_i32 s4, s28, s3
	s_mul_hi_u32 s36, s28, s2
	s_mul_hi_u32 s9, s29, s2
	s_wait_alu 0xfffe
	s_add_nc_u64 s[4:5], s[36:37], s[4:5]
	s_mul_i32 s2, s29, s2
	s_mul_hi_u32 s17, s29, s3
	s_wait_alu 0xfffe
	s_add_co_u32 s2, s4, s2
	s_add_co_ci_u32 s2, s5, s9
	s_add_co_ci_u32 s5, s17, 0
	s_mul_i32 s4, s29, s3
	s_mov_b32 s3, s8
	s_mov_b32 s39, s8
	s_wait_alu 0xfffe
	s_add_nc_u64 s[2:3], s[2:3], s[4:5]
	s_wait_alu 0xfffe
	s_add_co_u32 s2, s28, s2
	s_cselect_b32 s4, -1, 0
	s_wait_alu 0xfffe
	s_cmp_lg_u32 s4, 0
	s_add_co_ci_u32 s3, s29, s3
	s_wait_alu 0xfffe
	s_mul_u64 s[4:5], s[30:31], s[2:3]
	s_wait_alu 0xfffe
	s_mul_hi_u32 s37, s2, s5
	s_mul_i32 s36, s2, s5
	s_mul_hi_u32 s38, s2, s4
	s_mul_hi_u32 s9, s3, s4
	s_mul_i32 s4, s3, s4
	s_wait_alu 0xfffe
	s_add_nc_u64 s[36:37], s[38:39], s[36:37]
	s_mul_hi_u32 s17, s3, s5
	s_wait_alu 0xfffe
	s_add_co_u32 s4, s36, s4
	s_add_co_ci_u32 s4, s37, s9
	s_add_co_ci_u32 s37, s17, 0
	s_mul_i32 s36, s3, s5
	s_mov_b32 s5, s8
	s_wait_alu 0xfffe
	s_add_nc_u64 s[4:5], s[4:5], s[36:37]
	s_mov_b32 s37, s8
	s_wait_alu 0xfffe
	s_add_co_u32 s9, s2, s4
	s_cselect_b32 s2, -1, 0
	s_wait_alu 0xfffe
	s_cmp_lg_u32 s2, 0
	s_add_co_ci_u32 s17, s3, s5
	s_ashr_i32 s2, s1, 31
	s_wait_alu 0xfffe
	s_mov_b32 s3, s2
	s_wait_alu 0xfffe
	s_add_nc_u64 s[4:5], s[0:1], s[2:3]
	s_wait_alu 0xfffe
	s_xor_b64 s[4:5], s[4:5], s[2:3]
	s_wait_alu 0xfffe
	s_mul_hi_u32 s39, s4, s17
	s_mul_i32 s38, s4, s17
	s_mul_hi_u32 s36, s4, s9
	s_mul_i32 s21, s5, s9
	s_wait_alu 0xfffe
	s_add_nc_u64 s[36:37], s[36:37], s[38:39]
	s_mul_hi_u32 s9, s5, s9
	s_mul_hi_u32 s1, s5, s17
	s_wait_alu 0xfffe
	s_add_co_u32 s21, s36, s21
	s_add_co_ci_u32 s36, s37, s9
	s_add_co_ci_u32 s39, s1, 0
	s_mul_i32 s38, s5, s17
	s_mov_b32 s37, s8
	s_wait_alu 0xfffe
	s_add_nc_u64 s[36:37], s[36:37], s[38:39]
	s_wait_alu 0xfffe
	s_mul_u64 s[38:39], s[6:7], s[36:37]
	s_add_nc_u64 s[40:41], s[36:37], 1
	s_sub_co_u32 s1, s4, s38
	s_cselect_b32 s4, -1, 0
	s_sub_co_i32 s9, s5, s39
	s_wait_alu 0xfffe
	s_cmp_lg_u32 s4, 0
	s_add_nc_u64 s[42:43], s[36:37], 2
	s_sub_co_ci_u32 s9, s9, s7
	s_sub_co_u32 s17, s1, s6
	s_cselect_b32 s21, -1, 0
	s_delay_alu instid0(SALU_CYCLE_1)
	s_cmp_lg_u32 s21, 0
	s_wait_alu 0xfffe
	s_sub_co_ci_u32 s9, s9, 0
	s_wait_alu 0xfffe
	s_cmp_ge_u32 s9, s7
	s_cselect_b32 s21, -1, 0
	s_cmp_ge_u32 s17, s6
	s_cselect_b32 s17, -1, 0
	s_cmp_eq_u32 s9, s7
	s_wait_alu 0xfffe
	s_cselect_b32 s9, s17, s21
	s_wait_alu 0xfffe
	s_cmp_lg_u32 s9, 0
	s_cselect_b32 s9, s42, s40
	s_cselect_b32 s17, s43, s41
	s_cmp_lg_u32 s4, 0
	s_sub_co_ci_u32 s4, s5, s39
	s_wait_alu 0xfffe
	s_cmp_ge_u32 s4, s7
	s_cselect_b32 s5, -1, 0
	s_cmp_ge_u32 s1, s6
	s_cselect_b32 s1, -1, 0
	s_cmp_eq_u32 s4, s7
	s_wait_alu 0xfffe
	s_cselect_b32 s1, s1, s5
	s_wait_alu 0xfffe
	s_cmp_lg_u32 s1, 0
	s_cselect_b32 s5, s17, s37
	s_cselect_b32 s4, s9, s36
	s_xor_b64 s[2:3], s[2:3], 0
	s_wait_alu 0xfffe
	s_xor_b64 s[4:5], s[4:5], s[2:3]
	s_wait_alu 0xfffe
	s_sub_nc_u64 s[38:39], s[4:5], s[2:3]
	s_mov_b32 s2, 0
.LBB48_11:                              ;   in Loop: Header=BB48_9 Depth=1
	s_wait_alu 0xfffe
	s_and_not1_b32 vcc_lo, exec_lo, s2
	s_wait_alu 0xfffe
	s_cbranch_vccnz .LBB48_13
; %bb.12:                               ;   in Loop: Header=BB48_9 Depth=1
	v_readfirstlane_b32 s1, v4
	s_sub_co_i32 s2, 0, s16
	s_wait_alu 0xfffe
	s_mul_i32 s2, s2, s1
	s_wait_alu 0xfffe
	s_mul_hi_u32 s2, s1, s2
	s_wait_alu 0xfffe
	s_add_co_i32 s1, s1, s2
	s_wait_alu 0xfffe
	s_mul_hi_u32 s1, s0, s1
	s_wait_alu 0xfffe
	s_mul_i32 s2, s1, s16
	s_wait_alu 0xfffe
	s_sub_co_i32 s0, s0, s2
	s_add_co_i32 s2, s1, 1
	s_wait_alu 0xfffe
	s_sub_co_i32 s3, s0, s16
	s_cmp_ge_u32 s0, s16
	s_cselect_b32 s1, s2, s1
	s_wait_alu 0xfffe
	s_cselect_b32 s0, s3, s0
	s_add_co_i32 s2, s1, 1
	s_wait_alu 0xfffe
	s_cmp_ge_u32 s0, s16
	s_cselect_b32 s38, s2, s1
.LBB48_13:                              ;   in Loop: Header=BB48_9 Depth=1
	v_readfirstlane_b32 s9, v0
	s_cmp_lg_u32 s20, s38
	s_mov_b32 s0, -1
                                        ; implicit-def: $sgpr21
                                        ; implicit-def: $vgpr6
                                        ; implicit-def: $vgpr7
                                        ; implicit-def: $sgpr17
                                        ; implicit-def: $sgpr27
	s_cbranch_scc1 .LBB48_16
; %bb.14:                               ;   in Loop: Header=BB48_9 Depth=1
	s_wait_alu 0xfffe
	s_and_not1_b32 vcc_lo, exec_lo, s0
	s_wait_alu 0xfffe
	s_cbranch_vccz .LBB48_19
.LBB48_15:                              ;   in Loop: Header=BB48_9 Depth=1
	s_and_not1_b32 vcc_lo, exec_lo, s21
	s_wait_alu 0xfffe
	s_cbranch_vccnz .LBB48_20
	s_branch .LBB48_23
.LBB48_16:                              ;   in Loop: Header=BB48_9 Depth=1
	s_add_co_i32 s0, s34, s16
	s_mov_b32 s1, s8
	s_wait_alu 0xfffe
	s_lshl_b32 s0, s0, 2
	v_max_num_f32_e64 v6, s26, s26
	s_wait_alu 0xfffe
	s_add_co_i32 s0, s0, s15
	s_mov_b32 s39, s8
	s_wait_alu 0xfffe
	s_lshl_b64 s[0:1], s[0:1], 3
	s_mul_u64 s[40:41], s[38:39], s[22:23]
	s_wait_alu 0xfffe
	s_add_nc_u64 s[0:1], s[10:11], s[0:1]
	s_mov_b32 s27, s20
	s_load_b64 s[36:37], s[0:1], 0x0
	v_readfirstlane_b32 s0, v6
	s_wait_kmcnt 0x0
	v_max_num_f32_e64 v7, s36, s36
	s_delay_alu instid0(VALU_DEP_1) | instskip(SKIP_2) | instid1(SALU_CYCLE_2)
	v_readfirstlane_b32 s1, v7
	s_max_num_f32 s9, s0, s1
	s_wait_alu 0xfffe
	s_sub_f32 s33, s26, s9
	s_sub_f32 s35, s36, s9
	s_wait_alu 0xfffe
	s_delay_alu instid0(SALU_CYCLE_1)
	s_cmp_nlt_f32 s33, 0xc2ce8ed0
	s_cselect_b32 s0, -1, 0
	s_cmp_ngt_f32 s33, 0x42b17218
	s_cselect_b32 s1, -1, 0
	s_cmp_ge_f32 s33, 0xc1a00000
	s_cselect_b32 s2, -1, 0
	s_cmp_nlt_f32 s35, 0xc2ce8ed0
	s_cselect_b32 s3, -1, 0
	s_cmp_ngt_f32 s35, 0x42b17218
	s_cselect_b32 s4, -1, 0
	s_cmp_ge_f32 s35, 0xc1a00000
	s_cselect_b32 s5, -1, 0
	s_add_co_i32 s17, s41, s38
	s_wait_alu 0xfffe
	s_lshr_b32 s17, s17, s13
	s_wait_alu 0xfffe
	s_mul_i32 s21, s17, s14
	s_delay_alu instid0(SALU_CYCLE_1)
	s_cmp_eq_u32 s21, s38
	s_cselect_b32 s21, -1, 0
	s_cmp_lt_u32 s17, s12
	s_cselect_b32 s17, -1, 0
	s_wait_alu 0xfffe
	s_or_b32 s17, s17, s21
	s_mov_b32 s21, -1
	s_wait_alu 0xfffe
	s_and_b32 vcc_lo, exec_lo, s17
	s_mov_b32 s17, s34
	s_wait_alu 0xfffe
	s_cbranch_vccnz .LBB48_18
; %bb.17:                               ;   in Loop: Header=BB48_9 Depth=1
	s_add_co_i32 s17, s34, -1
	s_mov_b32 s21, 0
	s_mov_b32 s27, s38
.LBB48_18:                              ;   in Loop: Header=BB48_9 Depth=1
	v_lshl_add_u32 v6, s34, 8, v0
	s_mul_f32 s36, s35, 0x3fb8aa3b
	s_mul_f32 s38, s33, 0x3fb8aa3b
	s_wait_alu 0xfffe
	s_delay_alu instid0(SALU_CYCLE_1)
	s_xor_b32 s39, s36, 0x80000000
	v_ashrrev_i32_e32 v7, 31, v6
	s_rndne_f32 s40, s36
	s_fmamk_f32 s39, s35, 0x3fb8aa3b, s39
	s_xor_b32 s41, s38, 0x80000000
	s_rndne_f32 s42, s38
	v_lshlrev_b64_e32 v[6:7], 2, v[6:7]
	s_sub_f32 s36, s36, s40
	s_fmamk_f32 s35, s35, 0x32a5705f, s39
	s_fmamk_f32 s39, s33, 0x3fb8aa3b, s41
	s_sub_f32 s38, s38, s42
	s_delay_alu instid0(VALU_DEP_1)
	v_add_co_u32 v6, vcc_lo, s24, v6
	s_wait_alu 0xfffd
	v_add_co_ci_u32_e64 v7, null, s25, v7, vcc_lo
	s_wait_alu 0xfffe
	s_add_f32 s35, s36, s35
	s_fmamk_f32 s33, s33, 0x32a5705f, s39
	s_cvt_i32_f32 s36, s40
	global_load_b32 v6, v[6:7], off
	s_wait_alu 0xfffe
	v_s_exp_f32 s35, s35
	s_add_f32 s33, s38, s33
	s_wait_alu 0xfffe
	s_delay_alu instid0(SALU_CYCLE_2) | instskip(NEXT) | instid1(TRANS32_DEP_2)
	v_s_exp_f32 s33, s33
	v_ldexp_f32 v7, s35, s36
	s_cvt_i32_f32 s35, s42
	s_wait_alu 0xf1fe
	s_delay_alu instid0(TRANS32_DEP_1) | instid1(SALU_CYCLE_2)
	v_ldexp_f32 v8, s33, s35
	s_delay_alu instid0(VALU_DEP_2) | instskip(NEXT) | instid1(VALU_DEP_2)
	v_cndmask_b32_e64 v7, 0, v7, s3
	v_cndmask_b32_e64 v8, 0, v8, s0
	s_delay_alu instid0(VALU_DEP_2) | instskip(NEXT) | instid1(VALU_DEP_2)
	v_cndmask_b32_e64 v7, 0x7f800000, v7, s4
	v_cndmask_b32_e64 v8, 0x7f800000, v8, s1
	;; [unrolled: 3-line block ×3, first 2 shown]
	s_wait_loadcnt 0x0
	s_delay_alu instid0(VALU_DEP_2) | instskip(SKIP_1) | instid1(VALU_DEP_1)
	v_mul_f32_e32 v6, v6, v7
	v_mul_f32_e32 v7, s37, v7
	v_fmac_f32_e32 v7, v5, v8
	s_delay_alu instid0(VALU_DEP_3)
	v_fmac_f32_e32 v6, v3, v8
	s_cbranch_execnz .LBB48_15
.LBB48_19:                              ;   in Loop: Header=BB48_9 Depth=1
	s_wait_loadcnt 0x0
	v_dual_mov_b32 v7, v5 :: v_dual_mov_b32 v6, v3
	s_add_co_i32 s17, s34, -1
	s_mov_b32 s27, s20
	s_mov_b32 s9, s26
	s_cbranch_execz .LBB48_23
.LBB48_20:                              ;   in Loop: Header=BB48_9 Depth=1
	v_mov_b32_e32 v5, v7
	s_wait_loadcnt 0x0
	v_mov_b32_e32 v3, v6
	s_wait_alu 0xfffe
	s_mov_b32 s20, s27
	s_mov_b32 s34, s17
	;; [unrolled: 1-line block ×3, first 2 shown]
	s_branch .LBB48_9
.LBB48_21:
                                        ; implicit-def: $sgpr20_sgpr21
	s_branch .LBB48_2
.LBB48_22:
                                        ; implicit-def: $sgpr10_sgpr11
	s_load_b96 s[12:14], s[0:1], 0x44
	s_branch .LBB48_5
.LBB48_23:
	v_div_scale_f32 v0, null, v7, v7, v6
	s_wait_loadcnt 0x0
	s_delay_alu instid0(VALU_DEP_1) | instskip(NEXT) | instid1(TRANS32_DEP_1)
	v_rcp_f32_e32 v3, v0
	v_fma_f32 v4, -v0, v3, 1.0
	s_delay_alu instid0(VALU_DEP_1) | instskip(SKIP_1) | instid1(VALU_DEP_1)
	v_fmac_f32_e32 v3, v4, v3
	v_div_scale_f32 v4, vcc_lo, v6, v7, v6
	v_mul_f32_e32 v5, v4, v3
	s_delay_alu instid0(VALU_DEP_1) | instskip(NEXT) | instid1(VALU_DEP_1)
	v_fma_f32 v8, -v0, v5, v4
	v_fmac_f32_e32 v5, v8, v3
	s_delay_alu instid0(VALU_DEP_1) | instskip(SKIP_1) | instid1(VALU_DEP_1)
	v_fma_f32 v0, -v0, v5, v4
	s_wait_alu 0xfffd
	v_div_fmas_f32 v0, v0, v3, v5
	s_delay_alu instid0(VALU_DEP_1)
	v_div_fixup_f32 v0, v0, v7, v6
	global_store_b32 v[1:2], v0, off
.LBB48_24:
	s_endpgm
	.section	.rodata,"a",@progbits
	.p2align	6, 0x0
	.amdhsa_kernel _ZL33flash_attn_stream_k_fixup_generalILi64ELi2ELi2EEvPfPK15HIP_vector_typeIfLj2EEiiiiS1_IjLj3EES5_S5_S5_
		.amdhsa_group_segment_fixed_size 0
		.amdhsa_private_segment_fixed_size 0
		.amdhsa_kernarg_size 336
		.amdhsa_user_sgpr_count 2
		.amdhsa_user_sgpr_dispatch_ptr 0
		.amdhsa_user_sgpr_queue_ptr 0
		.amdhsa_user_sgpr_kernarg_segment_ptr 1
		.amdhsa_user_sgpr_dispatch_id 0
		.amdhsa_user_sgpr_private_segment_size 0
		.amdhsa_wavefront_size32 1
		.amdhsa_uses_dynamic_stack 0
		.amdhsa_enable_private_segment 0
		.amdhsa_system_sgpr_workgroup_id_x 1
		.amdhsa_system_sgpr_workgroup_id_y 1
		.amdhsa_system_sgpr_workgroup_id_z 1
		.amdhsa_system_sgpr_workgroup_info 0
		.amdhsa_system_vgpr_workitem_id 0
		.amdhsa_next_free_vgpr 9
		.amdhsa_next_free_sgpr 44
		.amdhsa_reserve_vcc 1
		.amdhsa_float_round_mode_32 0
		.amdhsa_float_round_mode_16_64 0
		.amdhsa_float_denorm_mode_32 3
		.amdhsa_float_denorm_mode_16_64 3
		.amdhsa_fp16_overflow 0
		.amdhsa_workgroup_processor_mode 1
		.amdhsa_memory_ordered 1
		.amdhsa_forward_progress 1
		.amdhsa_inst_pref_size 28
		.amdhsa_round_robin_scheduling 0
		.amdhsa_exception_fp_ieee_invalid_op 0
		.amdhsa_exception_fp_denorm_src 0
		.amdhsa_exception_fp_ieee_div_zero 0
		.amdhsa_exception_fp_ieee_overflow 0
		.amdhsa_exception_fp_ieee_underflow 0
		.amdhsa_exception_fp_ieee_inexact 0
		.amdhsa_exception_int_div_zero 0
	.end_amdhsa_kernel
	.section	.text._ZL33flash_attn_stream_k_fixup_generalILi64ELi2ELi2EEvPfPK15HIP_vector_typeIfLj2EEiiiiS1_IjLj3EES5_S5_S5_,"axG",@progbits,_ZL33flash_attn_stream_k_fixup_generalILi64ELi2ELi2EEvPfPK15HIP_vector_typeIfLj2EEiiiiS1_IjLj3EES5_S5_S5_,comdat
.Lfunc_end48:
	.size	_ZL33flash_attn_stream_k_fixup_generalILi64ELi2ELi2EEvPfPK15HIP_vector_typeIfLj2EEiiiiS1_IjLj3EES5_S5_S5_, .Lfunc_end48-_ZL33flash_attn_stream_k_fixup_generalILi64ELi2ELi2EEvPfPK15HIP_vector_typeIfLj2EEiiiiS1_IjLj3EES5_S5_S5_
                                        ; -- End function
	.set _ZL33flash_attn_stream_k_fixup_generalILi64ELi2ELi2EEvPfPK15HIP_vector_typeIfLj2EEiiiiS1_IjLj3EES5_S5_S5_.num_vgpr, 9
	.set _ZL33flash_attn_stream_k_fixup_generalILi64ELi2ELi2EEvPfPK15HIP_vector_typeIfLj2EEiiiiS1_IjLj3EES5_S5_S5_.num_agpr, 0
	.set _ZL33flash_attn_stream_k_fixup_generalILi64ELi2ELi2EEvPfPK15HIP_vector_typeIfLj2EEiiiiS1_IjLj3EES5_S5_S5_.numbered_sgpr, 44
	.set _ZL33flash_attn_stream_k_fixup_generalILi64ELi2ELi2EEvPfPK15HIP_vector_typeIfLj2EEiiiiS1_IjLj3EES5_S5_S5_.num_named_barrier, 0
	.set _ZL33flash_attn_stream_k_fixup_generalILi64ELi2ELi2EEvPfPK15HIP_vector_typeIfLj2EEiiiiS1_IjLj3EES5_S5_S5_.private_seg_size, 0
	.set _ZL33flash_attn_stream_k_fixup_generalILi64ELi2ELi2EEvPfPK15HIP_vector_typeIfLj2EEiiiiS1_IjLj3EES5_S5_S5_.uses_vcc, 1
	.set _ZL33flash_attn_stream_k_fixup_generalILi64ELi2ELi2EEvPfPK15HIP_vector_typeIfLj2EEiiiiS1_IjLj3EES5_S5_S5_.uses_flat_scratch, 0
	.set _ZL33flash_attn_stream_k_fixup_generalILi64ELi2ELi2EEvPfPK15HIP_vector_typeIfLj2EEiiiiS1_IjLj3EES5_S5_S5_.has_dyn_sized_stack, 0
	.set _ZL33flash_attn_stream_k_fixup_generalILi64ELi2ELi2EEvPfPK15HIP_vector_typeIfLj2EEiiiiS1_IjLj3EES5_S5_S5_.has_recursion, 0
	.set _ZL33flash_attn_stream_k_fixup_generalILi64ELi2ELi2EEvPfPK15HIP_vector_typeIfLj2EEiiiiS1_IjLj3EES5_S5_S5_.has_indirect_call, 0
	.section	.AMDGPU.csdata,"",@progbits
; Kernel info:
; codeLenInByte = 3548
; TotalNumSgprs: 46
; NumVgprs: 9
; ScratchSize: 0
; MemoryBound: 0
; FloatMode: 240
; IeeeMode: 1
; LDSByteSize: 0 bytes/workgroup (compile time only)
; SGPRBlocks: 0
; VGPRBlocks: 1
; NumSGPRsForWavesPerEU: 46
; NumVGPRsForWavesPerEU: 9
; Occupancy: 16
; WaveLimiterHint : 0
; COMPUTE_PGM_RSRC2:SCRATCH_EN: 0
; COMPUTE_PGM_RSRC2:USER_SGPR: 2
; COMPUTE_PGM_RSRC2:TRAP_HANDLER: 0
; COMPUTE_PGM_RSRC2:TGID_X_EN: 1
; COMPUTE_PGM_RSRC2:TGID_Y_EN: 1
; COMPUTE_PGM_RSRC2:TGID_Z_EN: 1
; COMPUTE_PGM_RSRC2:TIDIG_COMP_CNT: 0
	.section	.text._ZL15flash_attn_tileILi64ELi64ELi1ELi2ELb0EEvPKcS1_S1_S1_S1_PKiPfP15HIP_vector_typeIfLj2EEffffjfiS5_IjLj3EEiiiiiiiiiiiliiliiiiil,"axG",@progbits,_ZL15flash_attn_tileILi64ELi64ELi1ELi2ELb0EEvPKcS1_S1_S1_S1_PKiPfP15HIP_vector_typeIfLj2EEffffjfiS5_IjLj3EEiiiiiiiiiiiliiliiiiil,comdat
	.globl	_ZL15flash_attn_tileILi64ELi64ELi1ELi2ELb0EEvPKcS1_S1_S1_S1_PKiPfP15HIP_vector_typeIfLj2EEffffjfiS5_IjLj3EEiiiiiiiiiiiliiliiiiil ; -- Begin function _ZL15flash_attn_tileILi64ELi64ELi1ELi2ELb0EEvPKcS1_S1_S1_S1_PKiPfP15HIP_vector_typeIfLj2EEffffjfiS5_IjLj3EEiiiiiiiiiiiliiliiiiil
	.p2align	8
	.type	_ZL15flash_attn_tileILi64ELi64ELi1ELi2ELb0EEvPKcS1_S1_S1_S1_PKiPfP15HIP_vector_typeIfLj2EEffffjfiS5_IjLj3EEiiiiiiiiiiiliiliiiiil,@function
_ZL15flash_attn_tileILi64ELi64ELi1ELi2ELb0EEvPKcS1_S1_S1_S1_PKiPfP15HIP_vector_typeIfLj2EEffffjfiS5_IjLj3EEiiiiiiiiiiiliiliiiiil: ; @_ZL15flash_attn_tileILi64ELi64ELi1ELi2ELb0EEvPKcS1_S1_S1_S1_PKiPfP15HIP_vector_typeIfLj2EEffffjfiS5_IjLj3EEiiiiiiiiiiiliiliiiiil
; %bb.0:
	s_clause 0x1
	s_load_b128 s[20:23], s[0:1], 0x5c
	s_load_b64 s[28:29], s[0:1], 0x80
	s_lshr_b32 s5, ttmp7, 16
	s_load_b64 s[36:37], s[0:1], 0xb8
	s_mov_b32 s35, 0
	s_mov_b64 s[30:31], 0
	s_wait_kmcnt 0x0
	s_lshr_b32 s2, s23, 31
	s_delay_alu instid0(SALU_CYCLE_1) | instskip(NEXT) | instid1(SALU_CYCLE_1)
	s_add_co_i32 s2, s23, s2
	s_ashr_i32 s2, s2, 1
	s_delay_alu instid0(SALU_CYCLE_1) | instskip(SKIP_1) | instid1(SALU_CYCLE_2)
	s_cvt_f32_u32 s3, s2
	s_sub_co_i32 s4, 0, s2
	v_rcp_iflag_f32_e32 v1, s3
	s_delay_alu instid0(TRANS32_DEP_1) | instskip(SKIP_2) | instid1(SALU_CYCLE_2)
	v_readfirstlane_b32 s3, v1
	s_mul_f32 s3, s3, 0x4f7ffffe
	s_wait_alu 0xfffe
	s_cvt_u32_f32 s3, s3
	s_wait_alu 0xfffe
	s_delay_alu instid0(SALU_CYCLE_2) | instskip(NEXT) | instid1(SALU_CYCLE_1)
	s_mul_i32 s4, s4, s3
	s_mul_hi_u32 s4, s3, s4
	s_delay_alu instid0(SALU_CYCLE_1)
	s_add_co_i32 s3, s3, s4
	s_wait_alu 0xfffe
	s_mul_hi_u32 s3, s5, s3
	s_wait_alu 0xfffe
	s_mul_i32 s4, s3, s2
	s_add_co_i32 s6, s3, 1
	s_sub_co_i32 s4, s5, s4
	s_delay_alu instid0(SALU_CYCLE_1)
	s_sub_co_i32 s7, s4, s2
	s_cmp_ge_u32 s4, s2
	s_cselect_b32 s3, s6, s3
	s_cselect_b32 s4, s7, s4
	s_wait_alu 0xfffe
	s_add_co_i32 s6, s3, 1
	s_cmp_ge_u32 s4, s2
	s_cselect_b32 s2, s6, s3
	s_abs_i32 s3, s29
	s_abs_i32 s8, s23
	s_wait_alu 0xfffe
	s_cvt_f32_u32 s4, s3
	s_sub_co_i32 s6, 0, s3
	s_lshl_b32 s5, s5, 1
	s_mul_i32 s7, s2, s23
	v_rcp_iflag_f32_e32 v1, s4
	s_sub_co_i32 s33, s5, s7
	s_xor_b32 s5, s23, s29
	s_wait_alu 0xfffe
	s_ashr_i32 s24, s5, 31
	s_delay_alu instid0(TRANS32_DEP_1) | instskip(SKIP_2) | instid1(SALU_CYCLE_2)
	v_readfirstlane_b32 s4, v1
	s_mul_f32 s4, s4, 0x4f7ffffe
	s_wait_alu 0xfffe
	s_cvt_u32_f32 s4, s4
	s_wait_alu 0xfffe
	s_delay_alu instid0(SALU_CYCLE_2) | instskip(NEXT) | instid1(SALU_CYCLE_1)
	s_mul_i32 s6, s6, s4
	s_mul_hi_u32 s6, s4, s6
	s_delay_alu instid0(SALU_CYCLE_1) | instskip(SKIP_4) | instid1(SALU_CYCLE_1)
	s_add_co_i32 s4, s4, s6
	s_wait_alu 0xfffe
	s_mul_hi_u32 s4, s8, s4
	s_wait_alu 0xfffe
	s_mul_i32 s6, s4, s3
	s_sub_co_i32 s5, s8, s6
	s_add_co_i32 s6, s4, 1
	s_wait_alu 0xfffe
	s_sub_co_i32 s7, s5, s3
	s_cmp_ge_u32 s5, s3
	s_cselect_b32 s4, s6, s4
	s_cselect_b32 s5, s7, s5
	s_wait_alu 0xfffe
	s_add_co_i32 s6, s4, 1
	s_cmp_ge_u32 s5, s3
	s_cselect_b32 s3, s6, s4
	s_load_b512 s[4:19], s[0:1], 0x0
	s_xor_b32 s3, s3, s24
	s_wait_alu 0xfffe
	s_sub_co_i32 s38, s3, s24
	s_delay_alu instid0(SALU_CYCLE_1) | instskip(NEXT) | instid1(SALU_CYCLE_1)
	s_abs_i32 s29, s38
	s_cvt_f32_u32 s3, s29
	s_wait_alu 0xfffe
	s_delay_alu instid0(SALU_CYCLE_2) | instskip(SKIP_2) | instid1(TRANS32_DEP_1)
	v_rcp_iflag_f32_e32 v1, s3
	s_wait_kmcnt 0x0
	s_cmp_eq_u64 s[10:11], 0
	v_readfirstlane_b32 s24, v1
	s_cbranch_scc1 .LBB49_2
; %bb.1:
	s_abs_i32 s3, s36
	s_wait_alu 0xfffe
	s_cvt_f32_u32 s25, s3
	s_sub_co_i32 s26, 0, s3
	s_delay_alu instid0(SALU_CYCLE_2) | instskip(NEXT) | instid1(TRANS32_DEP_1)
	v_rcp_iflag_f32_e32 v1, s25
	v_readfirstlane_b32 s25, v1
	s_mul_f32 s25, s25, 0x4f7ffffe
	s_wait_alu 0xfffe
	s_delay_alu instid0(SALU_CYCLE_2) | instskip(SKIP_1) | instid1(SALU_CYCLE_2)
	s_cvt_u32_f32 s25, s25
	s_wait_alu 0xfffe
	s_mul_i32 s26, s26, s25
	s_delay_alu instid0(SALU_CYCLE_1)
	s_mul_hi_u32 s30, s25, s26
	s_load_b64 s[26:27], s[0:1], 0xc8
	s_add_co_i32 s25, s25, s30
	s_wait_alu 0xfffe
	s_mul_hi_u32 s25, s2, s25
	s_wait_alu 0xfffe
	s_mul_i32 s25, s25, s3
	s_wait_alu 0xfffe
	s_sub_co_i32 s25, s2, s25
	s_wait_alu 0xfffe
	s_sub_co_i32 s30, s25, s3
	s_cmp_ge_u32 s25, s3
	s_cselect_b32 s25, s30, s25
	s_wait_alu 0xfffe
	s_sub_co_i32 s30, s25, s3
	s_cmp_ge_u32 s25, s3
	s_cselect_b32 s30, s30, s25
	s_delay_alu instid0(SALU_CYCLE_1) | instskip(SKIP_2) | instid1(SALU_CYCLE_1)
	s_ashr_i32 s31, s30, 31
	s_wait_kmcnt 0x0
	s_mul_u64 s[26:27], s[26:27], s[30:31]
	s_add_nc_u64 s[30:31], s[10:11], s[26:27]
.LBB49_2:
	v_lshrrev_b32_e32 v1, 10, v0
	s_load_b96 s[40:42], s[0:1], 0x70
	v_bfe_u32 v21, v0, 10, 1
	s_delay_alu instid0(VALU_DEP_2) | instskip(NEXT) | instid1(VALU_DEP_1)
	v_bfe_u32 v1, v1, 1, 9
	v_add_nc_u32_e32 v2, ttmp9, v1
	s_delay_alu instid0(VALU_DEP_1) | instskip(SKIP_3) | instid1(VALU_DEP_1)
	v_mul_hi_u32 v1, s20, v2
	s_wait_kmcnt 0x0
	s_mul_i32 s10, s33, s41
	s_mov_b32 s20, s41
	v_add_nc_u32_e32 v1, v2, v1
	s_delay_alu instid0(VALU_DEP_1)
	v_lshrrev_b32_e32 v1, s21, v1
	s_ashr_i32 s21, s41, 31
	s_ashr_i32 s41, s40, 31
	s_wait_alu 0xfffe
	s_lshr_b32 s3, s21, 2
	s_lshr_b64 s[26:27], s[40:41], 2
	v_mul_lo_u32 v1, v1, s22
	s_lshr_b32 s11, s41, 2
	s_wait_alu 0xfffe
	v_mul_lo_u32 v7, s3, v21
	s_load_b32 s3, s[0:1], 0x40
	s_delay_alu instid0(VALU_DEP_2) | instskip(NEXT) | instid1(VALU_DEP_1)
	v_sub_nc_u32_e32 v3, v2, v1
	v_mad_co_u64_u32 v[4:5], null, s26, v3, 0
	s_lshr_b64 s[26:27], s[20:21], 2
	s_mul_i32 s20, s2, s42
	s_wait_alu 0xfffe
	s_ashr_i32 s21, s20, 31
	s_wait_alu 0xfffe
	s_add_nc_u64 s[4:5], s[4:5], s[20:21]
	v_mov_b32_e32 v1, v5
	s_delay_alu instid0(VALU_DEP_1)
	v_mad_co_u64_u32 v[5:6], null, s11, v3, v[1:2]
	v_mul_lo_u32 v6, s26, v21
	s_ashr_i32 s11, s10, 31
	v_and_b32_e32 v1, 0x3ff, v0
	s_wait_alu 0xfffe
	s_add_nc_u64 s[4:5], s[4:5], s[10:11]
	s_cmp_eq_u64 s[14:15], 0
	s_delay_alu instid0(VALU_DEP_3) | instskip(SKIP_3) | instid1(VALU_DEP_1)
	v_lshlrev_b64_e32 v[4:5], 2, v[4:5]
	v_lshlrev_b32_e32 v8, 3, v1
	v_lshlrev_b64_e32 v[6:7], 2, v[6:7]
	s_wait_alu 0xfffe
	v_add_co_u32 v6, vcc_lo, s4, v6
	s_delay_alu instid0(VALU_DEP_1) | instskip(NEXT) | instid1(VALU_DEP_2)
	v_add_co_ci_u32_e64 v7, null, s5, v7, vcc_lo
	v_add_co_u32 v4, vcc_lo, v6, v4
	s_wait_alu 0xfffd
	s_delay_alu instid0(VALU_DEP_2) | instskip(NEXT) | instid1(VALU_DEP_2)
	v_add_co_ci_u32_e64 v5, null, v7, v5, vcc_lo
	v_add_co_u32 v4, vcc_lo, v4, v8
	s_wait_alu 0xfffd
	s_delay_alu instid0(VALU_DEP_2) | instskip(SKIP_2) | instid1(VALU_DEP_1)
	v_add_co_ci_u32_e64 v5, null, 0, v5, vcc_lo
	global_load_b64 v[5:6], v[4:5], off
	v_bfe_u32 v4, v0, 10, 10
	v_lshl_add_u32 v0, v4, 7, 0x1200
	s_delay_alu instid0(VALU_DEP_1) | instskip(SKIP_4) | instid1(VALU_DEP_2)
	v_lshl_add_u32 v7, v1, 2, v0
	s_wait_loadcnt 0x0
	s_wait_kmcnt 0x0
	v_fma_mixlo_f16 v6, s3, v6, 0
	v_fma_mixlo_f16 v5, s3, v5, 0
	v_lshlrev_b32_e32 v6, 16, v6
	s_delay_alu instid0(VALU_DEP_2) | instskip(NEXT) | instid1(VALU_DEP_1)
	v_and_b32_e32 v5, 0xffff, v5
	v_or_b32_e32 v5, v6, v5
	ds_store_b32 v7, v5
	s_wait_dscnt 0x0
	s_barrier_signal -1
	s_barrier_wait -1
	global_inv scope:SCOPE_SE
	s_cbranch_scc1 .LBB49_4
; %bb.3:
	s_load_b32 s3, s[0:1], 0xd0
	s_mov_b32 s5, 0
	s_wait_kmcnt 0x0
	s_mul_i32 s3, s3, s2
	s_wait_alu 0xfffe
	s_add_co_i32 s4, s3, ttmp9
	s_wait_alu 0xfffe
	s_lshl_b64 s[4:5], s[4:5], 2
	s_wait_alu 0xfffe
	s_add_nc_u64 s[4:5], s[14:15], s[4:5]
	s_load_b32 s28, s[4:5], 0x0
.LBB49_4:
	s_and_b32 s4, ttmp7, 0xffff
	v_mbcnt_lo_u32_b32 v22, -1, 0
	s_wait_alu 0xfffe
	s_lshl_b32 s10, s4, 5
	s_wait_kmcnt 0x0
	s_wait_alu 0xfffe
	s_cmp_lt_i32 s10, s28
	s_cbranch_scc1 .LBB49_7
; %bb.5:
	v_mbcnt_lo_u32_b32 v5, -1, 0
	v_mov_b32_e32 v23, 32
	s_delay_alu instid0(VALU_DEP_2)
	v_xor_b32_e32 v30, 16, v5
	v_xor_b32_e32 v28, 8, v5
	;; [unrolled: 1-line block ×5, first 2 shown]
	s_mov_b32 s3, 0
	s_cbranch_execz .LBB49_8
; %bb.6:
	v_dual_mov_b32 v34, 0 :: v_dual_mov_b32 v3, 0xfeffffff
	v_mov_b32_e32 v29, 0
	s_branch .LBB49_11
.LBB49_7:
                                        ; implicit-def: $vgpr5
                                        ; implicit-def: $vgpr23
                                        ; implicit-def: $vgpr30
                                        ; implicit-def: $vgpr28
                                        ; implicit-def: $vgpr27
                                        ; implicit-def: $vgpr26
                                        ; implicit-def: $vgpr25
	s_mov_b32 s3, 0
.LBB49_8:
	s_mul_f32 s5, s24, 0x4f7ffffe
	s_clause 0x1
	s_load_b128 s[24:27], s[0:1], 0x98
	s_load_b64 s[20:21], s[0:1], 0x8c
	s_sub_co_i32 s11, 0, s29
	s_abs_i32 s34, s33
	s_cvt_u32_f32 s5, s5
	s_mov_b32 s15, s35
	s_ashr_i32 s40, s38, 31
	s_load_b64 s[38:39], s[0:1], 0xa8
	s_mul_i32 s11, s11, s5
	s_ashr_i32 s36, s33, 31
	s_wait_alu 0xfffe
	s_mul_hi_u32 s11, s5, s11
	v_lshrrev_b32_e32 v5, 3, v1
	s_wait_alu 0xfffe
	s_add_co_i32 s14, s5, s11
	s_ashr_i32 s5, s37, 1
	s_mul_u64 s[14:15], s[34:35], s[14:15]
	s_xor_b32 s11, s36, s40
	s_mul_i32 s35, s15, s29
	s_add_co_i32 s36, s15, 1
	v_lshl_add_u32 v5, v4, 2, v5
	v_dual_mov_b32 v29, 0 :: v_dual_lshlrev_b32 v24, 2, v1
	s_wait_kmcnt 0x0
	s_ashr_i32 s14, s26, 2
	s_sub_co_i32 s26, s34, s35
	s_ashr_i32 s20, s20, 2
	s_wait_alu 0xfffe
	s_sub_co_i32 s34, s26, s29
	s_cmp_ge_u32 s26, s29
	s_mul_u64 s[24:25], s[24:25], s[2:3]
	s_cselect_b32 s15, s36, s15
	s_cselect_b32 s26, s34, s26
	s_add_co_i32 s34, s15, 1
	s_wait_alu 0xfffe
	s_cmp_ge_u32 s26, s29
	v_mul_lo_u32 v6, s20, v5
	s_cselect_b32 s15, s34, s15
	s_mul_u64 s[34:35], s[38:39], s[2:3]
	s_xor_b32 s15, s15, s11
	s_add_nc_u64 s[6:7], s[6:7], s[24:25]
	s_sub_co_i32 s3, s15, s11
	v_mul_lo_u32 v13, s14, v5
	s_wait_alu 0xfffe
	s_mul_i32 s24, s3, s21
	v_and_b32_e32 v12, 28, v24
	s_wait_alu 0xfffe
	s_ashr_i32 s25, s24, 31
	v_ashrrev_i32_e32 v7, 31, v6
	s_wait_alu 0xfffe
	s_add_nc_u64 s[6:7], s[6:7], s[24:25]
	s_mul_i32 s24, s3, s27
	s_lshl_b32 s3, s20, 3
	v_dual_mov_b32 v23, 32 :: v_dual_lshlrev_b32 v14, 2, v12
	s_wait_alu 0xfffe
	v_add_nc_u32_e32 v8, s3, v6
	v_lshl_add_u32 v37, v4, 6, 0x1300
	v_mul_u32_u24_e32 v36, 0x90, v1
	v_mad_u32_u24 v31, 0x90, v5, v14
	v_lshl_or_b32 v38, v5, 7, v14
	v_add_nc_u32_e32 v10, s3, v8
	v_ashrrev_i32_e32 v9, 31, v8
	v_ashrrev_i32_e32 v14, 31, v13
	v_mad_co_u64_u32 v[4:5], null, v3, s5, v[1:2]
	s_delay_alu instid0(VALU_DEP_4)
	v_add_nc_u32_e32 v15, s3, v10
	s_lshl_b32 s3, s14, 3
	v_ashrrev_i32_e32 v11, 31, v10
	s_wait_alu 0xfffe
	v_add_nc_u32_e32 v17, s3, v13
	v_mov_b32_e32 v3, 0xfeffffff
	v_ashrrev_i32_e32 v16, 31, v15
	v_lshlrev_b64_e32 v[5:6], 2, v[6:7]
	v_lshlrev_b32_e32 v43, 2, v12
	v_add_nc_u32_e32 v19, s3, v17
	v_ashrrev_i32_e32 v18, 31, v17
	v_lshlrev_b64_e32 v[7:8], 2, v[8:9]
	v_lshlrev_b64_e32 v[9:10], 2, v[10:11]
	;; [unrolled: 1-line block ×3, first 2 shown]
	v_add_nc_u32_e32 v44, s3, v19
	v_ashrrev_i32_e32 v20, 31, v19
	v_lshlrev_b64_e32 v[13:14], 2, v[13:14]
	v_lshlrev_b64_e32 v[15:16], 2, v[17:18]
	v_add_nc_u32_e32 v32, 0x480, v31
	v_ashrrev_i32_e32 v45, 31, v44
	v_lshlrev_b64_e32 v[17:18], 2, v[19:20]
	v_dual_mov_b32 v34, 0 :: v_dual_add_nc_u32 v33, 0x900, v31
	v_add_nc_u32_e32 v35, 0xd80, v31
	s_delay_alu instid0(VALU_DEP_4)
	v_lshlrev_b64_e32 v[19:20], 2, v[44:45]
	v_lshl_add_u32 v39, v1, 1, v37
	v_add_nc_u32_e32 v40, 0x400, v38
	v_add_nc_u32_e32 v41, 0x800, v38
	v_add_nc_u32_e32 v42, 0xc00, v38
	v_xor_b32_e32 v30, 16, v22
	v_xor_b32_e32 v28, 8, v22
	;; [unrolled: 1-line block ×5, first 2 shown]
	v_add_nc_u32_e32 v44, 0x400, v24
	v_add_nc_u32_e32 v45, 0x800, v24
	v_add_nc_u32_e32 v46, 0xc00, v24
	s_add_nc_u64 s[8:9], s[8:9], s[34:35]
	s_ashr_i32 s25, s24, 31
	s_ashr_i32 s21, s20, 31
	s_wait_alu 0xfffe
	s_add_nc_u64 s[8:9], s[8:9], s[24:25]
	s_ashr_i32 s15, s14, 31
	s_add_nc_u64 s[24:25], s[0:1], 0xd0
.LBB49_9:                               ; =>This Inner Loop Header: Depth=1
	s_ashr_i32 s11, s10, 31
	v_dual_mov_b32 v63, 0 :: v_dual_mov_b32 v66, v3
	s_wait_alu 0xfffe
	s_mul_u64 s[26:27], s[10:11], s[20:21]
	s_wait_alu 0xfffe
	s_lshl_b64 s[26:27], s[26:27], 2
	s_wait_alu 0xfffe
	s_add_nc_u64 s[26:27], s[6:7], s[26:27]
	s_wait_alu 0xfffe
	v_add_co_u32 v47, vcc_lo, s26, v5
	s_wait_alu 0xfffd
	v_add_co_ci_u32_e64 v48, null, s27, v6, vcc_lo
	v_add_co_u32 v49, vcc_lo, s26, v7
	s_wait_alu 0xfffd
	v_add_co_ci_u32_e64 v50, null, s27, v8, vcc_lo
	;; [unrolled: 3-line block ×8, first 2 shown]
	s_clause 0x3
	global_load_b128 v[47:50], v[47:48], off
	global_load_b128 v[51:54], v[51:52], off
	;; [unrolled: 1-line block ×4, first 2 shown]
	s_mul_u64 s[26:27], s[10:11], s[14:15]
	s_wait_loadcnt 0x3
	ds_store_b128 v31, v[47:50]
	s_wait_loadcnt 0x2
	ds_store_b128 v32, v[51:54]
	;; [unrolled: 2-line block ×4, first 2 shown]
	s_wait_dscnt 0x0
	s_barrier_signal -1
	s_barrier_wait -1
	global_inv scope:SCOPE_SE
	ds_load_b128 v[47:50], v36
	ds_load_b128 v[51:54], v0
	s_wait_dscnt 0x0
	;;#ASMSTART
	v_dot2_f32_f16 v63, v47, v51, v63
	;;#ASMEND
	;;#ASMSTART
	v_dot2_f32_f16 v63, v48, v52, v63
	;;#ASMEND
	;;#ASMSTART
	v_dot2_f32_f16 v63, v49, v53, v63
	;;#ASMEND
	;;#ASMSTART
	v_dot2_f32_f16 v63, v50, v54, v63
	;;#ASMEND
	ds_load_b128 v[47:50], v36 offset:16
	ds_load_b128 v[51:54], v0 offset:16
	s_wait_dscnt 0x0
	;;#ASMSTART
	v_dot2_f32_f16 v63, v47, v51, v63
	;;#ASMEND
	;;#ASMSTART
	v_dot2_f32_f16 v63, v48, v52, v63
	;;#ASMEND
	;;#ASMSTART
	v_dot2_f32_f16 v63, v49, v53, v63
	;;#ASMEND
	;;#ASMSTART
	v_dot2_f32_f16 v63, v50, v54, v63
	;;#ASMEND
	ds_load_b128 v[47:50], v36 offset:32
	ds_load_b128 v[51:54], v0 offset:32
	;; [unrolled: 15-line block ×6, first 2 shown]
	s_wait_dscnt 0x0
	;;#ASMSTART
	v_dot2_f32_f16 v63, v47, v51, v63
	;;#ASMEND
	;;#ASMSTART
	v_dot2_f32_f16 v63, v48, v52, v63
	;;#ASMEND
	;;#ASMSTART
	v_dot2_f32_f16 v63, v49, v53, v63
	;;#ASMEND
	v_add_nc_u32_e32 v55, s10, v4
	;;#ASMSTART
	v_dot2_f32_f16 v63, v50, v54, v63
	;;#ASMEND
	ds_load_b128 v[47:50], v36 offset:112
	ds_load_b128 v[51:54], v0 offset:112
	s_wait_dscnt 0x0
	;;#ASMSTART
	v_dot2_f32_f16 v63, v47, v51, v63
	;;#ASMEND
	v_ashrrev_i32_e32 v56, 31, v55
	;;#ASMSTART
	v_dot2_f32_f16 v63, v48, v52, v63
	;;#ASMEND
	;;#ASMSTART
	v_dot2_f32_f16 v63, v49, v53, v63
	;;#ASMEND
	;; [unrolled: 3-line block ×3, first 2 shown]
	s_wait_alu 0xfffe
	s_lshl_b64 s[26:27], s[26:27], 2
	v_lshlrev_b64_e32 v[55:56], 1, v[55:56]
	s_wait_alu 0xfffe
	s_add_nc_u64 s[26:27], s[8:9], s[26:27]
	s_delay_alu instid0(VALU_DEP_1) | instskip(SKIP_1) | instid1(VALU_DEP_2)
	v_add_co_u32 v55, vcc_lo, s30, v55
	s_wait_alu 0xfffd
	v_add_co_ci_u32_e64 v56, null, s31, v56, vcc_lo
	s_wait_alu 0xfffe
	v_add_co_u32 v47, vcc_lo, s26, v13
	s_wait_alu 0xfffd
	v_add_co_ci_u32_e64 v48, null, s27, v14, vcc_lo
	global_load_u16 v64, v[55:56], off
	v_add_co_u32 v49, vcc_lo, s26, v15
	s_wait_alu 0xfffd
	v_add_co_ci_u32_e64 v50, null, s27, v16, vcc_lo
	v_add_co_u32 v53, vcc_lo, s26, v17
	s_wait_alu 0xfffd
	v_add_co_ci_u32_e64 v54, null, s27, v18, vcc_lo
	;; [unrolled: 3-line block ×7, first 2 shown]
	s_wait_loadcnt 0x0
	s_barrier_signal -1
	s_barrier_wait -1
	global_inv scope:SCOPE_SE
	s_clause 0x3
	global_load_b128 v[47:50], v[47:48], off
	global_load_b128 v[51:54], v[51:52], off
	global_load_b128 v[55:58], v[55:56], off
	global_load_b128 v[59:62], v[59:60], off
	v_cmp_gt_i32_e32 vcc_lo, 32, v30
	s_wait_alu 0xfffd
	v_cndmask_b32_e32 v65, v22, v30, vcc_lo
	v_cmp_gt_i32_e32 vcc_lo, 32, v28
	v_cvt_f32_f16_e32 v64, v64
	s_delay_alu instid0(VALU_DEP_1) | instskip(NEXT) | instid1(VALU_DEP_1)
	v_add_f32_e32 v63, v63, v64
	v_dual_add_f32 v64, 0x40051340, v63 :: v_dual_lshlrev_b32 v3, 2, v65
	v_max_num_f32_e32 v65, v66, v66
	s_delay_alu instid0(VALU_DEP_1)
	v_max_num_f32_e32 v64, v65, v64
	s_wait_alu 0xfffd
	v_cndmask_b32_e32 v65, v22, v28, vcc_lo
	v_cmp_gt_i32_e32 vcc_lo, 32, v27
	ds_bpermute_b32 v3, v3, v64
	v_lshlrev_b32_e32 v65, 2, v65
	s_wait_dscnt 0x0
	v_max_num_f32_e32 v3, v3, v3
	s_delay_alu instid0(VALU_DEP_1)
	v_max_num_f32_e32 v3, v64, v3
	ds_bpermute_b32 v64, v65, v3
	s_wait_alu 0xfffd
	v_cndmask_b32_e32 v65, v22, v27, vcc_lo
	v_cmp_gt_i32_e32 vcc_lo, 32, v26
	s_wait_dscnt 0x0
	s_delay_alu instid0(VALU_DEP_2) | instskip(NEXT) | instid1(VALU_DEP_1)
	v_dual_max_num_f32 v64, v64, v64 :: v_dual_lshlrev_b32 v65, 2, v65
	v_max_num_f32_e32 v3, v3, v64
	ds_bpermute_b32 v64, v65, v3
	s_wait_alu 0xfffd
	v_cndmask_b32_e32 v65, v22, v26, vcc_lo
	v_cmp_gt_i32_e32 vcc_lo, 32, v25
	s_wait_dscnt 0x0
	s_delay_alu instid0(VALU_DEP_2) | instskip(NEXT) | instid1(VALU_DEP_1)
	v_dual_max_num_f32 v64, v64, v64 :: v_dual_lshlrev_b32 v65, 2, v65
	v_max_num_f32_e32 v3, v3, v64
	ds_bpermute_b32 v64, v65, v3
	s_wait_alu 0xfffd
	v_cndmask_b32_e32 v65, v22, v25, vcc_lo
	s_wait_dscnt 0x0
	s_delay_alu instid0(VALU_DEP_1) | instskip(NEXT) | instid1(VALU_DEP_1)
	v_dual_max_num_f32 v64, v64, v64 :: v_dual_lshlrev_b32 v65, 2, v65
	v_max_num_f32_e32 v3, v3, v64
	ds_bpermute_b32 v64, v65, v3
	s_wait_dscnt 0x0
	v_max_num_f32_e32 v64, v64, v64
	s_delay_alu instid0(VALU_DEP_1) | instskip(NEXT) | instid1(VALU_DEP_1)
	v_max_num_f32_e32 v3, v3, v64
	v_sub_f32_e32 v64, v66, v3
	s_delay_alu instid0(VALU_DEP_1) | instskip(NEXT) | instid1(VALU_DEP_1)
	v_dual_sub_f32 v63, v63, v3 :: v_dual_mul_f32 v66, 0x3fb8aa3b, v64
	v_mul_f32_e32 v65, 0x3fb8aa3b, v63
	v_cmp_ngt_f32_e32 vcc_lo, 0xc2ce8ed0, v63
	s_delay_alu instid0(VALU_DEP_3) | instskip(NEXT) | instid1(VALU_DEP_3)
	v_fma_f32 v69, 0x3fb8aa3b, v64, -v66
	v_fma_f32 v67, 0x3fb8aa3b, v63, -v65
	v_rndne_f32_e32 v68, v65
	v_rndne_f32_e32 v70, v66
	s_delay_alu instid0(VALU_DEP_4) | instskip(NEXT) | instid1(VALU_DEP_4)
	v_fmac_f32_e32 v69, 0x32a5705f, v64
	v_fmac_f32_e32 v67, 0x32a5705f, v63
	s_delay_alu instid0(VALU_DEP_4) | instskip(SKIP_3) | instid1(VALU_DEP_2)
	v_sub_f32_e32 v65, v65, v68
	v_cvt_i32_f32_e32 v68, v68
	v_sub_f32_e32 v66, v66, v70
	v_cvt_i32_f32_e32 v70, v70
	v_dual_add_f32 v65, v65, v67 :: v_dual_add_f32 v66, v66, v69
	s_delay_alu instid0(VALU_DEP_1) | instskip(NEXT) | instid1(VALU_DEP_1)
	v_exp_f32_e32 v65, v65
	v_exp_f32_e32 v66, v66
	s_delay_alu instid0(TRANS32_DEP_2) | instskip(SKIP_1) | instid1(VALU_DEP_1)
	v_ldexp_f32 v65, v65, v68
	s_wait_alu 0xfffd
	v_cndmask_b32_e32 v65, 0, v65, vcc_lo
	v_cmp_nlt_f32_e32 vcc_lo, 0x42b17218, v63
	s_wait_alu 0xfffd
	s_delay_alu instid0(VALU_DEP_2) | instskip(SKIP_1) | instid1(VALU_DEP_2)
	v_cndmask_b32_e32 v63, 0x7f800000, v65, vcc_lo
	v_cmp_ngt_f32_e32 vcc_lo, 0xc2ce8ed0, v64
	v_cvt_f16_f32_e32 v65, v63
	ds_store_b16 v39, v65
	s_wait_loadcnt 0x3
	ds_store_b128 v38, v[47:50]
	s_wait_loadcnt 0x2
	ds_store_b128 v40, v[51:54]
	;; [unrolled: 2-line block ×4, first 2 shown]
	s_wait_dscnt 0x0
	s_barrier_signal -1
	s_barrier_wait -1
	global_inv scope:SCOPE_SE
	ds_load_b128 v[47:50], v37
	v_ldexp_f32 v51, v66, v70
	ds_load_2addr_b32 v[55:56], v24 offset1:32
	s_wait_alu 0xfffd
	v_cndmask_b32_e32 v51, 0, v51, vcc_lo
	v_cmp_nlt_f32_e32 vcc_lo, 0x42b17218, v64
	s_wait_alu 0xfffd
	s_delay_alu instid0(VALU_DEP_2)
	v_cndmask_b32_e32 v61, 0x7f800000, v51, vcc_lo
	ds_load_b128 v[51:54], v37 offset:16
	v_cvt_f16_f32_e32 v57, v61
	s_wait_dscnt 0x2
	v_and_b32_e32 v59, 0xffff, v47
	v_lshrrev_b32_e32 v47, 16, v47
	s_delay_alu instid0(VALU_DEP_3)
	v_and_b32_e32 v60, 0xffff, v57
	ds_load_2addr_b32 v[57:58], v24 offset0:64 offset1:96
	v_and_b32_e32 v64, 0xffff, v48
	v_mul_u32_u24_e32 v59, 0x10001, v59
	v_mul_u32_u24_e32 v47, 0x10001, v47
	;; [unrolled: 1-line block ×3, first 2 shown]
	s_wait_dscnt 0x2
	s_delay_alu instid0(VALU_DEP_3) | instskip(SKIP_4) | instid1(VALU_DEP_3)
	v_pk_mul_f16 v55, v55, v59
	ds_load_2addr_b32 v[59:60], v24 offset0:128 offset1:160
	v_pk_fma_f16 v29, v29, v62, v55
	v_lshrrev_b32_e32 v55, 16, v48
	v_mul_u32_u24_e32 v62, 0x10001, v64
	v_pk_fma_f16 v29, v56, v47, v29
	ds_load_2addr_b32 v[47:48], v24 offset0:192 offset1:224
	v_and_b32_e32 v56, 0xffff, v49
	v_mul_u32_u24_e32 v55, 0x10001, v55
	v_lshrrev_b32_e32 v49, 16, v49
	s_wait_dscnt 0x2
	v_pk_fma_f16 v29, v57, v62, v29
	v_and_b32_e32 v62, 0xffff, v53
	v_mul_u32_u24_e32 v57, 0x10001, v56
	v_mul_u32_u24_e32 v49, 0x10001, v49
	s_delay_alu instid0(VALU_DEP_4)
	v_pk_fma_f16 v29, v58, v55, v29
	ds_load_2addr_b32 v[55:56], v44 offset1:32
	v_and_b32_e32 v58, 0xffff, v50
	v_lshrrev_b32_e32 v50, 16, v50
	s_wait_dscnt 0x2
	v_pk_fma_f16 v29, v59, v57, v29
	s_delay_alu instid0(VALU_DEP_3)
	v_mul_u32_u24_e32 v59, 0x10001, v58
	ds_load_2addr_b32 v[57:58], v44 offset0:64 offset1:96
	v_mul_u32_u24_e32 v50, 0x10001, v50
	v_pk_fma_f16 v29, v60, v49, v29
	v_and_b32_e32 v49, 0xffff, v51
	s_wait_dscnt 0x2
	s_delay_alu instid0(VALU_DEP_2) | instskip(SKIP_1) | instid1(VALU_DEP_3)
	v_pk_fma_f16 v29, v47, v59, v29
	v_lshrrev_b32_e32 v47, 16, v51
	v_mul_u32_u24_e32 v49, 0x10001, v49
	ds_load_2addr_b32 v[59:60], v44 offset0:128 offset1:160
	v_lshrrev_b32_e32 v51, 16, v52
	v_pk_fma_f16 v29, v48, v50, v29
	v_and_b32_e32 v48, 0xffff, v52
	v_mul_u32_u24_e32 v47, 0x10001, v47
	s_delay_alu instid0(VALU_DEP_4) | instskip(SKIP_3) | instid1(VALU_DEP_2)
	v_mul_u32_u24_e32 v51, 0x10001, v51
	s_wait_dscnt 0x2
	v_pk_fma_f16 v29, v55, v49, v29
	v_mul_u32_u24_e32 v52, 0x10001, v48
	v_pk_fma_f16 v29, v56, v47, v29
	ds_load_b128 v[47:50], v37 offset:32
	ds_load_2addr_b32 v[55:56], v44 offset0:192 offset1:224
	s_wait_dscnt 0x3
	v_pk_fma_f16 v29, v57, v52, v29
	v_lshrrev_b32_e32 v52, 16, v53
	v_mul_u32_u24_e32 v53, 0x10001, v62
	v_lshrrev_b32_e32 v62, 16, v54
	s_delay_alu instid0(VALU_DEP_4)
	v_pk_fma_f16 v29, v58, v51, v29
	ds_load_2addr_b32 v[57:58], v45 offset1:32
	v_and_b32_e32 v51, 0xffff, v54
	v_mul_u32_u24_e32 v52, 0x10001, v52
	v_mul_u32_u24_e32 v62, 0x10001, v62
	s_wait_dscnt 0x3
	v_pk_fma_f16 v29, v59, v53, v29
	v_mul_u32_u24_e32 v64, 0x10001, v51
	s_delay_alu instid0(VALU_DEP_2)
	v_pk_fma_f16 v29, v60, v52, v29
	ds_load_b128 v[51:54], v37 offset:48
	ds_load_2addr_b32 v[59:60], v45 offset0:64 offset1:96
	s_wait_dscnt 0x4
	v_and_b32_e32 v65, 0xffff, v47
	v_lshrrev_b32_e32 v47, 16, v47
	s_wait_dscnt 0x3
	v_pk_fma_f16 v29, v55, v64, v29
	s_delay_alu instid0(VALU_DEP_3) | instskip(NEXT) | instid1(VALU_DEP_3)
	v_mul_u32_u24_e32 v64, 0x10001, v65
	v_mul_u32_u24_e32 v47, 0x10001, v47
	s_delay_alu instid0(VALU_DEP_3)
	v_pk_fma_f16 v29, v56, v62, v29
	ds_load_2addr_b32 v[55:56], v45 offset0:128 offset1:160
	v_and_b32_e32 v62, 0xffff, v48
	s_wait_dscnt 0x3
	v_pk_fma_f16 v29, v57, v64, v29
	v_lshrrev_b32_e32 v57, 16, v48
	s_delay_alu instid0(VALU_DEP_3) | instskip(NEXT) | instid1(VALU_DEP_3)
	v_mul_u32_u24_e32 v62, 0x10001, v62
	v_pk_fma_f16 v29, v58, v47, v29
	ds_load_2addr_b32 v[47:48], v45 offset0:192 offset1:224
	v_and_b32_e32 v58, 0xffff, v49
	v_mul_u32_u24_e32 v57, 0x10001, v57
	v_lshrrev_b32_e32 v49, 16, v49
	s_wait_dscnt 0x2
	v_pk_fma_f16 v29, v59, v62, v29
	v_mul_u32_u24_e32 v59, 0x10001, v58
	s_delay_alu instid0(VALU_DEP_3) | instskip(NEXT) | instid1(VALU_DEP_3)
	v_mul_u32_u24_e32 v49, 0x10001, v49
	v_pk_fma_f16 v29, v60, v57, v29
	ds_load_2addr_b32 v[57:58], v46 offset1:32
	v_and_b32_e32 v60, 0xffff, v50
	s_wait_dscnt 0x2
	v_pk_fma_f16 v29, v55, v59, v29
	v_lshrrev_b32_e32 v55, 16, v50
	s_delay_alu instid0(VALU_DEP_3) | instskip(NEXT) | instid1(VALU_DEP_3)
	v_mul_u32_u24_e32 v59, 0x10001, v60
	v_pk_fma_f16 v29, v56, v49, v29
	ds_load_2addr_b32 v[49:50], v46 offset0:64 offset1:96
	v_and_b32_e32 v56, 0xffff, v51
	v_mul_u32_u24_e32 v55, 0x10001, v55
	v_lshrrev_b32_e32 v51, 16, v51
	s_wait_dscnt 0x2
	v_pk_fma_f16 v29, v47, v59, v29
	v_and_b32_e32 v59, 0xffff, v52
	v_mul_u32_u24_e32 v56, 0x10001, v56
	v_lshrrev_b32_e32 v52, 16, v52
	v_mul_u32_u24_e32 v51, 0x10001, v51
	v_pk_fma_f16 v29, v48, v55, v29
	ds_load_2addr_b32 v[47:48], v46 offset0:128 offset1:160
	v_mul_u32_u24_e32 v52, 0x10001, v52
	s_wait_dscnt 0x2
	v_pk_fma_f16 v29, v57, v56, v29
	v_mul_u32_u24_e32 v57, 0x10001, v59
	ds_load_2addr_b32 v[55:56], v46 offset0:192 offset1:224
	s_wait_loadcnt_dscnt 0x0
	s_barrier_signal -1
	v_pk_fma_f16 v29, v58, v51, v29
	v_and_b32_e32 v51, 0xffff, v53
	s_barrier_wait -1
	global_inv scope:SCOPE_SE
	s_load_b32 s3, s[24:25], 0x4
	v_pk_fma_f16 v29, v49, v57, v29
	v_lshrrev_b32_e32 v49, 16, v53
	v_mul_u32_u24_e32 v51, 0x10001, v51
	s_delay_alu instid0(VALU_DEP_3) | instskip(SKIP_1) | instid1(VALU_DEP_4)
	v_pk_fma_f16 v29, v50, v52, v29
	v_and_b32_e32 v50, 0xffff, v54
	v_mul_u32_u24_e32 v49, 0x10001, v49
	s_delay_alu instid0(VALU_DEP_3) | instskip(SKIP_1) | instid1(VALU_DEP_4)
	v_pk_fma_f16 v29, v47, v51, v29
	v_lshrrev_b32_e32 v51, 16, v54
	v_mul_u32_u24_e32 v50, 0x10001, v50
	v_dual_mov_b32 v47, v34 :: v_dual_mov_b32 v34, v63
	s_delay_alu instid0(VALU_DEP_4) | instskip(NEXT) | instid1(VALU_DEP_4)
	v_pk_fma_f16 v29, v48, v49, v29
	v_mul_u32_u24_e32 v48, 0x10001, v51
	s_wait_kmcnt 0x0
	s_lshl_b32 s3, s3, 5
	s_delay_alu instid0(VALU_DEP_2)
	v_pk_fma_f16 v29, v55, v50, v29
	v_fmac_f32_e32 v34, v47, v61
	s_wait_alu 0xfffe
	s_add_co_i32 s10, s3, s10
	s_wait_alu 0xfffe
	s_cmp_ge_i32 s10, s28
	v_pk_fma_f16 v29, v56, v48, v29
	s_cbranch_scc0 .LBB49_9
; %bb.10:
	v_mov_b32_e32 v5, v22
.LBB49_11:
	v_lshlrev_b32_e32 v0, 1, v1
	v_cmp_lt_i32_e32 vcc_lo, v30, v23
	s_cmp_lg_u64 s[12:13], 0
	s_cselect_b32 s3, -1, 0
	s_cmp_eq_u32 s4, 0
	s_wait_alu 0xfffd
	v_cndmask_b32_e32 v4, v5, v30, vcc_lo
	v_cmp_lt_i32_e32 vcc_lo, v28, v23
	s_cselect_b32 s5, -1, 0
	s_wait_alu 0xfffe
	s_and_b32 s3, s5, s3
	s_wait_alu 0xfffd
	v_cndmask_b32_e32 v6, v5, v28, vcc_lo
	v_cmp_lt_i32_e32 vcc_lo, v27, v23
	s_wait_alu 0xfffd
	s_delay_alu instid0(VALU_DEP_2) | instskip(SKIP_1) | instid1(VALU_DEP_2)
	v_dual_cndmask_b32 v7, v5, v27 :: v_dual_lshlrev_b32 v6, 2, v6
	v_cmp_lt_i32_e32 vcc_lo, v26, v23
	v_lshlrev_b32_e32 v7, 2, v7
	v_lshlrev_b32_e32 v4, 2, v4
	ds_bpermute_b32 v4, v4, v34
	s_wait_dscnt 0x0
	v_add_f32_e32 v4, v34, v4
	ds_bpermute_b32 v6, v6, v4
	s_wait_dscnt 0x0
	v_add_f32_e32 v4, v4, v6
	ds_bpermute_b32 v6, v7, v4
	s_wait_alu 0xfffd
	v_cndmask_b32_e32 v7, v5, v26, vcc_lo
	v_cmp_lt_i32_e32 vcc_lo, v25, v23
	s_delay_alu instid0(VALU_DEP_2)
	v_lshlrev_b32_e32 v7, 2, v7
	s_wait_alu 0xfffd
	v_cndmask_b32_e32 v5, v5, v25, vcc_lo
	s_wait_alu 0xfffe
	s_and_b32 vcc_lo, exec_lo, s3
	s_wait_dscnt 0x0
	s_delay_alu instid0(VALU_DEP_1)
	v_dual_add_f32 v4, v4, v6 :: v_dual_lshlrev_b32 v5, 2, v5
	ds_bpermute_b32 v6, v7, v4
	s_wait_dscnt 0x0
	v_add_f32_e32 v4, v4, v6
	ds_bpermute_b32 v6, v5, v4
	s_wait_dscnt 0x0
	v_dual_add_f32 v4, v4, v6 :: v_dual_add_nc_u32 v5, s33, v21
	s_wait_alu 0xfffe
	s_cbranch_vccz .LBB49_13
; %bb.12:
	s_delay_alu instid0(VALU_DEP_1) | instskip(NEXT) | instid1(VALU_DEP_1)
	v_ashrrev_i32_e32 v6, 31, v5
	v_lshlrev_b64_e32 v[6:7], 2, v[5:6]
	s_delay_alu instid0(VALU_DEP_1) | instskip(SKIP_1) | instid1(VALU_DEP_2)
	v_add_co_u32 v6, vcc_lo, s12, v6
	s_wait_alu 0xfffd
	v_add_co_ci_u32_e64 v7, null, s13, v7, vcc_lo
	global_load_b32 v6, v[6:7], off
	s_wait_loadcnt 0x0
	v_dual_max_num_f32 v7, v3, v3 :: v_dual_max_num_f32 v8, v6, v6
	s_delay_alu instid0(VALU_DEP_1) | instskip(NEXT) | instid1(VALU_DEP_1)
	v_max_num_f32_e32 v7, v7, v8
	v_sub_f32_e32 v3, v3, v7
	s_delay_alu instid0(VALU_DEP_1) | instskip(SKIP_1) | instid1(VALU_DEP_2)
	v_mul_f32_e32 v8, 0x3fb8aa3b, v3
	v_sub_f32_e32 v6, v6, v7
	v_fma_f32 v9, 0x3fb8aa3b, v3, -v8
	v_rndne_f32_e32 v10, v8
	s_delay_alu instid0(VALU_DEP_1) | instskip(NEXT) | instid1(VALU_DEP_4)
	v_dual_sub_f32 v8, v8, v10 :: v_dual_fmac_f32 v9, 0x32a5705f, v3
	v_mul_f32_e32 v11, 0x3fb8aa3b, v6
	v_cvt_i32_f32_e32 v10, v10
	v_cmp_ngt_f32_e32 vcc_lo, 0xc2ce8ed0, v3
	s_delay_alu instid0(VALU_DEP_4) | instskip(NEXT) | instid1(VALU_DEP_4)
	v_add_f32_e32 v8, v8, v9
	v_rndne_f32_e32 v13, v11
	s_delay_alu instid0(VALU_DEP_2) | instskip(NEXT) | instid1(VALU_DEP_1)
	v_exp_f32_e32 v8, v8
	v_sub_f32_e32 v9, v11, v13
	v_fma_f32 v12, 0x3fb8aa3b, v6, -v11
	s_delay_alu instid0(VALU_DEP_1) | instskip(NEXT) | instid1(TRANS32_DEP_1)
	v_fmac_f32_e32 v12, 0x32a5705f, v6
	v_ldexp_f32 v8, v8, v10
	v_cvt_i32_f32_e32 v10, v13
	s_wait_alu 0xfffd
	s_delay_alu instid0(VALU_DEP_2) | instskip(SKIP_2) | instid1(VALU_DEP_2)
	v_cndmask_b32_e32 v8, 0, v8, vcc_lo
	v_cmp_nlt_f32_e32 vcc_lo, 0x42b17218, v3
	s_wait_alu 0xfffd
	v_cndmask_b32_e32 v3, 0x7f800000, v8, vcc_lo
	v_add_f32_e32 v9, v9, v12
	v_cmp_ngt_f32_e32 vcc_lo, 0xc2ce8ed0, v6
	s_delay_alu instid0(VALU_DEP_2) | instskip(NEXT) | instid1(TRANS32_DEP_1)
	v_exp_f32_e32 v9, v9
	v_ldexp_f32 v9, v9, v10
	s_wait_alu 0xfffd
	s_delay_alu instid0(VALU_DEP_1) | instskip(SKIP_2) | instid1(VALU_DEP_2)
	v_cndmask_b32_e32 v8, 0, v9, vcc_lo
	v_cmp_nlt_f32_e32 vcc_lo, 0x42b17218, v6
	s_wait_alu 0xfffd
	v_cndmask_b32_e32 v6, 0x7f800000, v8, vcc_lo
	s_delay_alu instid0(VALU_DEP_1) | instskip(NEXT) | instid1(VALU_DEP_1)
	v_fmac_f32_e32 v6, v4, v3
	v_mov_b32_e32 v4, v6
	v_cvt_f16_f32_e32 v9, v3
	s_delay_alu instid0(VALU_DEP_1) | instskip(NEXT) | instid1(VALU_DEP_1)
	v_and_b32_e32 v8, 0xffff, v9
	v_mul_u32_u24_e32 v3, 0x10001, v8
	s_delay_alu instid0(VALU_DEP_1)
	v_pk_mul_f16 v29, v29, v3
	v_mov_b32_e32 v3, v7
.LBB49_13:
	s_delay_alu instid0(VALU_DEP_1) | instskip(SKIP_3) | instid1(TRANS32_DEP_1)
	v_div_scale_f32 v8, null, v4, v4, 1.0
	v_div_scale_f32 v10, vcc_lo, 1.0, v4, 1.0
	s_load_b32 s0, s[0:1], 0xd4
	v_rcp_f32_e32 v9, v8
	v_fma_f32 v6, -v8, v9, 1.0
	s_delay_alu instid0(VALU_DEP_1) | instskip(SKIP_3) | instid1(VALU_DEP_2)
	v_fmac_f32_e32 v9, v6, v9
	v_mad_co_u64_u32 v[6:7], null, s2, s22, v[2:3]
	s_wait_kmcnt 0x0
	s_cmp_lg_u32 s0, 1
	v_mul_f32_e32 v11, v10, v9
	s_cselect_b32 s1, -1, 0
	s_delay_alu instid0(VALU_DEP_2) | instskip(NEXT) | instid1(VALU_DEP_2)
	v_mad_co_u64_u32 v[5:6], null, v6, s23, v[5:6]
	v_fma_f32 v2, -v8, v11, v10
	s_delay_alu instid0(VALU_DEP_1) | instskip(NEXT) | instid1(VALU_DEP_3)
	v_fmac_f32_e32 v11, v2, v9
	v_mad_co_u64_u32 v[5:6], null, s0, v5, s[4:5]
	s_delay_alu instid0(VALU_DEP_2) | instskip(SKIP_1) | instid1(VALU_DEP_3)
	v_fma_f32 v2, -v8, v11, v10
	v_lshrrev_b32_e32 v8, 16, v29
	v_lshl_add_u32 v6, v5, 6, v0
	s_delay_alu instid0(VALU_DEP_3) | instskip(SKIP_1) | instid1(VALU_DEP_4)
	v_div_fmas_f32 v2, v2, v9, v11
	v_cvt_f32_f16_e32 v0, v29
	v_cvt_f32_f16_e32 v8, v8
	v_cmp_eq_u32_e32 vcc_lo, 0, v1
	s_delay_alu instid0(VALU_DEP_4) | instskip(SKIP_1) | instid1(VALU_DEP_1)
	v_div_fixup_f32 v2, v2, v4, 1.0
	s_wait_alu 0xfffe
	v_cndmask_b32_e64 v2, v2, 1.0, s1
	s_delay_alu instid0(VALU_DEP_1) | instskip(NEXT) | instid1(VALU_DEP_1)
	v_dual_mov_b32 v7, 0 :: v_dual_mul_f32 v0, v2, v0
	v_lshlrev_b64_e32 v[6:7], 2, v[6:7]
	v_mul_f32_e32 v1, v2, v8
	s_delay_alu instid0(VALU_DEP_2) | instskip(SKIP_1) | instid1(VALU_DEP_3)
	v_add_co_u32 v6, s0, s16, v6
	s_wait_alu 0xf1ff
	v_add_co_ci_u32_e64 v7, null, s17, v7, s0
	s_and_b32 s0, vcc_lo, s1
	global_store_b64 v[6:7], v[0:1], off
	s_wait_alu 0xfffe
	s_and_saveexec_b32 s1, s0
	s_cbranch_execz .LBB49_15
; %bb.14:
	v_ashrrev_i32_e32 v6, 31, v5
	s_delay_alu instid0(VALU_DEP_1) | instskip(NEXT) | instid1(VALU_DEP_1)
	v_lshlrev_b64_e32 v[0:1], 3, v[5:6]
	v_add_co_u32 v0, vcc_lo, s18, v0
	s_wait_alu 0xfffd
	s_delay_alu instid0(VALU_DEP_2)
	v_add_co_ci_u32_e64 v1, null, s19, v1, vcc_lo
	global_store_b64 v[0:1], v[3:4], off
.LBB49_15:
	s_endpgm
	.section	.rodata,"a",@progbits
	.p2align	6, 0x0
	.amdhsa_kernel _ZL15flash_attn_tileILi64ELi64ELi1ELi2ELb0EEvPKcS1_S1_S1_S1_PKiPfP15HIP_vector_typeIfLj2EEffffjfiS5_IjLj3EEiiiiiiiiiiiliiliiiiil
		.amdhsa_group_segment_fixed_size 4992
		.amdhsa_private_segment_fixed_size 0
		.amdhsa_kernarg_size 464
		.amdhsa_user_sgpr_count 2
		.amdhsa_user_sgpr_dispatch_ptr 0
		.amdhsa_user_sgpr_queue_ptr 0
		.amdhsa_user_sgpr_kernarg_segment_ptr 1
		.amdhsa_user_sgpr_dispatch_id 0
		.amdhsa_user_sgpr_private_segment_size 0
		.amdhsa_wavefront_size32 1
		.amdhsa_uses_dynamic_stack 0
		.amdhsa_enable_private_segment 0
		.amdhsa_system_sgpr_workgroup_id_x 1
		.amdhsa_system_sgpr_workgroup_id_y 1
		.amdhsa_system_sgpr_workgroup_id_z 1
		.amdhsa_system_sgpr_workgroup_info 0
		.amdhsa_system_vgpr_workitem_id 1
		.amdhsa_next_free_vgpr 71
		.amdhsa_next_free_sgpr 43
		.amdhsa_reserve_vcc 1
		.amdhsa_float_round_mode_32 0
		.amdhsa_float_round_mode_16_64 0
		.amdhsa_float_denorm_mode_32 3
		.amdhsa_float_denorm_mode_16_64 3
		.amdhsa_fp16_overflow 0
		.amdhsa_workgroup_processor_mode 1
		.amdhsa_memory_ordered 1
		.amdhsa_forward_progress 1
		.amdhsa_inst_pref_size 39
		.amdhsa_round_robin_scheduling 0
		.amdhsa_exception_fp_ieee_invalid_op 0
		.amdhsa_exception_fp_denorm_src 0
		.amdhsa_exception_fp_ieee_div_zero 0
		.amdhsa_exception_fp_ieee_overflow 0
		.amdhsa_exception_fp_ieee_underflow 0
		.amdhsa_exception_fp_ieee_inexact 0
		.amdhsa_exception_int_div_zero 0
	.end_amdhsa_kernel
	.section	.text._ZL15flash_attn_tileILi64ELi64ELi1ELi2ELb0EEvPKcS1_S1_S1_S1_PKiPfP15HIP_vector_typeIfLj2EEffffjfiS5_IjLj3EEiiiiiiiiiiiliiliiiiil,"axG",@progbits,_ZL15flash_attn_tileILi64ELi64ELi1ELi2ELb0EEvPKcS1_S1_S1_S1_PKiPfP15HIP_vector_typeIfLj2EEffffjfiS5_IjLj3EEiiiiiiiiiiiliiliiiiil,comdat
.Lfunc_end49:
	.size	_ZL15flash_attn_tileILi64ELi64ELi1ELi2ELb0EEvPKcS1_S1_S1_S1_PKiPfP15HIP_vector_typeIfLj2EEffffjfiS5_IjLj3EEiiiiiiiiiiiliiliiiiil, .Lfunc_end49-_ZL15flash_attn_tileILi64ELi64ELi1ELi2ELb0EEvPKcS1_S1_S1_S1_PKiPfP15HIP_vector_typeIfLj2EEffffjfiS5_IjLj3EEiiiiiiiiiiiliiliiiiil
                                        ; -- End function
	.set _ZL15flash_attn_tileILi64ELi64ELi1ELi2ELb0EEvPKcS1_S1_S1_S1_PKiPfP15HIP_vector_typeIfLj2EEffffjfiS5_IjLj3EEiiiiiiiiiiiliiliiiiil.num_vgpr, 71
	.set _ZL15flash_attn_tileILi64ELi64ELi1ELi2ELb0EEvPKcS1_S1_S1_S1_PKiPfP15HIP_vector_typeIfLj2EEffffjfiS5_IjLj3EEiiiiiiiiiiiliiliiiiil.num_agpr, 0
	.set _ZL15flash_attn_tileILi64ELi64ELi1ELi2ELb0EEvPKcS1_S1_S1_S1_PKiPfP15HIP_vector_typeIfLj2EEffffjfiS5_IjLj3EEiiiiiiiiiiiliiliiiiil.numbered_sgpr, 43
	.set _ZL15flash_attn_tileILi64ELi64ELi1ELi2ELb0EEvPKcS1_S1_S1_S1_PKiPfP15HIP_vector_typeIfLj2EEffffjfiS5_IjLj3EEiiiiiiiiiiiliiliiiiil.num_named_barrier, 0
	.set _ZL15flash_attn_tileILi64ELi64ELi1ELi2ELb0EEvPKcS1_S1_S1_S1_PKiPfP15HIP_vector_typeIfLj2EEffffjfiS5_IjLj3EEiiiiiiiiiiiliiliiiiil.private_seg_size, 0
	.set _ZL15flash_attn_tileILi64ELi64ELi1ELi2ELb0EEvPKcS1_S1_S1_S1_PKiPfP15HIP_vector_typeIfLj2EEffffjfiS5_IjLj3EEiiiiiiiiiiiliiliiiiil.uses_vcc, 1
	.set _ZL15flash_attn_tileILi64ELi64ELi1ELi2ELb0EEvPKcS1_S1_S1_S1_PKiPfP15HIP_vector_typeIfLj2EEffffjfiS5_IjLj3EEiiiiiiiiiiiliiliiiiil.uses_flat_scratch, 0
	.set _ZL15flash_attn_tileILi64ELi64ELi1ELi2ELb0EEvPKcS1_S1_S1_S1_PKiPfP15HIP_vector_typeIfLj2EEffffjfiS5_IjLj3EEiiiiiiiiiiiliiliiiiil.has_dyn_sized_stack, 0
	.set _ZL15flash_attn_tileILi64ELi64ELi1ELi2ELb0EEvPKcS1_S1_S1_S1_PKiPfP15HIP_vector_typeIfLj2EEffffjfiS5_IjLj3EEiiiiiiiiiiiliiliiiiil.has_recursion, 0
	.set _ZL15flash_attn_tileILi64ELi64ELi1ELi2ELb0EEvPKcS1_S1_S1_S1_PKiPfP15HIP_vector_typeIfLj2EEffffjfiS5_IjLj3EEiiiiiiiiiiiliiliiiiil.has_indirect_call, 0
	.section	.AMDGPU.csdata,"",@progbits
; Kernel info:
; codeLenInByte = 4988
; TotalNumSgprs: 45
; NumVgprs: 71
; ScratchSize: 0
; MemoryBound: 0
; FloatMode: 240
; IeeeMode: 1
; LDSByteSize: 4992 bytes/workgroup (compile time only)
; SGPRBlocks: 0
; VGPRBlocks: 8
; NumSGPRsForWavesPerEU: 45
; NumVGPRsForWavesPerEU: 71
; Occupancy: 13
; WaveLimiterHint : 1
; COMPUTE_PGM_RSRC2:SCRATCH_EN: 0
; COMPUTE_PGM_RSRC2:USER_SGPR: 2
; COMPUTE_PGM_RSRC2:TRAP_HANDLER: 0
; COMPUTE_PGM_RSRC2:TGID_X_EN: 1
; COMPUTE_PGM_RSRC2:TGID_Y_EN: 1
; COMPUTE_PGM_RSRC2:TGID_Z_EN: 1
; COMPUTE_PGM_RSRC2:TIDIG_COMP_CNT: 1
	.section	.text._ZL33flash_attn_stream_k_fixup_uniformILi64ELi1ELi2EEvPfPK15HIP_vector_typeIfLj2EEiiiiiiS1_IjLj3EES5_S5_,"axG",@progbits,_ZL33flash_attn_stream_k_fixup_uniformILi64ELi1ELi2EEvPfPK15HIP_vector_typeIfLj2EEiiiiiiS1_IjLj3EES5_S5_,comdat
	.globl	_ZL33flash_attn_stream_k_fixup_uniformILi64ELi1ELi2EEvPfPK15HIP_vector_typeIfLj2EEiiiiiiS1_IjLj3EES5_S5_ ; -- Begin function _ZL33flash_attn_stream_k_fixup_uniformILi64ELi1ELi2EEvPfPK15HIP_vector_typeIfLj2EEiiiiiiS1_IjLj3EES5_S5_
	.p2align	8
	.type	_ZL33flash_attn_stream_k_fixup_uniformILi64ELi1ELi2EEvPfPK15HIP_vector_typeIfLj2EEiiiiiiS1_IjLj3EES5_S5_,@function
_ZL33flash_attn_stream_k_fixup_uniformILi64ELi1ELi2EEvPfPK15HIP_vector_typeIfLj2EEiiiiiiS1_IjLj3EES5_S5_: ; @_ZL33flash_attn_stream_k_fixup_uniformILi64ELi1ELi2EEvPfPK15HIP_vector_typeIfLj2EEiiiiiiS1_IjLj3EES5_S5_
; %bb.0:
	s_clause 0x1
	s_load_b256 s[4:11], s[0:1], 0x1c
	s_load_b128 s[16:19], s[0:1], 0x3c
	s_wait_kmcnt 0x0
	s_mul_hi_u32 s2, s7, ttmp9
	s_delay_alu instid0(SALU_CYCLE_1) | instskip(NEXT) | instid1(SALU_CYCLE_1)
	s_add_co_i32 s2, ttmp9, s2
	s_lshr_b32 s12, s2, s8
	s_delay_alu instid0(SALU_CYCLE_1) | instskip(SKIP_2) | instid1(SALU_CYCLE_1)
	s_mul_i32 s2, s12, s9
	s_load_b64 s[8:9], s[0:1], 0x10
	s_sub_co_i32 s2, ttmp9, s2
	s_mul_hi_u32 s3, s2, s10
	s_and_b32 s10, ttmp7, 0xffff
	s_add_co_i32 s3, s2, s3
	s_delay_alu instid0(SALU_CYCLE_1) | instskip(NEXT) | instid1(SALU_CYCLE_1)
	s_lshr_b32 s11, s3, s11
	s_mul_i32 s3, s11, s16
	s_delay_alu instid0(SALU_CYCLE_1) | instskip(NEXT) | instid1(SALU_CYCLE_1)
	s_sub_co_i32 s2, s2, s3
	s_mul_hi_u32 s3, s2, s17
	s_delay_alu instid0(SALU_CYCLE_1) | instskip(NEXT) | instid1(SALU_CYCLE_1)
	s_add_co_i32 s3, s2, s3
	s_lshr_b32 s3, s3, s18
	s_delay_alu instid0(SALU_CYCLE_1)
	s_mul_i32 s7, s3, s19
	s_lshl_b32 s14, s3, 1
	s_sub_co_i32 s13, s2, s7
	s_lshr_b32 s7, ttmp7, 16
	s_add_co_i32 s13, s13, s10
	s_wait_kmcnt 0x0
	s_cmp_lt_i32 s13, s8
	s_cselect_b32 s2, -1, 0
	s_add_co_i32 s14, s14, s7
	s_delay_alu instid0(SALU_CYCLE_1) | instskip(SKIP_1) | instid1(SALU_CYCLE_1)
	s_cmp_lt_i32 s14, s5
	s_cselect_b32 s3, -1, 0
	s_and_b32 s2, s2, s3
	s_delay_alu instid0(SALU_CYCLE_1)
	s_and_not1_b32 vcc_lo, exec_lo, s2
	s_cbranch_vccnz .LBB50_6
; %bb.1:
	s_mul_i32 s12, s12, s8
	s_mul_i32 s11, s11, s5
	s_add_co_i32 s5, s13, s12
	s_load_b128 s[0:3], s[0:1], 0x0
	s_add_co_i32 s8, s14, s11
	s_mul_i32 s5, s5, s9
	s_delay_alu instid0(SALU_CYCLE_1) | instskip(NEXT) | instid1(SALU_CYCLE_1)
	s_add_co_i32 s8, s8, s5
	v_lshl_or_b32 v1, s8, 6, v0
	s_mul_i32 s8, s6, ttmp9
	s_wait_alu 0xfffe
	s_add_co_i32 s9, s8, s6
	s_delay_alu instid0(VALU_DEP_1) | instskip(SKIP_2) | instid1(VALU_DEP_1)
	v_ashrrev_i32_e32 v2, 31, v1
	s_wait_alu 0xfffe
	s_add_co_i32 s5, s9, -2
	v_lshlrev_b64_e32 v[1:2], 2, v[1:2]
	s_wait_kmcnt 0x0
	s_delay_alu instid0(VALU_DEP_1) | instskip(NEXT) | instid1(VALU_DEP_1)
	v_add_co_u32 v1, vcc_lo, s0, v1
	v_add_co_ci_u32_e64 v2, null, s1, v2, vcc_lo
	s_add_co_i32 s0, s10, s9
	s_wait_alu 0xfffe
	s_lshl_b32 s0, s0, 1
	global_load_b32 v5, v[1:2], off
	s_wait_alu 0xfffe
	s_add_co_i32 s0, s0, s7
	s_wait_alu 0xfffe
	s_add_co_i32 s0, s0, -2
	s_wait_alu 0xfffe
	s_ashr_i32 s1, s0, 31
	s_wait_alu 0xfffe
	s_lshl_b64 s[0:1], s[0:1], 3
	s_cmp_lt_i32 s5, s8
	s_wait_alu 0xfffe
	s_add_nc_u64 s[0:1], s[2:3], s[0:1]
	s_load_b32 s11, s[0:1], 0x4
	s_cbranch_scc1 .LBB50_4
; %bb.2:
	s_load_b32 s0, s[0:1], 0x0
	s_add_co_i32 s1, ttmp9, 1
	s_lshl_b32 s5, s7, 6
	s_wait_alu 0xfffe
	s_mul_i32 s1, s6, s1
	s_lshl_b32 s6, s10, 7
	s_wait_alu 0xfffe
	s_lshl_b32 s1, s1, 7
	s_add_co_i32 s5, s5, s6
	s_lshl_b32 s12, s4, 3
	s_wait_alu 0xfffe
	s_add_co_i32 s5, s5, s1
	s_add_co_i32 s1, s10, s4
	v_or_b32_e32 v0, s5, v0
	s_wait_alu 0xfffe
	s_add_co_i32 s1, s1, s9
	s_ashr_i32 s13, s12, 31
	s_wait_alu 0xfffe
	s_lshl_b32 s1, s1, 1
	s_wait_kmcnt 0x0
	v_dual_mov_b32 v6, s11 :: v_dual_add_nc_u32 v3, 0xffffff00, v0
	s_lshl_b64 s[4:5], s[12:13], 2
	s_wait_alu 0xfffe
	s_add_co_i32 s6, s7, s1
	s_add_nc_u64 s[4:5], s[2:3], s[4:5]
	s_add_co_i32 s1, s9, -1
	s_add_co_i32 s6, s6, -4
.LBB50_3:                               ; =>This Inner Loop Header: Depth=1
	v_ashrrev_i32_e32 v4, 31, v3
	s_ashr_i32 s7, s6, 31
	v_mov_b32_e32 v10, v6
	s_lshl_b64 s[10:11], s[6:7], 3
	s_wait_loadcnt 0x0
	v_mov_b32_e32 v9, v5
	v_lshlrev_b64_e32 v[7:8], 2, v[3:4]
	s_wait_alu 0xfffe
	s_add_nc_u64 s[10:11], s[2:3], s[10:11]
	v_max_num_f32_e64 v4, s0, s0
	s_load_b64 s[10:11], s[10:11], 0x0
	v_add_nc_u32_e32 v3, 0xffffff80, v3
	v_add_co_u32 v7, vcc_lo, s4, v7
	s_wait_alu 0xfffd
	v_add_co_ci_u32_e64 v8, null, s5, v8, vcc_lo
	v_readfirstlane_b32 s7, v4
	global_load_b32 v0, v[7:8], off
	s_wait_kmcnt 0x0
	v_max_num_f32_e64 v4, s10, s10
	s_delay_alu instid0(VALU_DEP_1) | instskip(SKIP_1) | instid1(SALU_CYCLE_3)
	v_readfirstlane_b32 s9, v4
	s_max_num_f32 s7, s7, s9
	s_sub_f32 s0, s0, s7
	s_sub_f32 s9, s10, s7
	s_wait_alu 0xfffe
	s_delay_alu instid0(SALU_CYCLE_1) | instskip(NEXT) | instid1(SALU_CYCLE_1)
	s_mul_f32 s10, s0, 0x3fb8aa3b
	s_mul_f32 s12, s9, 0x3fb8aa3b
	s_wait_alu 0xfffe
	s_delay_alu instid0(SALU_CYCLE_1)
	s_xor_b32 s13, s10, 0x80000000
	s_rndne_f32 s14, s10
	s_fmamk_f32 s13, s0, 0x3fb8aa3b, s13
	s_cmp_nlt_f32 s0, 0xc2ce8ed0
	s_rndne_f32 s15, s12
	s_wait_alu 0xfffe
	s_sub_f32 s10, s10, s14
	s_fmamk_f32 s13, s0, 0x32a5705f, s13
	s_cvt_i32_f32 s14, s14
	s_cselect_b32 vcc_lo, -1, 0
	s_cmp_ngt_f32 s0, 0x42b17218
	s_wait_alu 0xfffe
	s_add_f32 s10, s10, s13
	s_sub_f32 s13, s12, s15
	s_wait_alu 0xfffe
	s_delay_alu instid0(SALU_CYCLE_1) | instskip(SKIP_1) | instid1(TRANS32_DEP_1)
	v_s_exp_f32 s10, s10
	s_wait_alu 0xf1ff
	v_ldexp_f32 v4, s10, s14
	s_cvt_i32_f32 s10, s15
	s_delay_alu instid0(VALU_DEP_1) | instskip(SKIP_3) | instid1(VALU_DEP_1)
	v_cndmask_b32_e32 v4, 0, v4, vcc_lo
	s_cselect_b32 vcc_lo, -1, 0
	s_cmp_ge_f32 s0, 0xc1a00000
	s_wait_alu 0xfffe
	v_cndmask_b32_e32 v4, 0x7f800000, v4, vcc_lo
	s_cselect_b32 vcc_lo, -1, 0
	s_xor_b32 s0, s12, 0x80000000
	s_cmp_nlt_f32 s9, 0xc2ce8ed0
	s_wait_alu 0xfffe
	s_fmamk_f32 s0, s9, 0x3fb8aa3b, s0
	s_wait_alu 0xfffe
	s_delay_alu instid0(SALU_CYCLE_2) | instskip(SKIP_1) | instid1(SALU_CYCLE_2)
	s_fmamk_f32 s0, s9, 0x32a5705f, s0
	s_wait_alu 0xfffe
	s_add_f32 s0, s13, s0
	s_wait_alu 0xfffe
	s_delay_alu instid0(SALU_CYCLE_2) | instskip(SKIP_1) | instid1(TRANS32_DEP_1)
	v_s_exp_f32 s0, s0
	s_wait_alu 0xf1ff
	v_ldexp_f32 v7, s0, s10
	s_cselect_b32 s0, -1, 0
	s_cmp_ngt_f32 s9, 0x42b17218
	s_wait_alu 0xfffe
	s_delay_alu instid0(VALU_DEP_1) | instskip(SKIP_3) | instid1(VALU_DEP_1)
	v_cndmask_b32_e64 v7, 0, v7, s0
	s_cselect_b32 s0, -1, 0
	s_cmp_ge_f32 s9, 0xc1a00000
	s_wait_alu 0xfffe
	v_cndmask_b32_e64 v7, 0x7f800000, v7, s0
	s_cselect_b32 s0, -1, 0
	s_add_co_i32 s1, s1, -1
	s_add_co_i32 s6, s6, -2
	s_wait_alu 0xfffe
	s_cmp_le_i32 s1, s8
	v_cndmask_b32_e64 v7, 0, v7, s0
	s_mov_b32 s0, s7
	s_wait_loadcnt 0x0
	s_delay_alu instid0(VALU_DEP_1) | instskip(NEXT) | instid1(VALU_DEP_1)
	v_dual_mul_f32 v5, v0, v7 :: v_dual_cndmask_b32 v4, 0, v4
	v_dual_mul_f32 v8, s11, v7 :: v_dual_fmac_f32 v5, v9, v4
	s_delay_alu instid0(VALU_DEP_1) | instskip(NEXT) | instid1(VALU_DEP_1)
	v_mov_b32_e32 v6, v8
	v_fmac_f32_e32 v6, v10, v4
	s_cbranch_scc0 .LBB50_3
	s_branch .LBB50_5
.LBB50_4:
	s_wait_kmcnt 0x0
	v_mov_b32_e32 v6, s11
.LBB50_5:
	s_wait_loadcnt 0x0
	s_delay_alu instid0(VALU_DEP_1) | instskip(NEXT) | instid1(VALU_DEP_1)
	v_div_scale_f32 v0, null, v6, v6, v5
	v_rcp_f32_e32 v3, v0
	s_delay_alu instid0(TRANS32_DEP_1) | instskip(NEXT) | instid1(VALU_DEP_1)
	v_fma_f32 v4, -v0, v3, 1.0
	v_fmac_f32_e32 v3, v4, v3
	v_div_scale_f32 v4, vcc_lo, v5, v6, v5
	s_delay_alu instid0(VALU_DEP_1) | instskip(NEXT) | instid1(VALU_DEP_1)
	v_mul_f32_e32 v7, v4, v3
	v_fma_f32 v8, -v0, v7, v4
	s_delay_alu instid0(VALU_DEP_1) | instskip(NEXT) | instid1(VALU_DEP_1)
	v_fmac_f32_e32 v7, v8, v3
	v_fma_f32 v0, -v0, v7, v4
	s_wait_alu 0xfffd
	s_delay_alu instid0(VALU_DEP_1) | instskip(NEXT) | instid1(VALU_DEP_1)
	v_div_fmas_f32 v0, v0, v3, v7
	v_div_fixup_f32 v0, v0, v6, v5
	global_store_b32 v[1:2], v0, off
.LBB50_6:
	s_endpgm
	.section	.rodata,"a",@progbits
	.p2align	6, 0x0
	.amdhsa_kernel _ZL33flash_attn_stream_k_fixup_uniformILi64ELi1ELi2EEvPfPK15HIP_vector_typeIfLj2EEiiiiiiS1_IjLj3EES5_S5_
		.amdhsa_group_segment_fixed_size 0
		.amdhsa_private_segment_fixed_size 0
		.amdhsa_kernarg_size 76
		.amdhsa_user_sgpr_count 2
		.amdhsa_user_sgpr_dispatch_ptr 0
		.amdhsa_user_sgpr_queue_ptr 0
		.amdhsa_user_sgpr_kernarg_segment_ptr 1
		.amdhsa_user_sgpr_dispatch_id 0
		.amdhsa_user_sgpr_private_segment_size 0
		.amdhsa_wavefront_size32 1
		.amdhsa_uses_dynamic_stack 0
		.amdhsa_enable_private_segment 0
		.amdhsa_system_sgpr_workgroup_id_x 1
		.amdhsa_system_sgpr_workgroup_id_y 1
		.amdhsa_system_sgpr_workgroup_id_z 1
		.amdhsa_system_sgpr_workgroup_info 0
		.amdhsa_system_vgpr_workitem_id 0
		.amdhsa_next_free_vgpr 11
		.amdhsa_next_free_sgpr 20
		.amdhsa_reserve_vcc 1
		.amdhsa_float_round_mode_32 0
		.amdhsa_float_round_mode_16_64 0
		.amdhsa_float_denorm_mode_32 3
		.amdhsa_float_denorm_mode_16_64 3
		.amdhsa_fp16_overflow 0
		.amdhsa_workgroup_processor_mode 1
		.amdhsa_memory_ordered 1
		.amdhsa_forward_progress 1
		.amdhsa_inst_pref_size 9
		.amdhsa_round_robin_scheduling 0
		.amdhsa_exception_fp_ieee_invalid_op 0
		.amdhsa_exception_fp_denorm_src 0
		.amdhsa_exception_fp_ieee_div_zero 0
		.amdhsa_exception_fp_ieee_overflow 0
		.amdhsa_exception_fp_ieee_underflow 0
		.amdhsa_exception_fp_ieee_inexact 0
		.amdhsa_exception_int_div_zero 0
	.end_amdhsa_kernel
	.section	.text._ZL33flash_attn_stream_k_fixup_uniformILi64ELi1ELi2EEvPfPK15HIP_vector_typeIfLj2EEiiiiiiS1_IjLj3EES5_S5_,"axG",@progbits,_ZL33flash_attn_stream_k_fixup_uniformILi64ELi1ELi2EEvPfPK15HIP_vector_typeIfLj2EEiiiiiiS1_IjLj3EES5_S5_,comdat
.Lfunc_end50:
	.size	_ZL33flash_attn_stream_k_fixup_uniformILi64ELi1ELi2EEvPfPK15HIP_vector_typeIfLj2EEiiiiiiS1_IjLj3EES5_S5_, .Lfunc_end50-_ZL33flash_attn_stream_k_fixup_uniformILi64ELi1ELi2EEvPfPK15HIP_vector_typeIfLj2EEiiiiiiS1_IjLj3EES5_S5_
                                        ; -- End function
	.set _ZL33flash_attn_stream_k_fixup_uniformILi64ELi1ELi2EEvPfPK15HIP_vector_typeIfLj2EEiiiiiiS1_IjLj3EES5_S5_.num_vgpr, 11
	.set _ZL33flash_attn_stream_k_fixup_uniformILi64ELi1ELi2EEvPfPK15HIP_vector_typeIfLj2EEiiiiiiS1_IjLj3EES5_S5_.num_agpr, 0
	.set _ZL33flash_attn_stream_k_fixup_uniformILi64ELi1ELi2EEvPfPK15HIP_vector_typeIfLj2EEiiiiiiS1_IjLj3EES5_S5_.numbered_sgpr, 20
	.set _ZL33flash_attn_stream_k_fixup_uniformILi64ELi1ELi2EEvPfPK15HIP_vector_typeIfLj2EEiiiiiiS1_IjLj3EES5_S5_.num_named_barrier, 0
	.set _ZL33flash_attn_stream_k_fixup_uniformILi64ELi1ELi2EEvPfPK15HIP_vector_typeIfLj2EEiiiiiiS1_IjLj3EES5_S5_.private_seg_size, 0
	.set _ZL33flash_attn_stream_k_fixup_uniformILi64ELi1ELi2EEvPfPK15HIP_vector_typeIfLj2EEiiiiiiS1_IjLj3EES5_S5_.uses_vcc, 1
	.set _ZL33flash_attn_stream_k_fixup_uniformILi64ELi1ELi2EEvPfPK15HIP_vector_typeIfLj2EEiiiiiiS1_IjLj3EES5_S5_.uses_flat_scratch, 0
	.set _ZL33flash_attn_stream_k_fixup_uniformILi64ELi1ELi2EEvPfPK15HIP_vector_typeIfLj2EEiiiiiiS1_IjLj3EES5_S5_.has_dyn_sized_stack, 0
	.set _ZL33flash_attn_stream_k_fixup_uniformILi64ELi1ELi2EEvPfPK15HIP_vector_typeIfLj2EEiiiiiiS1_IjLj3EES5_S5_.has_recursion, 0
	.set _ZL33flash_attn_stream_k_fixup_uniformILi64ELi1ELi2EEvPfPK15HIP_vector_typeIfLj2EEiiiiiiS1_IjLj3EES5_S5_.has_indirect_call, 0
	.section	.AMDGPU.csdata,"",@progbits
; Kernel info:
; codeLenInByte = 1120
; TotalNumSgprs: 22
; NumVgprs: 11
; ScratchSize: 0
; MemoryBound: 0
; FloatMode: 240
; IeeeMode: 1
; LDSByteSize: 0 bytes/workgroup (compile time only)
; SGPRBlocks: 0
; VGPRBlocks: 1
; NumSGPRsForWavesPerEU: 22
; NumVGPRsForWavesPerEU: 11
; Occupancy: 16
; WaveLimiterHint : 0
; COMPUTE_PGM_RSRC2:SCRATCH_EN: 0
; COMPUTE_PGM_RSRC2:USER_SGPR: 2
; COMPUTE_PGM_RSRC2:TRAP_HANDLER: 0
; COMPUTE_PGM_RSRC2:TGID_X_EN: 1
; COMPUTE_PGM_RSRC2:TGID_Y_EN: 1
; COMPUTE_PGM_RSRC2:TGID_Z_EN: 1
; COMPUTE_PGM_RSRC2:TIDIG_COMP_CNT: 0
	.section	.text._ZL33flash_attn_stream_k_fixup_generalILi64ELi1ELi2EEvPfPK15HIP_vector_typeIfLj2EEiiiiS1_IjLj3EES5_S5_S5_,"axG",@progbits,_ZL33flash_attn_stream_k_fixup_generalILi64ELi1ELi2EEvPfPK15HIP_vector_typeIfLj2EEiiiiS1_IjLj3EES5_S5_S5_,comdat
	.globl	_ZL33flash_attn_stream_k_fixup_generalILi64ELi1ELi2EEvPfPK15HIP_vector_typeIfLj2EEiiiiS1_IjLj3EES5_S5_S5_ ; -- Begin function _ZL33flash_attn_stream_k_fixup_generalILi64ELi1ELi2EEvPfPK15HIP_vector_typeIfLj2EEiiiiS1_IjLj3EES5_S5_S5_
	.p2align	8
	.type	_ZL33flash_attn_stream_k_fixup_generalILi64ELi1ELi2EEvPfPK15HIP_vector_typeIfLj2EEiiiiS1_IjLj3EES5_S5_S5_,@function
_ZL33flash_attn_stream_k_fixup_generalILi64ELi1ELi2EEvPfPK15HIP_vector_typeIfLj2EEiiiiS1_IjLj3EES5_S5_S5_: ; @_ZL33flash_attn_stream_k_fixup_generalILi64ELi1ELi2EEvPfPK15HIP_vector_typeIfLj2EEiiiiS1_IjLj3EES5_S5_S5_
; %bb.0:
	s_clause 0x1
	s_load_b128 s[4:7], s[0:1], 0x10
	s_load_b32 s16, s[0:1], 0x50
	s_mov_b32 s2, ttmp9
	s_ashr_i32 s3, ttmp9, 31
	s_mov_b32 s17, 0
	s_delay_alu instid0(SALU_CYCLE_1) | instskip(SKIP_3) | instid1(SALU_CYCLE_1)
	s_mov_b32 s8, s17
	s_wait_kmcnt 0x0
	s_ashr_i32 s19, s7, 31
	s_mov_b32 s18, s7
	s_mul_u64 s[2:3], s[18:19], s[2:3]
	s_delay_alu instid0(SALU_CYCLE_1) | instskip(NEXT) | instid1(SALU_CYCLE_1)
	s_mov_b32 s9, s3
	s_cmp_lg_u64 s[8:9], 0
	s_cbranch_scc0 .LBB51_21
; %bb.1:
	s_add_nc_u64 s[8:9], s[16:17], 0
	s_mov_b32 s15, s17
	s_xor_b64 s[8:9], s[8:9], 0
	s_mov_b32 s23, s17
	s_cvt_f32_u32 s7, s8
	s_cvt_f32_u32 s10, s9
	s_sub_nc_u64 s[12:13], 0, s[8:9]
	s_delay_alu instid0(SALU_CYCLE_2) | instskip(NEXT) | instid1(SALU_CYCLE_3)
	s_fmamk_f32 s7, s10, 0x4f800000, s7
	v_s_rcp_f32 s7, s7
	s_delay_alu instid0(TRANS32_DEP_1) | instskip(SKIP_1) | instid1(SALU_CYCLE_2)
	s_mul_f32 s7, s7, 0x5f7ffffc
	s_wait_alu 0xfffe
	s_mul_f32 s10, s7, 0x2f800000
	s_delay_alu instid0(SALU_CYCLE_3) | instskip(NEXT) | instid1(SALU_CYCLE_3)
	s_trunc_f32 s10, s10
	s_fmamk_f32 s7, s10, 0xcf800000, s7
	s_cvt_u32_f32 s11, s10
	s_wait_alu 0xfffe
	s_delay_alu instid0(SALU_CYCLE_1) | instskip(NEXT) | instid1(SALU_CYCLE_3)
	s_cvt_u32_f32 s10, s7
	s_mul_u64 s[20:21], s[12:13], s[10:11]
	s_delay_alu instid0(SALU_CYCLE_1)
	s_mul_hi_u32 s25, s10, s21
	s_mul_i32 s24, s10, s21
	s_mul_hi_u32 s14, s10, s20
	s_mul_i32 s22, s11, s20
	s_add_nc_u64 s[14:15], s[14:15], s[24:25]
	s_mul_hi_u32 s7, s11, s20
	s_mul_hi_u32 s26, s11, s21
	s_add_co_u32 s14, s14, s22
	s_wait_alu 0xfffe
	s_add_co_ci_u32 s22, s15, s7
	s_mul_i32 s20, s11, s21
	s_add_co_ci_u32 s21, s26, 0
	s_delay_alu instid0(SALU_CYCLE_1)
	s_add_nc_u64 s[14:15], s[22:23], s[20:21]
	s_mov_b32 s21, s17
	s_add_co_u32 s10, s10, s14
	s_cselect_b32 s7, -1, 0
	s_wait_alu 0xfffe
	s_cmp_lg_u32 s7, 0
	s_add_co_ci_u32 s11, s11, s15
	s_mov_b32 s15, s17
	s_mul_u64 s[12:13], s[12:13], s[10:11]
	s_delay_alu instid0(SALU_CYCLE_1)
	s_mul_hi_u32 s23, s10, s13
	s_mul_i32 s22, s10, s13
	s_mul_hi_u32 s14, s10, s12
	s_mul_i32 s20, s11, s12
	s_add_nc_u64 s[14:15], s[14:15], s[22:23]
	s_mul_hi_u32 s7, s11, s12
	s_mul_hi_u32 s24, s11, s13
	s_mul_i32 s12, s11, s13
	s_add_co_u32 s13, s14, s20
	s_wait_alu 0xfffe
	s_add_co_ci_u32 s20, s15, s7
	s_add_co_ci_u32 s13, s24, 0
	s_mov_b32 s15, s17
	s_add_nc_u64 s[12:13], s[20:21], s[12:13]
	s_delay_alu instid0(SALU_CYCLE_1) | instskip(SKIP_1) | instid1(SALU_CYCLE_1)
	s_add_co_u32 s7, s10, s12
	s_cselect_b32 s10, -1, 0
	s_cmp_lg_u32 s10, 0
	s_add_co_ci_u32 s20, s11, s13
	s_ashr_i32 s10, s3, 31
	s_delay_alu instid0(SALU_CYCLE_1) | instskip(NEXT) | instid1(SALU_CYCLE_1)
	s_mov_b32 s11, s10
	s_add_nc_u64 s[12:13], s[2:3], s[10:11]
	s_delay_alu instid0(SALU_CYCLE_1) | instskip(NEXT) | instid1(SALU_CYCLE_1)
	s_xor_b64 s[12:13], s[12:13], s[10:11]
	s_mul_hi_u32 s23, s12, s20
	s_mul_i32 s22, s12, s20
	s_wait_alu 0xfffe
	s_mul_hi_u32 s14, s12, s7
	s_mul_hi_u32 s24, s13, s7
	s_mul_i32 s7, s13, s7
	s_add_nc_u64 s[14:15], s[14:15], s[22:23]
	s_mul_hi_u32 s3, s13, s20
	s_wait_alu 0xfffe
	s_add_co_u32 s7, s14, s7
	s_mul_i32 s22, s13, s20
	s_add_co_ci_u32 s20, s15, s24
	s_add_co_ci_u32 s23, s3, 0
	s_delay_alu instid0(SALU_CYCLE_1) | instskip(NEXT) | instid1(SALU_CYCLE_1)
	s_add_nc_u64 s[14:15], s[20:21], s[22:23]
	s_mul_u64 s[20:21], s[8:9], s[14:15]
	s_delay_alu instid0(SALU_CYCLE_1)
	s_sub_co_u32 s3, s12, s20
	s_cselect_b32 s7, -1, 0
	s_sub_co_i32 s12, s13, s21
	s_wait_alu 0xfffe
	s_cmp_lg_u32 s7, 0
	s_sub_co_ci_u32 s12, s12, s9
	s_sub_co_u32 s20, s3, s8
	s_cselect_b32 s22, -1, 0
	s_delay_alu instid0(SALU_CYCLE_1) | instskip(SKIP_2) | instid1(SALU_CYCLE_1)
	s_cmp_lg_u32 s22, 0
	s_add_nc_u64 s[22:23], s[14:15], 1
	s_sub_co_ci_u32 s12, s12, 0
	s_cmp_ge_u32 s12, s9
	s_cselect_b32 s24, -1, 0
	s_cmp_ge_u32 s20, s8
	s_cselect_b32 s20, -1, 0
	s_cmp_eq_u32 s12, s9
	s_cselect_b32 s12, s20, s24
	s_add_nc_u64 s[24:25], s[14:15], 2
	s_cmp_lg_u32 s12, 0
	s_cselect_b32 s12, s24, s22
	s_cselect_b32 s20, s25, s23
	s_cmp_lg_u32 s7, 0
	s_sub_co_ci_u32 s7, s13, s21
	s_wait_alu 0xfffe
	s_cmp_ge_u32 s7, s9
	s_cselect_b32 s13, -1, 0
	s_cmp_ge_u32 s3, s8
	s_cselect_b32 s3, -1, 0
	s_cmp_eq_u32 s7, s9
	s_cselect_b32 s3, s3, s13
	s_delay_alu instid0(SALU_CYCLE_1) | instskip(SKIP_4) | instid1(SALU_CYCLE_1)
	s_cmp_lg_u32 s3, 0
	s_mov_b32 s3, s17
	s_cselect_b32 s9, s20, s15
	s_cselect_b32 s8, s12, s14
	s_xor_b64 s[10:11], s[10:11], 0
	s_xor_b64 s[8:9], s[8:9], s[10:11]
	s_delay_alu instid0(SALU_CYCLE_1)
	s_sub_nc_u64 s[20:21], s[8:9], s[10:11]
	s_and_not1_b32 vcc_lo, exec_lo, s3
	s_cbranch_vccnz .LBB51_3
.LBB51_2:
	v_cvt_f32_u32_e32 v1, s16
	s_sub_co_i32 s7, 0, s16
	s_delay_alu instid0(VALU_DEP_1) | instskip(NEXT) | instid1(TRANS32_DEP_1)
	v_rcp_iflag_f32_e32 v1, v1
	v_mul_f32_e32 v1, 0x4f7ffffe, v1
	s_delay_alu instid0(VALU_DEP_1) | instskip(NEXT) | instid1(VALU_DEP_1)
	v_cvt_u32_f32_e32 v1, v1
	v_readfirstlane_b32 s3, v1
	s_wait_alu 0xfffe
	s_mul_i32 s7, s7, s3
	s_wait_alu 0xfffe
	s_mul_hi_u32 s7, s3, s7
	s_wait_alu 0xfffe
	s_add_co_i32 s3, s3, s7
	s_delay_alu instid0(SALU_CYCLE_1) | instskip(NEXT) | instid1(SALU_CYCLE_1)
	s_mul_hi_u32 s3, s2, s3
	s_mul_i32 s7, s3, s16
	s_wait_alu 0xfffe
	s_sub_co_i32 s2, s2, s7
	s_add_co_i32 s7, s3, 1
	s_sub_co_i32 s8, s2, s16
	s_cmp_ge_u32 s2, s16
	s_wait_alu 0xfffe
	s_cselect_b32 s3, s7, s3
	s_cselect_b32 s2, s8, s2
	s_add_co_i32 s7, s3, 1
	s_cmp_ge_u32 s2, s16
	s_wait_alu 0xfffe
	s_cselect_b32 s20, s7, s3
.LBB51_3:
	s_add_co_i32 s2, ttmp9, 1
	s_mov_b32 s8, 0
	s_ashr_i32 s3, s2, 31
	s_delay_alu instid0(SALU_CYCLE_1) | instskip(NEXT) | instid1(SALU_CYCLE_1)
	s_mul_u64 s[2:3], s[18:19], s[2:3]
	s_mov_b32 s9, s3
	s_delay_alu instid0(SALU_CYCLE_1)
	s_cmp_lg_u64 s[8:9], 0
	s_cbranch_scc0 .LBB51_22
; %bb.4:
	s_add_nc_u64 s[10:11], s[16:17], 0
	s_mov_b32 s23, s8
	s_xor_b64 s[10:11], s[10:11], 0
	s_mov_b32 s27, s8
	s_cvt_f32_u32 s7, s10
	s_cvt_f32_u32 s9, s11
	s_sub_nc_u64 s[14:15], 0, s[10:11]
	s_wait_alu 0xfffe
	s_delay_alu instid0(SALU_CYCLE_1) | instskip(SKIP_1) | instid1(SALU_CYCLE_2)
	s_fmamk_f32 s7, s9, 0x4f800000, s7
	s_wait_alu 0xfffe
	v_s_rcp_f32 s7, s7
	s_delay_alu instid0(TRANS32_DEP_1) | instskip(SKIP_1) | instid1(SALU_CYCLE_2)
	s_mul_f32 s7, s7, 0x5f7ffffc
	s_wait_alu 0xfffe
	s_mul_f32 s9, s7, 0x2f800000
	s_delay_alu instid0(SALU_CYCLE_3) | instskip(NEXT) | instid1(SALU_CYCLE_3)
	s_trunc_f32 s9, s9
	s_fmamk_f32 s7, s9, 0xcf800000, s7
	s_cvt_u32_f32 s13, s9
	s_wait_alu 0xfffe
	s_delay_alu instid0(SALU_CYCLE_1) | instskip(NEXT) | instid1(SALU_CYCLE_3)
	s_cvt_u32_f32 s12, s7
	s_mul_u64 s[24:25], s[14:15], s[12:13]
	s_delay_alu instid0(SALU_CYCLE_1)
	s_mul_hi_u32 s29, s12, s25
	s_mul_i32 s28, s12, s25
	s_mul_hi_u32 s22, s12, s24
	s_mul_i32 s9, s13, s24
	s_add_nc_u64 s[22:23], s[22:23], s[28:29]
	s_mul_hi_u32 s7, s13, s24
	s_mul_hi_u32 s21, s13, s25
	s_add_co_u32 s9, s22, s9
	s_wait_alu 0xfffe
	s_add_co_ci_u32 s26, s23, s7
	s_mul_i32 s24, s13, s25
	s_add_co_ci_u32 s25, s21, 0
	s_delay_alu instid0(SALU_CYCLE_1)
	s_add_nc_u64 s[22:23], s[26:27], s[24:25]
	s_mov_b32 s25, s8
	s_add_co_u32 s12, s12, s22
	s_cselect_b32 s7, -1, 0
	s_wait_alu 0xfffe
	s_cmp_lg_u32 s7, 0
	s_add_co_ci_u32 s13, s13, s23
	s_mov_b32 s23, s8
	s_mul_u64 s[14:15], s[14:15], s[12:13]
	s_delay_alu instid0(SALU_CYCLE_1)
	s_mul_hi_u32 s27, s12, s15
	s_mul_i32 s26, s12, s15
	s_mul_hi_u32 s22, s12, s14
	s_mul_i32 s9, s13, s14
	s_add_nc_u64 s[22:23], s[22:23], s[26:27]
	s_mul_hi_u32 s7, s13, s14
	s_mul_hi_u32 s21, s13, s15
	s_add_co_u32 s9, s22, s9
	s_wait_alu 0xfffe
	s_add_co_ci_u32 s24, s23, s7
	s_mul_i32 s14, s13, s15
	s_add_co_ci_u32 s15, s21, 0
	s_mov_b32 s23, s8
	s_add_nc_u64 s[14:15], s[24:25], s[14:15]
	s_delay_alu instid0(SALU_CYCLE_1) | instskip(SKIP_1) | instid1(SALU_CYCLE_1)
	s_add_co_u32 s7, s12, s14
	s_cselect_b32 s9, -1, 0
	s_cmp_lg_u32 s9, 0
	s_add_co_ci_u32 s9, s13, s15
	s_ashr_i32 s12, s3, 31
	s_delay_alu instid0(SALU_CYCLE_1) | instskip(NEXT) | instid1(SALU_CYCLE_1)
	s_mov_b32 s13, s12
	s_add_nc_u64 s[14:15], s[2:3], s[12:13]
	s_delay_alu instid0(SALU_CYCLE_1) | instskip(NEXT) | instid1(SALU_CYCLE_1)
	s_xor_b64 s[14:15], s[14:15], s[12:13]
	s_mul_hi_u32 s27, s14, s9
	s_mul_i32 s26, s14, s9
	s_wait_alu 0xfffe
	s_mul_hi_u32 s22, s14, s7
	s_mul_hi_u32 s21, s15, s7
	s_mul_i32 s7, s15, s7
	s_add_nc_u64 s[22:23], s[22:23], s[26:27]
	s_mul_hi_u32 s3, s15, s9
	s_wait_alu 0xfffe
	s_add_co_u32 s7, s22, s7
	s_add_co_ci_u32 s24, s23, s21
	s_mul_i32 s26, s15, s9
	s_add_co_ci_u32 s27, s3, 0
	s_delay_alu instid0(SALU_CYCLE_1) | instskip(NEXT) | instid1(SALU_CYCLE_1)
	s_add_nc_u64 s[22:23], s[24:25], s[26:27]
	s_mul_u64 s[24:25], s[10:11], s[22:23]
	s_add_nc_u64 s[26:27], s[22:23], 1
	s_sub_co_u32 s3, s14, s24
	s_cselect_b32 s7, -1, 0
	s_sub_co_i32 s9, s15, s25
	s_wait_alu 0xfffe
	s_cmp_lg_u32 s7, 0
	s_add_nc_u64 s[28:29], s[22:23], 2
	s_sub_co_ci_u32 s9, s9, s11
	s_sub_co_u32 s14, s3, s10
	s_cselect_b32 s21, -1, 0
	s_delay_alu instid0(SALU_CYCLE_1) | instskip(SKIP_1) | instid1(SALU_CYCLE_1)
	s_cmp_lg_u32 s21, 0
	s_sub_co_ci_u32 s9, s9, 0
	s_cmp_ge_u32 s9, s11
	s_cselect_b32 s21, -1, 0
	s_cmp_ge_u32 s14, s10
	s_cselect_b32 s14, -1, 0
	s_cmp_eq_u32 s9, s11
	s_cselect_b32 s9, s14, s21
	s_delay_alu instid0(SALU_CYCLE_1)
	s_cmp_lg_u32 s9, 0
	s_cselect_b32 s9, s28, s26
	s_cselect_b32 s14, s29, s27
	s_cmp_lg_u32 s7, 0
	s_sub_co_ci_u32 s7, s15, s25
	s_wait_alu 0xfffe
	s_cmp_ge_u32 s7, s11
	s_cselect_b32 s15, -1, 0
	s_cmp_ge_u32 s3, s10
	s_cselect_b32 s3, -1, 0
	s_cmp_eq_u32 s7, s11
	s_cselect_b32 s3, s3, s15
	s_delay_alu instid0(SALU_CYCLE_1) | instskip(SKIP_3) | instid1(SALU_CYCLE_1)
	s_cmp_lg_u32 s3, 0
	s_cselect_b32 s11, s14, s23
	s_cselect_b32 s10, s9, s22
	s_xor_b64 s[12:13], s[12:13], 0
	s_xor_b64 s[10:11], s[10:11], s[12:13]
	s_delay_alu instid0(SALU_CYCLE_1)
	s_sub_nc_u64 s[10:11], s[10:11], s[12:13]
	s_load_b96 s[12:14], s[0:1], 0x44
	s_and_not1_b32 vcc_lo, exec_lo, s8
	s_cbranch_vccnz .LBB51_6
.LBB51_5:
	v_cvt_f32_u32_e32 v1, s16
	s_sub_co_i32 s7, 0, s16
	s_delay_alu instid0(VALU_DEP_1) | instskip(NEXT) | instid1(TRANS32_DEP_1)
	v_rcp_iflag_f32_e32 v1, v1
	v_mul_f32_e32 v1, 0x4f7ffffe, v1
	s_delay_alu instid0(VALU_DEP_1) | instskip(NEXT) | instid1(VALU_DEP_1)
	v_cvt_u32_f32_e32 v1, v1
	v_readfirstlane_b32 s3, v1
	s_wait_alu 0xfffe
	s_mul_i32 s7, s7, s3
	s_wait_alu 0xfffe
	s_mul_hi_u32 s7, s3, s7
	s_wait_alu 0xfffe
	s_add_co_i32 s3, s3, s7
	s_delay_alu instid0(SALU_CYCLE_1) | instskip(NEXT) | instid1(SALU_CYCLE_1)
	s_mul_hi_u32 s3, s2, s3
	s_mul_i32 s7, s3, s16
	s_wait_alu 0xfffe
	s_sub_co_i32 s2, s2, s7
	s_add_co_i32 s7, s3, 1
	s_sub_co_i32 s8, s2, s16
	s_cmp_ge_u32 s2, s16
	s_wait_alu 0xfffe
	s_cselect_b32 s3, s7, s3
	s_cselect_b32 s2, s8, s2
	s_add_co_i32 s7, s3, 1
	s_cmp_ge_u32 s2, s16
	s_wait_alu 0xfffe
	s_cselect_b32 s10, s7, s3
.LBB51_6:
	s_mov_b32 s21, 0
	s_wait_kmcnt 0x0
	s_mov_b32 s22, s12
	s_mov_b32 s23, s21
	s_cmp_eq_u32 s20, s10
	s_mul_u64 s[2:3], s[20:21], s[22:23]
	s_cselect_b32 s7, -1, 0
	s_add_co_i32 s2, s3, s20
	s_mov_b32 s11, s21
	s_lshr_b32 s12, s2, s13
	s_mul_u64 s[2:3], s[10:11], s[22:23]
	s_mul_i32 s2, s12, s14
	s_delay_alu instid0(SALU_CYCLE_1) | instskip(SKIP_2) | instid1(SALU_CYCLE_1)
	s_cmp_eq_u32 s2, s20
	s_cselect_b32 s2, -1, 0
	s_add_co_i32 s3, s3, s10
	s_lshr_b32 s3, s3, s13
	s_delay_alu instid0(SALU_CYCLE_1)
	s_cmp_eq_u32 s12, s3
	s_mul_i32 s3, s3, s14
	s_cselect_b32 s8, -1, 0
	s_cmp_lg_u32 s3, s10
	s_cselect_b32 s3, -1, 0
	s_wait_alu 0xfffe
	s_or_b32 s2, s7, s2
	s_and_b32 s3, s8, s3
	s_delay_alu instid0(SALU_CYCLE_1) | instskip(NEXT) | instid1(SALU_CYCLE_1)
	s_or_b32 s2, s2, s3
	s_and_b32 vcc_lo, exec_lo, s2
	s_cbranch_vccnz .LBB51_24
; %bb.7:
	s_load_b256 s[24:31], s[0:1], 0x20
	s_mov_b32 s3, s21
	s_load_b32 s7, s[0:1], 0x40
	s_and_b32 s15, ttmp7, 0xffff
	s_wait_kmcnt 0x0
	s_mov_b32 s2, s24
	s_delay_alu instid0(SALU_CYCLE_1) | instskip(NEXT) | instid1(SALU_CYCLE_1)
	s_mul_u64 s[2:3], s[20:21], s[2:3]
	s_add_co_i32 s2, s3, s20
	s_delay_alu instid0(SALU_CYCLE_1) | instskip(NEXT) | instid1(SALU_CYCLE_1)
	s_lshr_b32 s2, s2, s25
	s_mul_i32 s3, s2, s26
	s_delay_alu instid0(SALU_CYCLE_1) | instskip(NEXT) | instid1(SALU_CYCLE_1)
	s_sub_co_i32 s8, s20, s3
	s_mul_hi_u32 s3, s8, s27
	s_delay_alu instid0(SALU_CYCLE_1) | instskip(NEXT) | instid1(SALU_CYCLE_1)
	s_add_co_i32 s3, s8, s3
	s_lshr_b32 s3, s3, s28
	s_delay_alu instid0(SALU_CYCLE_1) | instskip(NEXT) | instid1(SALU_CYCLE_1)
	s_mul_i32 s9, s3, s29
	s_sub_co_i32 s8, s8, s9
	s_delay_alu instid0(SALU_CYCLE_1) | instskip(NEXT) | instid1(SALU_CYCLE_1)
	s_mul_hi_u32 s9, s8, s30
	s_add_co_i32 s9, s8, s9
	s_delay_alu instid0(SALU_CYCLE_1)
	s_lshr_b32 s24, s9, s31
	s_mov_b32 s9, s21
	s_mul_i32 s7, s24, s7
	s_lshr_b32 s21, ttmp7, 16
	s_wait_alu 0xfffe
	s_sub_co_i32 s8, s8, s7
	s_lshl_b32 s24, s24, 1
	s_mul_u64 s[10:11], s[8:9], s[22:23]
	s_delay_alu instid0(SALU_CYCLE_1)
	s_add_co_i32 s7, s8, s11
	s_wait_alu 0xfffe
	s_lshr_b32 s7, s7, s13
	s_wait_alu 0xfffe
	s_add_co_i32 s7, s7, s15
	s_wait_alu 0xfffe
	s_cmp_lt_i32 s7, s4
	s_cselect_b32 s8, -1, 0
	s_add_co_i32 s24, s24, s21
	s_delay_alu instid0(SALU_CYCLE_1) | instskip(SKIP_1) | instid1(SALU_CYCLE_1)
	s_cmp_lt_i32 s24, s6
	s_cselect_b32 s9, -1, 0
	s_and_b32 s8, s8, s9
	s_delay_alu instid0(SALU_CYCLE_1)
	s_and_not1_b32 vcc_lo, exec_lo, s8
	s_cbranch_vccnz .LBB51_24
; %bb.8:
	s_mul_i32 s2, s2, s4
	s_load_b128 s[8:11], s[0:1], 0x0
	s_mul_i32 s3, s3, s6
	s_add_co_i32 s0, s7, s2
	s_add_co_i32 s1, s24, s3
	s_mul_i32 s0, s0, s5
	v_cvt_f32_u32_e32 v4, s16
	s_add_co_i32 s1, s1, s0
	s_add_co_i32 s34, ttmp9, -1
	v_lshl_or_b32 v1, s1, 6, v0
	s_add_nc_u64 s[0:1], s[16:17], 0
	v_rcp_iflag_f32_e32 v4, v4
	s_wait_alu 0xfffe
	s_xor_b64 s[6:7], s[0:1], 0
	s_add_co_i32 s0, s15, ttmp9
	v_ashrrev_i32_e32 v2, 31, v1
	s_wait_alu 0xfffe
	s_cvt_f32_u32 s1, s6
	s_cvt_f32_u32 s2, s7
	s_lshl_b32 s0, s0, 1
	v_lshl_or_b32 v0, s21, 6, v0
	v_lshlrev_b64_e32 v[1:2], 2, v[1:2]
	s_wait_alu 0xfffe
	s_add_co_i32 s0, s0, s21
	s_fmamk_f32 s2, s2, 0x4f800000, s1
	s_wait_alu 0xfffe
	s_ashr_i32 s1, s0, 31
	s_sub_nc_u64 s[30:31], 0, s[6:7]
	s_wait_alu 0xfffe
	s_lshl_b64 s[0:1], s[0:1], 3
	s_wait_kmcnt 0x0
	v_add_co_u32 v1, vcc_lo, s8, v1
	s_delay_alu instid0(VALU_DEP_1)
	v_add_co_ci_u32_e64 v2, null, s9, v2, vcc_lo
	v_s_rcp_f32 s2, s2
	s_wait_alu 0xfffe
	s_add_nc_u64 s[0:1], s[10:11], s[0:1]
	s_mov_b32 s8, 0
	global_load_b32 v3, v[1:2], off
	s_load_b64 s[26:27], s[0:1], 0x0
	v_mul_f32_e32 v4, 0x4f7ffffe, v4
	s_lshl_b32 s0, s16, 3
	s_mul_f32 s2, s2, 0x5f7ffffc
	s_wait_alu 0xfffe
	s_delay_alu instid0(SALU_CYCLE_2) | instskip(SKIP_1) | instid1(SALU_CYCLE_2)
	s_mul_f32 s1, s2, 0x2f800000
	s_wait_alu 0xfffe
	s_trunc_f32 s3, s1
	s_mov_b32 s1, s8
	s_wait_alu 0xfffe
	s_lshl_b64 s[0:1], s[0:1], 2
	s_fmamk_f32 s2, s3, 0xcf800000, s2
	s_cvt_u32_f32 s29, s3
	s_wait_alu 0xfffe
	s_add_nc_u64 s[24:25], s[10:11], s[0:1]
	s_cvt_u32_f32 s28, s2
	s_wait_kmcnt 0x0
	v_mov_b32_e32 v5, s27
	v_cvt_u32_f32_e32 v4, v4
.LBB51_9:                               ; =>This Inner Loop Header: Depth=1
	s_wait_alu 0xfffe
	s_ashr_i32 s35, s34, 31
	s_mov_b32 s2, -1
	s_wait_alu 0xfffe
	s_mul_u64 s[0:1], s[34:35], s[18:19]
                                        ; implicit-def: $sgpr38_sgpr39
	s_wait_alu 0xfffe
	s_mov_b32 s9, s1
	s_wait_alu 0xfffe
	s_cmp_lg_u64 s[8:9], 0
	s_cbranch_scc0 .LBB51_11
; %bb.10:                               ;   in Loop: Header=BB51_9 Depth=1
	s_mul_u64 s[2:3], s[30:31], s[28:29]
	s_mov_b32 s37, s8
	s_wait_alu 0xfffe
	s_mul_hi_u32 s5, s28, s3
	s_mul_i32 s4, s28, s3
	s_mul_hi_u32 s36, s28, s2
	s_mul_hi_u32 s9, s29, s2
	s_wait_alu 0xfffe
	s_add_nc_u64 s[4:5], s[36:37], s[4:5]
	s_mul_i32 s2, s29, s2
	s_mul_hi_u32 s17, s29, s3
	s_wait_alu 0xfffe
	s_add_co_u32 s2, s4, s2
	s_add_co_ci_u32 s2, s5, s9
	s_add_co_ci_u32 s5, s17, 0
	s_mul_i32 s4, s29, s3
	s_mov_b32 s3, s8
	s_mov_b32 s39, s8
	s_wait_alu 0xfffe
	s_add_nc_u64 s[2:3], s[2:3], s[4:5]
	s_wait_alu 0xfffe
	s_add_co_u32 s2, s28, s2
	s_cselect_b32 s4, -1, 0
	s_wait_alu 0xfffe
	s_cmp_lg_u32 s4, 0
	s_add_co_ci_u32 s3, s29, s3
	s_wait_alu 0xfffe
	s_mul_u64 s[4:5], s[30:31], s[2:3]
	s_wait_alu 0xfffe
	s_mul_hi_u32 s37, s2, s5
	s_mul_i32 s36, s2, s5
	s_mul_hi_u32 s38, s2, s4
	s_mul_hi_u32 s9, s3, s4
	s_mul_i32 s4, s3, s4
	s_wait_alu 0xfffe
	s_add_nc_u64 s[36:37], s[38:39], s[36:37]
	s_mul_hi_u32 s17, s3, s5
	s_wait_alu 0xfffe
	s_add_co_u32 s4, s36, s4
	s_add_co_ci_u32 s4, s37, s9
	s_add_co_ci_u32 s37, s17, 0
	s_mul_i32 s36, s3, s5
	s_mov_b32 s5, s8
	s_wait_alu 0xfffe
	s_add_nc_u64 s[4:5], s[4:5], s[36:37]
	s_mov_b32 s37, s8
	s_wait_alu 0xfffe
	s_add_co_u32 s9, s2, s4
	s_cselect_b32 s2, -1, 0
	s_wait_alu 0xfffe
	s_cmp_lg_u32 s2, 0
	s_add_co_ci_u32 s17, s3, s5
	s_ashr_i32 s2, s1, 31
	s_wait_alu 0xfffe
	s_mov_b32 s3, s2
	s_wait_alu 0xfffe
	s_add_nc_u64 s[4:5], s[0:1], s[2:3]
	s_wait_alu 0xfffe
	s_xor_b64 s[4:5], s[4:5], s[2:3]
	s_wait_alu 0xfffe
	s_mul_hi_u32 s39, s4, s17
	s_mul_i32 s38, s4, s17
	s_mul_hi_u32 s36, s4, s9
	s_mul_i32 s27, s5, s9
	s_wait_alu 0xfffe
	s_add_nc_u64 s[36:37], s[36:37], s[38:39]
	s_mul_hi_u32 s9, s5, s9
	s_mul_hi_u32 s1, s5, s17
	s_wait_alu 0xfffe
	s_add_co_u32 s27, s36, s27
	s_add_co_ci_u32 s36, s37, s9
	s_add_co_ci_u32 s39, s1, 0
	s_mul_i32 s38, s5, s17
	s_mov_b32 s37, s8
	s_wait_alu 0xfffe
	s_add_nc_u64 s[36:37], s[36:37], s[38:39]
	s_wait_alu 0xfffe
	s_mul_u64 s[38:39], s[6:7], s[36:37]
	s_add_nc_u64 s[40:41], s[36:37], 1
	s_wait_alu 0xfffe
	s_sub_co_u32 s1, s4, s38
	s_cselect_b32 s4, -1, 0
	s_sub_co_i32 s9, s5, s39
	s_wait_alu 0xfffe
	s_cmp_lg_u32 s4, 0
	s_add_nc_u64 s[42:43], s[36:37], 2
	s_sub_co_ci_u32 s9, s9, s7
	s_sub_co_u32 s17, s1, s6
	s_cselect_b32 s27, -1, 0
	s_wait_alu 0xfffe
	s_cmp_lg_u32 s27, 0
	s_sub_co_ci_u32 s9, s9, 0
	s_wait_alu 0xfffe
	s_cmp_ge_u32 s9, s7
	s_cselect_b32 s27, -1, 0
	s_cmp_ge_u32 s17, s6
	s_cselect_b32 s17, -1, 0
	s_cmp_eq_u32 s9, s7
	s_wait_alu 0xfffe
	s_cselect_b32 s9, s17, s27
	s_wait_alu 0xfffe
	s_cmp_lg_u32 s9, 0
	s_cselect_b32 s9, s42, s40
	s_cselect_b32 s17, s43, s41
	s_cmp_lg_u32 s4, 0
	s_sub_co_ci_u32 s4, s5, s39
	s_wait_alu 0xfffe
	s_cmp_ge_u32 s4, s7
	s_cselect_b32 s5, -1, 0
	s_cmp_ge_u32 s1, s6
	s_cselect_b32 s1, -1, 0
	s_cmp_eq_u32 s4, s7
	s_wait_alu 0xfffe
	s_cselect_b32 s1, s1, s5
	s_wait_alu 0xfffe
	s_cmp_lg_u32 s1, 0
	s_cselect_b32 s5, s17, s37
	s_cselect_b32 s4, s9, s36
	s_xor_b64 s[2:3], s[2:3], 0
	s_wait_alu 0xfffe
	s_xor_b64 s[4:5], s[4:5], s[2:3]
	s_wait_alu 0xfffe
	s_sub_nc_u64 s[38:39], s[4:5], s[2:3]
	s_mov_b32 s2, 0
.LBB51_11:                              ;   in Loop: Header=BB51_9 Depth=1
	s_wait_alu 0xfffe
	s_and_not1_b32 vcc_lo, exec_lo, s2
	s_wait_alu 0xfffe
	s_cbranch_vccnz .LBB51_13
; %bb.12:                               ;   in Loop: Header=BB51_9 Depth=1
	v_readfirstlane_b32 s1, v4
	s_sub_co_i32 s2, 0, s16
	s_wait_alu 0xfffe
	s_mul_i32 s2, s2, s1
	s_wait_alu 0xfffe
	s_mul_hi_u32 s2, s1, s2
	s_wait_alu 0xfffe
	s_add_co_i32 s1, s1, s2
	s_wait_alu 0xfffe
	s_mul_hi_u32 s1, s0, s1
	s_wait_alu 0xfffe
	s_mul_i32 s2, s1, s16
	s_wait_alu 0xfffe
	s_sub_co_i32 s0, s0, s2
	s_add_co_i32 s2, s1, 1
	s_wait_alu 0xfffe
	s_sub_co_i32 s3, s0, s16
	s_cmp_ge_u32 s0, s16
	s_cselect_b32 s1, s2, s1
	s_wait_alu 0xfffe
	s_cselect_b32 s0, s3, s0
	s_add_co_i32 s2, s1, 1
	s_wait_alu 0xfffe
	s_cmp_ge_u32 s0, s16
	s_cselect_b32 s38, s2, s1
.LBB51_13:                              ;   in Loop: Header=BB51_9 Depth=1
	v_readfirstlane_b32 s9, v0
	s_wait_alu 0xfffe
	s_cmp_lg_u32 s20, s38
	s_mov_b32 s0, -1
                                        ; implicit-def: $sgpr27
                                        ; implicit-def: $vgpr6
                                        ; implicit-def: $vgpr7
                                        ; implicit-def: $sgpr17
                                        ; implicit-def: $sgpr33
	s_cbranch_scc1 .LBB51_16
; %bb.14:                               ;   in Loop: Header=BB51_9 Depth=1
	s_wait_alu 0xfffe
	s_and_not1_b32 vcc_lo, exec_lo, s0
	s_wait_alu 0xfffe
	s_cbranch_vccz .LBB51_19
.LBB51_15:                              ;   in Loop: Header=BB51_9 Depth=1
	s_and_not1_b32 vcc_lo, exec_lo, s27
	s_wait_alu 0xfffe
	s_cbranch_vccnz .LBB51_20
	s_branch .LBB51_23
.LBB51_16:                              ;   in Loop: Header=BB51_9 Depth=1
	s_add_co_i32 s40, s34, s15
	s_mov_b32 s1, s8
	s_wait_alu 0xfffe
	s_add_co_i32 s0, s40, s16
	v_max_num_f32_e64 v6, s26, s26
	s_wait_alu 0xfffe
	s_lshl_b32 s0, s0, 1
	s_mov_b32 s39, s8
	s_wait_alu 0xfffe
	s_add_co_i32 s0, s0, s21
	s_mul_u64 s[42:43], s[38:39], s[22:23]
	s_wait_alu 0xfffe
	s_lshl_b64 s[0:1], s[0:1], 3
	s_mov_b32 s33, s20
	s_wait_alu 0xfffe
	s_add_nc_u64 s[0:1], s[10:11], s[0:1]
	s_load_b64 s[36:37], s[0:1], 0x0
	v_readfirstlane_b32 s0, v6
	s_wait_kmcnt 0x0
	v_max_num_f32_e64 v7, s36, s36
	s_delay_alu instid0(VALU_DEP_1) | instskip(SKIP_2) | instid1(SALU_CYCLE_2)
	v_readfirstlane_b32 s1, v7
	s_max_num_f32 s9, s0, s1
	s_wait_alu 0xfffe
	s_sub_f32 s35, s26, s9
	s_sub_f32 s36, s36, s9
	s_wait_alu 0xfffe
	s_delay_alu instid0(SALU_CYCLE_1)
	s_cmp_nlt_f32 s35, 0xc2ce8ed0
	s_cselect_b32 s0, -1, 0
	s_cmp_ngt_f32 s35, 0x42b17218
	s_cselect_b32 s1, -1, 0
	s_cmp_ge_f32 s35, 0xc1a00000
	s_cselect_b32 s2, -1, 0
	s_cmp_nlt_f32 s36, 0xc2ce8ed0
	s_cselect_b32 s3, -1, 0
	s_cmp_ngt_f32 s36, 0x42b17218
	s_cselect_b32 s4, -1, 0
	s_cmp_ge_f32 s36, 0xc1a00000
	s_cselect_b32 s5, -1, 0
	s_add_co_i32 s17, s43, s38
	s_wait_alu 0xfffe
	s_lshr_b32 s17, s17, s13
	s_wait_alu 0xfffe
	s_mul_i32 s27, s17, s14
	s_wait_alu 0xfffe
	s_cmp_eq_u32 s27, s38
	s_cselect_b32 s27, -1, 0
	s_cmp_lt_u32 s17, s12
	s_cselect_b32 s17, -1, 0
	s_wait_alu 0xfffe
	s_or_b32 s17, s17, s27
	s_mov_b32 s27, -1
	s_wait_alu 0xfffe
	s_and_b32 vcc_lo, exec_lo, s17
	s_mov_b32 s17, s34
	s_wait_alu 0xfffe
	s_cbranch_vccnz .LBB51_18
; %bb.17:                               ;   in Loop: Header=BB51_9 Depth=1
	s_add_co_i32 s17, s34, -1
	s_mov_b32 s27, 0
	s_mov_b32 s33, s38
.LBB51_18:                              ;   in Loop: Header=BB51_9 Depth=1
	v_lshl_add_u32 v6, s40, 7, v0
	s_mul_f32 s38, s36, 0x3fb8aa3b
	s_mul_f32 s39, s35, 0x3fb8aa3b
	s_wait_alu 0xfffe
	s_delay_alu instid0(SALU_CYCLE_1)
	s_xor_b32 s40, s38, 0x80000000
	v_ashrrev_i32_e32 v7, 31, v6
	s_rndne_f32 s41, s38
	s_wait_alu 0xfffe
	s_fmamk_f32 s40, s36, 0x3fb8aa3b, s40
	s_xor_b32 s42, s39, 0x80000000
	s_rndne_f32 s43, s39
	v_lshlrev_b64_e32 v[6:7], 2, v[6:7]
	s_sub_f32 s38, s38, s41
	s_wait_alu 0xfffe
	s_fmamk_f32 s36, s36, 0x32a5705f, s40
	s_fmamk_f32 s40, s35, 0x3fb8aa3b, s42
	s_sub_f32 s39, s39, s43
	v_add_co_u32 v6, vcc_lo, s24, v6
	s_wait_alu 0xfffd
	v_add_co_ci_u32_e64 v7, null, s25, v7, vcc_lo
	s_wait_alu 0xfffe
	s_add_f32 s36, s38, s36
	s_fmamk_f32 s35, s35, 0x32a5705f, s40
	s_cvt_i32_f32 s38, s41
	global_load_b32 v6, v[6:7], off
	s_wait_alu 0xfffe
	v_s_exp_f32 s36, s36
	s_add_f32 s35, s39, s35
	s_wait_alu 0xfffe
	s_delay_alu instid0(SALU_CYCLE_2) | instskip(NEXT) | instid1(TRANS32_DEP_2)
	v_s_exp_f32 s35, s35
	v_ldexp_f32 v7, s36, s38
	s_cvt_i32_f32 s36, s43
	s_wait_alu 0xf1fe
	s_delay_alu instid0(TRANS32_DEP_1) | instid1(SALU_CYCLE_2)
	v_ldexp_f32 v8, s35, s36
	s_delay_alu instid0(VALU_DEP_2) | instskip(NEXT) | instid1(VALU_DEP_2)
	v_cndmask_b32_e64 v7, 0, v7, s3
	v_cndmask_b32_e64 v8, 0, v8, s0
	s_delay_alu instid0(VALU_DEP_2) | instskip(NEXT) | instid1(VALU_DEP_2)
	v_cndmask_b32_e64 v7, 0x7f800000, v7, s4
	v_cndmask_b32_e64 v8, 0x7f800000, v8, s1
	;; [unrolled: 3-line block ×3, first 2 shown]
	s_wait_loadcnt 0x0
	s_delay_alu instid0(VALU_DEP_2) | instskip(SKIP_1) | instid1(VALU_DEP_1)
	v_mul_f32_e32 v6, v6, v7
	v_mul_f32_e32 v7, s37, v7
	v_fmac_f32_e32 v7, v5, v8
	s_delay_alu instid0(VALU_DEP_3)
	v_fmac_f32_e32 v6, v3, v8
	s_cbranch_execnz .LBB51_15
.LBB51_19:                              ;   in Loop: Header=BB51_9 Depth=1
	s_wait_loadcnt 0x0
	v_dual_mov_b32 v7, v5 :: v_dual_mov_b32 v6, v3
	s_add_co_i32 s17, s34, -1
	s_mov_b32 s33, s20
	s_mov_b32 s9, s26
	s_cbranch_execz .LBB51_23
.LBB51_20:                              ;   in Loop: Header=BB51_9 Depth=1
	v_mov_b32_e32 v5, v7
	s_wait_loadcnt 0x0
	v_mov_b32_e32 v3, v6
	s_mov_b32 s20, s33
	s_wait_alu 0xfffe
	s_mov_b32 s34, s17
	s_mov_b32 s26, s9
	s_branch .LBB51_9
.LBB51_21:
                                        ; implicit-def: $sgpr20_sgpr21
	s_branch .LBB51_2
.LBB51_22:
                                        ; implicit-def: $sgpr10_sgpr11
	s_load_b96 s[12:14], s[0:1], 0x44
	s_branch .LBB51_5
.LBB51_23:
	v_div_scale_f32 v0, null, v7, v7, v6
	s_wait_loadcnt 0x0
	s_delay_alu instid0(VALU_DEP_1) | instskip(NEXT) | instid1(TRANS32_DEP_1)
	v_rcp_f32_e32 v3, v0
	v_fma_f32 v4, -v0, v3, 1.0
	s_delay_alu instid0(VALU_DEP_1) | instskip(SKIP_1) | instid1(VALU_DEP_1)
	v_fmac_f32_e32 v3, v4, v3
	v_div_scale_f32 v4, vcc_lo, v6, v7, v6
	v_mul_f32_e32 v5, v4, v3
	s_delay_alu instid0(VALU_DEP_1) | instskip(NEXT) | instid1(VALU_DEP_1)
	v_fma_f32 v8, -v0, v5, v4
	v_fmac_f32_e32 v5, v8, v3
	s_delay_alu instid0(VALU_DEP_1) | instskip(SKIP_1) | instid1(VALU_DEP_1)
	v_fma_f32 v0, -v0, v5, v4
	s_wait_alu 0xfffd
	v_div_fmas_f32 v0, v0, v3, v5
	s_delay_alu instid0(VALU_DEP_1)
	v_div_fixup_f32 v0, v0, v7, v6
	global_store_b32 v[1:2], v0, off
.LBB51_24:
	s_endpgm
	.section	.rodata,"a",@progbits
	.p2align	6, 0x0
	.amdhsa_kernel _ZL33flash_attn_stream_k_fixup_generalILi64ELi1ELi2EEvPfPK15HIP_vector_typeIfLj2EEiiiiS1_IjLj3EES5_S5_S5_
		.amdhsa_group_segment_fixed_size 0
		.amdhsa_private_segment_fixed_size 0
		.amdhsa_kernarg_size 336
		.amdhsa_user_sgpr_count 2
		.amdhsa_user_sgpr_dispatch_ptr 0
		.amdhsa_user_sgpr_queue_ptr 0
		.amdhsa_user_sgpr_kernarg_segment_ptr 1
		.amdhsa_user_sgpr_dispatch_id 0
		.amdhsa_user_sgpr_private_segment_size 0
		.amdhsa_wavefront_size32 1
		.amdhsa_uses_dynamic_stack 0
		.amdhsa_enable_private_segment 0
		.amdhsa_system_sgpr_workgroup_id_x 1
		.amdhsa_system_sgpr_workgroup_id_y 1
		.amdhsa_system_sgpr_workgroup_id_z 1
		.amdhsa_system_sgpr_workgroup_info 0
		.amdhsa_system_vgpr_workitem_id 0
		.amdhsa_next_free_vgpr 9
		.amdhsa_next_free_sgpr 44
		.amdhsa_reserve_vcc 1
		.amdhsa_float_round_mode_32 0
		.amdhsa_float_round_mode_16_64 0
		.amdhsa_float_denorm_mode_32 3
		.amdhsa_float_denorm_mode_16_64 3
		.amdhsa_fp16_overflow 0
		.amdhsa_workgroup_processor_mode 1
		.amdhsa_memory_ordered 1
		.amdhsa_forward_progress 1
		.amdhsa_inst_pref_size 28
		.amdhsa_round_robin_scheduling 0
		.amdhsa_exception_fp_ieee_invalid_op 0
		.amdhsa_exception_fp_denorm_src 0
		.amdhsa_exception_fp_ieee_div_zero 0
		.amdhsa_exception_fp_ieee_overflow 0
		.amdhsa_exception_fp_ieee_underflow 0
		.amdhsa_exception_fp_ieee_inexact 0
		.amdhsa_exception_int_div_zero 0
	.end_amdhsa_kernel
	.section	.text._ZL33flash_attn_stream_k_fixup_generalILi64ELi1ELi2EEvPfPK15HIP_vector_typeIfLj2EEiiiiS1_IjLj3EES5_S5_S5_,"axG",@progbits,_ZL33flash_attn_stream_k_fixup_generalILi64ELi1ELi2EEvPfPK15HIP_vector_typeIfLj2EEiiiiS1_IjLj3EES5_S5_S5_,comdat
.Lfunc_end51:
	.size	_ZL33flash_attn_stream_k_fixup_generalILi64ELi1ELi2EEvPfPK15HIP_vector_typeIfLj2EEiiiiS1_IjLj3EES5_S5_S5_, .Lfunc_end51-_ZL33flash_attn_stream_k_fixup_generalILi64ELi1ELi2EEvPfPK15HIP_vector_typeIfLj2EEiiiiS1_IjLj3EES5_S5_S5_
                                        ; -- End function
	.set _ZL33flash_attn_stream_k_fixup_generalILi64ELi1ELi2EEvPfPK15HIP_vector_typeIfLj2EEiiiiS1_IjLj3EES5_S5_S5_.num_vgpr, 9
	.set _ZL33flash_attn_stream_k_fixup_generalILi64ELi1ELi2EEvPfPK15HIP_vector_typeIfLj2EEiiiiS1_IjLj3EES5_S5_S5_.num_agpr, 0
	.set _ZL33flash_attn_stream_k_fixup_generalILi64ELi1ELi2EEvPfPK15HIP_vector_typeIfLj2EEiiiiS1_IjLj3EES5_S5_S5_.numbered_sgpr, 44
	.set _ZL33flash_attn_stream_k_fixup_generalILi64ELi1ELi2EEvPfPK15HIP_vector_typeIfLj2EEiiiiS1_IjLj3EES5_S5_S5_.num_named_barrier, 0
	.set _ZL33flash_attn_stream_k_fixup_generalILi64ELi1ELi2EEvPfPK15HIP_vector_typeIfLj2EEiiiiS1_IjLj3EES5_S5_S5_.private_seg_size, 0
	.set _ZL33flash_attn_stream_k_fixup_generalILi64ELi1ELi2EEvPfPK15HIP_vector_typeIfLj2EEiiiiS1_IjLj3EES5_S5_S5_.uses_vcc, 1
	.set _ZL33flash_attn_stream_k_fixup_generalILi64ELi1ELi2EEvPfPK15HIP_vector_typeIfLj2EEiiiiS1_IjLj3EES5_S5_S5_.uses_flat_scratch, 0
	.set _ZL33flash_attn_stream_k_fixup_generalILi64ELi1ELi2EEvPfPK15HIP_vector_typeIfLj2EEiiiiS1_IjLj3EES5_S5_S5_.has_dyn_sized_stack, 0
	.set _ZL33flash_attn_stream_k_fixup_generalILi64ELi1ELi2EEvPfPK15HIP_vector_typeIfLj2EEiiiiS1_IjLj3EES5_S5_S5_.has_recursion, 0
	.set _ZL33flash_attn_stream_k_fixup_generalILi64ELi1ELi2EEvPfPK15HIP_vector_typeIfLj2EEiiiiS1_IjLj3EES5_S5_S5_.has_indirect_call, 0
	.section	.AMDGPU.csdata,"",@progbits
; Kernel info:
; codeLenInByte = 3556
; TotalNumSgprs: 46
; NumVgprs: 9
; ScratchSize: 0
; MemoryBound: 0
; FloatMode: 240
; IeeeMode: 1
; LDSByteSize: 0 bytes/workgroup (compile time only)
; SGPRBlocks: 0
; VGPRBlocks: 1
; NumSGPRsForWavesPerEU: 46
; NumVGPRsForWavesPerEU: 9
; Occupancy: 16
; WaveLimiterHint : 0
; COMPUTE_PGM_RSRC2:SCRATCH_EN: 0
; COMPUTE_PGM_RSRC2:USER_SGPR: 2
; COMPUTE_PGM_RSRC2:TRAP_HANDLER: 0
; COMPUTE_PGM_RSRC2:TGID_X_EN: 1
; COMPUTE_PGM_RSRC2:TGID_Y_EN: 1
; COMPUTE_PGM_RSRC2:TGID_Z_EN: 1
; COMPUTE_PGM_RSRC2:TIDIG_COMP_CNT: 0
	.section	.text._ZL15flash_attn_tileILi64ELi64ELi64ELi1ELb0EEvPKcS1_S1_S1_S1_PKiPfP15HIP_vector_typeIfLj2EEffffjfiS5_IjLj3EEiiiiiiiiiiiliiliiiiil,"axG",@progbits,_ZL15flash_attn_tileILi64ELi64ELi64ELi1ELb0EEvPKcS1_S1_S1_S1_PKiPfP15HIP_vector_typeIfLj2EEffffjfiS5_IjLj3EEiiiiiiiiiiiliiliiiiil,comdat
	.globl	_ZL15flash_attn_tileILi64ELi64ELi64ELi1ELb0EEvPKcS1_S1_S1_S1_PKiPfP15HIP_vector_typeIfLj2EEffffjfiS5_IjLj3EEiiiiiiiiiiiliiliiiiil ; -- Begin function _ZL15flash_attn_tileILi64ELi64ELi64ELi1ELb0EEvPKcS1_S1_S1_S1_PKiPfP15HIP_vector_typeIfLj2EEffffjfiS5_IjLj3EEiiiiiiiiiiiliiliiiiil
	.p2align	8
	.type	_ZL15flash_attn_tileILi64ELi64ELi64ELi1ELb0EEvPKcS1_S1_S1_S1_PKiPfP15HIP_vector_typeIfLj2EEffffjfiS5_IjLj3EEiiiiiiiiiiiliiliiiiil,@function
_ZL15flash_attn_tileILi64ELi64ELi64ELi1ELb0EEvPKcS1_S1_S1_S1_PKiPfP15HIP_vector_typeIfLj2EEffffjfiS5_IjLj3EEiiiiiiiiiiiliiliiiiil: ; @_ZL15flash_attn_tileILi64ELi64ELi64ELi1ELb0EEvPKcS1_S1_S1_S1_PKiPfP15HIP_vector_typeIfLj2EEffffjfiS5_IjLj3EEiiiiiiiiiiiliiliiiiil
; %bb.0:
	s_clause 0x1
	s_load_b128 s[20:23], s[0:1], 0x5c
	s_load_b64 s[2:3], s[0:1], 0x80
	s_lshr_b32 s6, ttmp7, 16
	s_load_b64 s[30:31], s[0:1], 0xb8
	s_mov_b32 s41, 0
	s_mov_b64 s[38:39], 0
	s_wait_kmcnt 0x0
	s_cvt_f32_u32 s4, s23
	s_sub_co_i32 s5, 0, s23
	s_delay_alu instid0(SALU_CYCLE_2) | instskip(NEXT) | instid1(TRANS32_DEP_1)
	v_rcp_iflag_f32_e32 v1, s4
	v_readfirstlane_b32 s4, v1
	s_mul_f32 s4, s4, 0x4f7ffffe
	s_wait_alu 0xfffe
	s_delay_alu instid0(SALU_CYCLE_2) | instskip(SKIP_1) | instid1(SALU_CYCLE_2)
	s_cvt_u32_f32 s4, s4
	s_wait_alu 0xfffe
	s_mul_i32 s5, s5, s4
	s_wait_alu 0xfffe
	s_mul_hi_u32 s5, s4, s5
	s_wait_alu 0xfffe
	s_add_co_i32 s4, s4, s5
	s_wait_alu 0xfffe
	s_mul_hi_u32 s4, s6, s4
	s_wait_alu 0xfffe
	s_mul_i32 s5, s4, s23
	s_add_co_i32 s7, s4, 1
	s_wait_alu 0xfffe
	s_sub_co_i32 s5, s6, s5
	s_wait_alu 0xfffe
	s_sub_co_i32 s8, s5, s23
	s_cmp_ge_u32 s5, s23
	s_cselect_b32 s4, s7, s4
	s_cselect_b32 s5, s8, s5
	s_wait_alu 0xfffe
	s_add_co_i32 s7, s4, 1
	s_cmp_ge_u32 s5, s23
	s_cselect_b32 s36, s7, s4
	s_abs_i32 s4, s3
	s_abs_i32 s9, s23
	s_wait_alu 0xfffe
	s_cvt_f32_u32 s5, s4
	s_sub_co_i32 s7, 0, s4
	s_mul_i32 s8, s36, s23
	s_xor_b32 s3, s23, s3
	s_wait_alu 0xfffe
	v_rcp_iflag_f32_e32 v1, s5
	s_sub_co_i32 s34, s6, s8
	s_ashr_i32 s3, s3, 31
	s_delay_alu instid0(TRANS32_DEP_1) | instskip(SKIP_2) | instid1(SALU_CYCLE_2)
	v_readfirstlane_b32 s5, v1
	s_mul_f32 s5, s5, 0x4f7ffffe
	s_wait_alu 0xfffe
	s_cvt_u32_f32 s5, s5
	s_wait_alu 0xfffe
	s_delay_alu instid0(SALU_CYCLE_2) | instskip(NEXT) | instid1(SALU_CYCLE_1)
	s_mul_i32 s7, s7, s5
	s_mul_hi_u32 s7, s5, s7
	s_delay_alu instid0(SALU_CYCLE_1)
	s_add_co_i32 s5, s5, s7
	s_wait_alu 0xfffe
	s_mul_hi_u32 s5, s9, s5
	s_wait_alu 0xfffe
	s_mul_i32 s6, s5, s4
	s_add_co_i32 s7, s5, 1
	s_sub_co_i32 s6, s9, s6
	s_delay_alu instid0(SALU_CYCLE_1)
	s_sub_co_i32 s8, s6, s4
	s_cmp_ge_u32 s6, s4
	s_cselect_b32 s5, s7, s5
	s_cselect_b32 s6, s8, s6
	s_wait_alu 0xfffe
	s_add_co_i32 s7, s5, 1
	s_cmp_ge_u32 s6, s4
	s_cselect_b32 s4, s7, s5
	s_abs_i32 s40, s34
	s_wait_alu 0xfffe
	s_xor_b32 s4, s4, s3
	s_wait_alu 0xfffe
	s_sub_co_i32 s37, s4, s3
	s_delay_alu instid0(SALU_CYCLE_1) | instskip(NEXT) | instid1(SALU_CYCLE_1)
	s_abs_i32 s3, s37
	s_cvt_f32_u32 s4, s3
	s_sub_co_i32 s25, 0, s3
	s_wait_alu 0xfffe
	s_delay_alu instid0(SALU_CYCLE_1) | instskip(SKIP_1) | instid1(TRANS32_DEP_1)
	v_rcp_iflag_f32_e32 v1, s4
	s_load_b512 s[4:19], s[0:1], 0x0
	v_readfirstlane_b32 s24, v1
	s_mul_f32 s24, s24, 0x4f7ffffe
	s_delay_alu instid0(SALU_CYCLE_3) | instskip(NEXT) | instid1(SALU_CYCLE_3)
	s_cvt_u32_f32 s24, s24
	s_mul_i32 s25, s25, s24
	s_delay_alu instid0(SALU_CYCLE_1) | instskip(NEXT) | instid1(SALU_CYCLE_1)
	s_mul_hi_u32 s25, s24, s25
	s_add_co_i32 s42, s24, s25
	s_wait_kmcnt 0x0
	s_cmp_eq_u64 s[10:11], 0
	s_cbranch_scc1 .LBB52_2
; %bb.1:
	s_abs_i32 s26, s30
	s_delay_alu instid0(SALU_CYCLE_1) | instskip(NEXT) | instid1(SALU_CYCLE_3)
	s_cvt_f32_u32 s24, s26
	v_rcp_iflag_f32_e32 v1, s24
	s_delay_alu instid0(TRANS32_DEP_1) | instskip(SKIP_2) | instid1(SALU_CYCLE_2)
	v_readfirstlane_b32 s24, v1
	s_mul_f32 s24, s24, 0x4f7ffffe
	s_wait_alu 0xfffe
	s_cvt_u32_f32 s27, s24
	s_sub_co_i32 s24, 0, s26
	s_wait_alu 0xfffe
	s_delay_alu instid0(SALU_CYCLE_1) | instskip(SKIP_4) | instid1(SALU_CYCLE_1)
	s_mul_i32 s24, s24, s27
	s_wait_alu 0xfffe
	s_mul_hi_u32 s28, s27, s24
	s_load_b64 s[24:25], s[0:1], 0xc8
	s_add_co_i32 s27, s27, s28
	s_mul_hi_u32 s27, s36, s27
	s_delay_alu instid0(SALU_CYCLE_1) | instskip(NEXT) | instid1(SALU_CYCLE_1)
	s_mul_i32 s27, s27, s26
	s_sub_co_i32 s27, s36, s27
	s_delay_alu instid0(SALU_CYCLE_1) | instskip(SKIP_2) | instid1(SALU_CYCLE_1)
	s_sub_co_i32 s28, s27, s26
	s_cmp_ge_u32 s27, s26
	s_cselect_b32 s27, s28, s27
	s_sub_co_i32 s28, s27, s26
	s_cmp_ge_u32 s27, s26
	s_cselect_b32 s26, s28, s27
	s_delay_alu instid0(SALU_CYCLE_1)
	s_ashr_i32 s27, s26, 31
	s_wait_kmcnt 0x0
	s_mul_u64 s[24:25], s[24:25], s[26:27]
	s_wait_alu 0xfffe
	s_add_nc_u64 s[38:39], s[10:11], s[24:25]
.LBB52_2:
	s_clause 0x1
	s_load_b128 s[24:27], s[0:1], 0x40
	s_load_b32 s10, s[0:1], 0x50
	v_mov_b32_e32 v108, 1.0
	s_mov_b32 s43, s41
	s_wait_kmcnt 0x0
	s_cmp_le_f32 s25, 0
	s_cbranch_scc1 .LBB52_4
; %bb.3:
	v_sub_co_u32 v1, s10, s34, s10
	s_and_b32 s25, s10, exec_lo
	s_cselect_b32 s25, s26, s27
	s_add_co_i32 s26, s34, 1
	v_readfirstlane_b32 s11, v1
	s_lshl_b32 s11, s11, 1
	s_wait_alu 0xfffe
	s_or_b32 s11, s11, 1
	s_and_b32 s10, s10, exec_lo
	s_wait_alu 0xfffe
	s_cselect_b32 s10, s26, s11
	s_cmp_neq_f32 s25, 1.0
	s_wait_alu 0xfffe
	s_cvt_f32_i32 s10, s10
	s_wait_alu 0xfffe
	s_delay_alu instid0(SALU_CYCLE_2)
	s_cselect_b32 s11, s10, 1.0
	s_wait_alu 0xfffe
	s_cmp_neq_f32 s11, 0
	s_cselect_b32 s10, s25, 1.0
	s_wait_alu 0xfffe
	v_frexp_mant_f32_e64 v1, |s10|
	s_delay_alu instid0(VALU_DEP_1) | instskip(SKIP_3) | instid1(SALU_CYCLE_1)
	v_readfirstlane_b32 s25, v1
	v_cvt_f64_f32_e64 v[1:2], |s10|
	s_cmp_lt_f32 s25, 0x3f2aaaab
	s_cselect_b32 s26, -1, 0
	s_and_b32 s27, s26, exec_lo
	s_cselect_b32 s27, 2.0, 1.0
	s_delay_alu instid0(SALU_CYCLE_1) | instskip(SKIP_1) | instid1(SALU_CYCLE_2)
	s_mul_f32 s25, s25, s27
	s_wait_alu 0xfffe
	s_add_f32 s27, s25, 1.0
	s_add_f32 s29, s25, -1.0
	s_delay_alu instid0(SALU_CYCLE_2) | instskip(SKIP_2) | instid1(SALU_CYCLE_2)
	v_s_rcp_f32 s28, s27
	s_add_f32 s35, s27, -1.0
	s_wait_alu 0xfffe
	s_sub_f32 s25, s25, s35
	s_delay_alu instid0(TRANS32_DEP_1) | instskip(NEXT) | instid1(SALU_CYCLE_3)
	s_mul_f32 s30, s29, s28
	s_mul_f32 s33, s27, s30
	s_delay_alu instid0(SALU_CYCLE_3) | instskip(NEXT) | instid1(VALU_DEP_1)
	s_xor_b32 s44, s33, 0x80000000
	v_frexp_exp_i32_f64_e32 v1, v[1:2]
	s_fmac_f32 s44, s30, s27
	s_wait_alu 0xfffe
	s_delay_alu instid0(SALU_CYCLE_2) | instskip(NEXT) | instid1(SALU_CYCLE_3)
	s_fmac_f32 s44, s30, s25
	s_add_f32 s25, s33, s44
	s_wait_alu 0xfffe
	s_delay_alu instid0(SALU_CYCLE_2) | instskip(SKIP_2) | instid1(SALU_CYCLE_1)
	s_sub_f32 s27, s29, s25
	s_sub_f32 s33, s25, s33
	s_wait_alu 0xfffe
	s_sub_f32 s29, s29, s27
	s_delay_alu instid0(SALU_CYCLE_1) | instskip(NEXT) | instid1(SALU_CYCLE_2)
	s_sub_f32 s33, s33, s44
	s_sub_f32 s25, s29, s25
	s_wait_alu 0xfffe
	s_delay_alu instid0(SALU_CYCLE_2) | instskip(SKIP_2) | instid1(SALU_CYCLE_1)
	s_add_f32 s25, s33, s25
	s_mov_b32 s33, 0x3e76c4e1
	s_wait_alu 0xfffe
	s_add_f32 s25, s27, s25
	s_wait_alu 0xfffe
	s_delay_alu instid0(SALU_CYCLE_2) | instskip(SKIP_1) | instid1(SALU_CYCLE_2)
	s_mul_f32 s25, s28, s25
	s_wait_alu 0xfffe
	s_add_f32 s27, s30, s25
	s_wait_alu 0xfffe
	s_delay_alu instid0(SALU_CYCLE_2) | instskip(SKIP_1) | instid1(SALU_CYCLE_2)
	s_sub_f32 s28, s27, s30
	s_mul_f32 s29, s27, s27
	s_sub_f32 s25, s25, s28
	s_delay_alu instid0(SALU_CYCLE_2) | instskip(NEXT) | instid1(SALU_CYCLE_1)
	s_xor_b32 s28, s29, 0x80000000
	s_fmac_f32 s28, s27, s27
	s_wait_alu 0xfffe
	s_add_f32 s30, s25, s25
	s_delay_alu instid0(SALU_CYCLE_3) | instskip(NEXT) | instid1(SALU_CYCLE_3)
	s_fmac_f32 s28, s27, s30
	s_add_f32 s30, s29, s28
	s_delay_alu instid0(SALU_CYCLE_3) | instskip(SKIP_1) | instid1(SALU_CYCLE_2)
	s_fmaak_f32 s33, s30, s33, 0x3e91f4c4
	s_sub_f32 s29, s30, s29
	s_fmaak_f32 s33, s30, s33, 0x3ecccdef
	s_delay_alu instid0(SALU_CYCLE_2) | instskip(SKIP_1) | instid1(SALU_CYCLE_1)
	s_sub_f32 s28, s28, s29
	s_mul_f32 s29, s27, s30
	s_mul_f32 s35, s30, s33
	s_delay_alu instid0(SALU_CYCLE_2) | instskip(SKIP_1) | instid1(SALU_CYCLE_1)
	s_xor_b32 s45, s29, 0x80000000
	s_wait_alu 0xfffe
	s_xor_b32 s44, s35, 0x80000000
	s_fmac_f32 s45, s30, s27
	s_fmac_f32 s44, s30, s33
	s_delay_alu instid0(SALU_CYCLE_2) | instskip(NEXT) | instid1(SALU_CYCLE_2)
	s_fmac_f32 s45, s30, s25
	s_fmac_f32 s44, s28, s33
	s_delay_alu instid0(SALU_CYCLE_2) | instskip(NEXT) | instid1(SALU_CYCLE_2)
	s_fmac_f32 s45, s28, s27
	s_add_f32 s33, s35, s44
	s_delay_alu instid0(SALU_CYCLE_3) | instskip(SKIP_2) | instid1(SALU_CYCLE_1)
	s_sub_f32 s35, s33, s35
	s_add_f32 s46, s33, 0x3f2aaaaa
	s_wait_alu 0xfffe
	s_sub_f32 s35, s44, s35
	s_delay_alu instid0(SALU_CYCLE_1) | instskip(SKIP_1) | instid1(SALU_CYCLE_1)
	s_add_f32 s44, s46, 0xbf2aaaaa
	s_wait_alu 0xfffe
	s_add_f32 s30, s35, 0x31739010
	s_delay_alu instid0(SALU_CYCLE_1) | instskip(NEXT) | instid1(SALU_CYCLE_3)
	s_sub_f32 s33, s33, s44
	s_add_f32 s28, s30, s33
	s_add_f32 s30, s29, s45
	s_delay_alu instid0(SALU_CYCLE_2) | instskip(NEXT) | instid1(SALU_CYCLE_2)
	s_add_f32 s33, s46, s28
	s_sub_f32 s29, s30, s29
	s_delay_alu instid0(SALU_CYCLE_2) | instskip(SKIP_1) | instid1(SALU_CYCLE_1)
	s_mul_f32 s35, s30, s33
	s_sub_f32 s44, s46, s33
	s_sub_f32 s29, s45, s29
	s_wait_alu 0xfffe
	s_xor_b32 s46, s35, 0x80000000
	s_add_f32 s28, s28, s44
	s_fmac_f32 s46, s30, s33
	v_readfirstlane_b32 s44, v1
	v_ldexp_f32 v1, s27, 1
	s_cmp_lg_u32 s26, 0
	s_fmac_f32 s46, s30, s28
	s_sub_co_ci_u32 s26, s44, 0
	s_delay_alu instid0(VALU_DEP_1) | instskip(NEXT) | instid1(SALU_CYCLE_1)
	v_readfirstlane_b32 s27, v1
	s_fmac_f32 s46, s29, s33
	s_wait_alu 0xfffe
	s_cvt_f32_i32 s26, s26
	v_ldexp_f32 v1, s25, 1
	s_add_f32 s28, s35, s46
	s_wait_alu 0xfffe
	s_mul_f32 s25, s26, 0x3f317218
	s_delay_alu instid0(VALU_DEP_1)
	v_readfirstlane_b32 s33, v1
	s_add_f32 s29, s27, s28
	s_sub_f32 s30, s28, s35
	s_wait_alu 0xfffe
	s_xor_b32 s35, s25, 0x80000000
	s_sub_f32 s27, s29, s27
	s_sub_f32 s30, s46, s30
	s_wait_alu 0xfffe
	s_fmamk_f32 s35, s26, 0x3f317218, s35
	s_sub_f32 s27, s28, s27
	s_add_f32 s28, s33, s30
	s_wait_alu 0xfffe
	s_fmamk_f32 s26, s26, 0xb102e308, s35
	s_delay_alu instid0(SALU_CYCLE_1) | instskip(SKIP_1) | instid1(SALU_CYCLE_1)
	s_add_f32 s27, s28, s27
	s_wait_alu 0xfffe
	s_add_f32 s28, s25, s26
	s_delay_alu instid0(SALU_CYCLE_1) | instskip(NEXT) | instid1(SALU_CYCLE_2)
	s_add_f32 s30, s29, s27
	s_sub_f32 s25, s28, s25
	s_delay_alu instid0(SALU_CYCLE_2)
	s_add_f32 s33, s28, s30
	s_sub_f32 s29, s30, s29
	s_wait_alu 0xfffe
	s_sub_f32 s25, s26, s25
	s_sub_f32 s35, s33, s28
	s_sub_f32 s26, s27, s29
	s_wait_alu 0xfffe
	s_delay_alu instid0(SALU_CYCLE_1) | instskip(SKIP_2) | instid1(SALU_CYCLE_1)
	s_sub_f32 s44, s33, s35
	s_sub_f32 s27, s30, s35
	s_add_f32 s29, s25, s26
	s_sub_f32 s28, s28, s44
	s_wait_alu 0xfffe
	s_delay_alu instid0(SALU_CYCLE_2) | instskip(SKIP_2) | instid1(SALU_CYCLE_1)
	s_add_f32 s27, s27, s28
	s_sub_f32 s28, s29, s25
	s_wait_alu 0xfffe
	s_add_f32 s27, s29, s27
	s_delay_alu instid0(SALU_CYCLE_1) | instskip(SKIP_4) | instid1(SALU_CYCLE_2)
	s_sub_f32 s29, s29, s28
	s_sub_f32 s26, s26, s28
	s_wait_alu 0xfffe
	s_add_f32 s30, s33, s27
	s_sub_f32 s25, s25, s29
	s_sub_f32 s28, s30, s33
	s_wait_alu 0xfffe
	s_delay_alu instid0(SALU_CYCLE_1) | instskip(NEXT) | instid1(SALU_CYCLE_1)
	s_add_f32 s25, s26, s25
	s_sub_f32 s26, s27, s28
	s_wait_alu 0xfffe
	s_delay_alu instid0(SALU_CYCLE_2) | instskip(SKIP_1) | instid1(SALU_CYCLE_2)
	s_add_f32 s25, s25, s26
	s_wait_alu 0xfffe
	s_add_f32 s26, s30, s25
	s_wait_alu 0xfffe
	s_delay_alu instid0(SALU_CYCLE_2) | instskip(SKIP_2) | instid1(SALU_CYCLE_1)
	s_mul_f32 s27, s11, s26
	s_sub_f32 s28, s26, s30
	s_wait_alu 0xfffe
	s_xor_b32 s29, s27, 0x80000000
	s_delay_alu instid0(SALU_CYCLE_1) | instskip(SKIP_2) | instid1(SALU_CYCLE_2)
	s_sub_f32 s25, s25, s28
	s_fmac_f32 s29, s11, s26
	s_wait_alu 0xfffe
	s_fmac_f32 s29, s11, s25
	v_cmp_class_f32_e64 s25, s27, 0x204
	s_delay_alu instid0(SALU_CYCLE_2) | instskip(SKIP_2) | instid1(SALU_CYCLE_1)
	s_add_f32 s26, s27, s29
	s_and_b32 s25, s25, exec_lo
	s_wait_alu 0xfffe
	s_sub_f32 s25, s26, s27
	s_cselect_b32 s26, s27, s26
	s_wait_alu 0xfffe
	s_and_b32 s27, s26, 0x7fffffff
	s_sub_f32 s25, s29, s25
	s_wait_alu 0xfffe
	s_cmp_neq_f32 s27, 0x7f800000
	s_delay_alu instid0(SALU_CYCLE_1)
	s_cselect_b32 s25, s25, 0
	s_cmp_eq_f32 s26, 0x42b17218
	s_cselect_b32 s27, 0x37000000, 0
	s_wait_alu 0xfffe
	s_sub_f32 s26, s26, s27
	s_add_f32 s25, s27, s25
	s_wait_alu 0xfffe
	s_delay_alu instid0(SALU_CYCLE_1) | instskip(NEXT) | instid1(SALU_CYCLE_3)
	s_mul_f32 s28, s26, 0x3fb8aa3b
	s_xor_b32 s29, s28, 0x80000000
	s_rndne_f32 s30, s28
	s_fmamk_f32 s29, s26, 0x3fb8aa3b, s29
	s_cmp_nlt_f32 s26, 0xc2ce8ed0
	s_delay_alu instid0(SALU_CYCLE_1) | instskip(NEXT) | instid1(SALU_CYCLE_1)
	s_sub_f32 s28, s28, s30
	s_fmamk_f32 s29, s26, 0x32a5705f, s29
	s_cselect_b32 vcc_lo, -1, 0
	s_cmp_ngt_f32 s26, 0x42b17218
	s_trunc_f32 s26, s11
	s_add_f32 s28, s28, s29
	s_cvt_i32_f32 s29, s30
	s_delay_alu instid0(SALU_CYCLE_2)
	v_s_exp_f32 s28, s28
	s_wait_alu 0xf1ff
	s_delay_alu instid0(TRANS32_DEP_1) | instid1(SALU_CYCLE_1)
	v_ldexp_f32 v1, s28, s29
	s_mul_f32 s28, s11, 0.5
	s_delay_alu instid0(VALU_DEP_1)
	v_cndmask_b32_e32 v1, 0, v1, vcc_lo
	s_cselect_b32 vcc_lo, -1, 0
	s_wait_alu 0xfffe
	s_cmp_eq_f32 s26, s11
	s_trunc_f32 s29, s28
	v_cndmask_b32_e32 v1, 0x7f800000, v1, vcc_lo
	s_cselect_b32 s30, -1, 0
	s_wait_alu 0xfffe
	s_cmp_neq_f32 s29, s28
	s_delay_alu instid0(VALU_DEP_1)
	v_fma_f32 v2, s25, v1, v1
	v_cmp_class_f32_e64 vcc_lo, v1, 0x204
	s_cselect_b32 s27, -1, 0
	s_wait_alu 0xfffe
	s_and_b32 s25, s30, s27
	s_wait_alu 0xfffd
	v_cndmask_b32_e32 v1, v2, v1, vcc_lo
	s_wait_alu 0xfffe
	s_and_b32 s27, s25, exec_lo
	s_cselect_b32 s27, s10, 1.0
	s_cmp_eq_f32 s26, s11
	v_cmp_class_f32_e64 s26, s10, 0x204
	s_wait_alu 0xfffe
	v_bfi_b32 v1, 0x7fffffff, v1, s27
	s_cselect_b32 vcc_lo, -1, 0
	s_cmp_lt_f32 s10, 0
	s_wait_alu 0xfffe
	s_delay_alu instid0(VALU_DEP_1) | instskip(SKIP_3) | instid1(VALU_DEP_1)
	v_cndmask_b32_e32 v2, 0x7fc00000, v1, vcc_lo
	s_cselect_b32 vcc_lo, -1, 0
	s_cmp_eq_f32 s10, 0
	s_wait_alu 0xfffe
	v_cndmask_b32_e32 v1, v1, v2, vcc_lo
	s_cselect_b32 s27, -1, 0
	s_wait_alu 0xfffe
	s_or_b32 vcc_lo, s27, s26
	s_cmp_lt_f32 s11, 0
	s_cselect_b32 s11, -1, 0
	s_wait_alu 0xfffe
	s_xor_b32 s11, s11, s27
	s_wait_alu 0xfffe
	s_and_b32 s11, s11, exec_lo
	s_cselect_b32 s11, 0, 0x7f800000
	s_and_b32 s25, s25, exec_lo
	s_cselect_b32 s25, s10, 0
	s_cmp_o_f32 s10, s10
	s_wait_alu 0xfffe
	v_mov_b32_e32 v2, s25
	s_delay_alu instid0(VALU_DEP_1) | instskip(NEXT) | instid1(VALU_DEP_1)
	v_bfi_b32 v2, 0x7fffffff, s11, v2
	v_cndmask_b32_e32 v1, v1, v2, vcc_lo
	s_cselect_b32 vcc_lo, -1, 0
	s_wait_alu 0xfffe
	s_delay_alu instid0(VALU_DEP_1)
	v_cndmask_b32_e32 v108, 0x7fc00000, v1, vcc_lo
.LBB52_4:
	v_bfe_u32 v143, v0, 10, 10
	s_lshl_b32 s33, ttmp9, 6
	v_and_b32_e32 v100, 0x3ff, v0
	s_load_b96 s[28:30], s[0:1], 0x70
	s_ashr_i32 s35, s34, 31
	v_lshlrev_b32_e32 v103, 4, v143
	v_lshlrev_b32_e32 v106, 11, v143
	s_delay_alu instid0(VALU_DEP_2) | instskip(SKIP_3) | instid1(VALU_DEP_4)
	v_or_b32_e32 v218, 1, v103
	v_add_nc_u32_e32 v104, s33, v103
	v_or_b32_e32 v217, 2, v103
	v_or_b32_e32 v216, 3, v103
	v_add_nc_u32_e32 v102, s33, v218
	s_delay_alu instid0(VALU_DEP_4) | instskip(NEXT) | instid1(VALU_DEP_4)
	v_mul_hi_u32 v0, v104, s20
	v_add_nc_u32_e32 v101, s33, v217
	s_delay_alu instid0(VALU_DEP_4) | instskip(NEXT) | instid1(VALU_DEP_4)
	v_add_nc_u32_e32 v98, s33, v216
	v_mul_hi_u32 v1, v102, s20
	s_delay_alu instid0(VALU_DEP_3) | instskip(NEXT) | instid1(VALU_DEP_3)
	v_mul_hi_u32 v2, v101, s20
	v_mul_hi_u32 v3, v98, s20
	v_add_nc_u32_e32 v0, v104, v0
	s_wait_kmcnt 0x0
	s_mul_i32 s44, s34, s29
	s_ashr_i32 s29, s28, 31
	s_mul_i32 s26, s36, s30
	v_add_nc_u32_e32 v1, v102, v1
	v_lshrrev_b32_e32 v0, s21, v0
	v_add_nc_u32_e32 v2, v101, v2
	v_add_nc_u32_e32 v3, v98, v3
	s_wait_alu 0xfffe
	s_lshr_b64 s[10:11], s[28:29], 2
	v_lshrrev_b32_e32 v1, s21, v1
	v_mul_lo_u32 v0, v0, s22
	v_lshrrev_b32_e32 v2, s21, v2
	v_lshrrev_b32_e32 v3, s21, v3
	s_ashr_i32 s27, s26, 31
	v_mul_lo_u32 v1, v1, s22
	s_wait_alu 0xfffe
	s_add_nc_u64 s[26:27], s[4:5], s[26:27]
	v_mul_lo_u32 v4, v2, s22
	v_mul_lo_u32 v5, v3, s22
	v_sub_nc_u32_e32 v123, v104, v0
	s_lshr_b32 s4, s29, 2
	s_ashr_i32 s45, s44, 31
	s_wait_alu 0xfffe
	s_add_nc_u64 s[26:27], s[26:27], s[44:45]
	v_sub_nc_u32_e32 v7, v102, v1
	v_mad_co_u64_u32 v[0:1], null, s10, v123, 0
	v_sub_nc_u32_e32 v11, v101, v4
	v_sub_nc_u32_e32 v12, v98, v5
	s_delay_alu instid0(VALU_DEP_4) | instskip(NEXT) | instid1(VALU_DEP_1)
	v_mad_co_u64_u32 v[2:3], null, s10, v7, 0
	v_mad_co_u64_u32 v[4:5], null, s4, v123, v[1:2]
	s_delay_alu instid0(VALU_DEP_4) | instskip(NEXT) | instid1(VALU_DEP_2)
	v_mad_co_u64_u32 v[5:6], null, s10, v11, 0
	v_mad_co_u64_u32 v[7:8], null, s4, v7, v[3:4]
	s_delay_alu instid0(VALU_DEP_2) | instskip(SKIP_4) | instid1(VALU_DEP_4)
	v_dual_mov_b32 v1, v4 :: v_dual_mov_b32 v4, v6
	v_or_b32_e32 v215, 4, v103
	v_lshlrev_b32_e32 v9, 3, v100
	v_or_b32_e32 v213, 5, v103
	v_or_b32_e32 v214, 6, v103
	v_dual_mov_b32 v3, v7 :: v_dual_add_nc_u32 v96, s33, v215
	s_wait_alu 0xfffe
	v_add_co_u32 v35, s5, s26, v9
	v_mad_co_u64_u32 v[8:9], null, s10, v12, 0
	s_delay_alu instid0(VALU_DEP_3) | instskip(SKIP_4) | instid1(VALU_DEP_4)
	v_mul_hi_u32 v10, v96, s20
	v_add_nc_u32_e32 v253, s33, v213
	v_mad_co_u64_u32 v[6:7], null, s4, v11, v[4:5]
	v_add_nc_u32_e32 v99, s33, v214
	v_or_b32_e32 v210, 7, v103
	v_mul_hi_u32 v11, v253, s20
	v_mov_b32_e32 v4, v9
	v_add_nc_u32_e32 v10, v96, v10
	v_or_b32_e32 v209, 8, v103
	v_add_nc_u32_e32 v212, s33, v210
	v_or_b32_e32 v207, 9, v103
	v_lshlrev_b64_e32 v[0:1], 2, v[0:1]
	v_lshrrev_b32_e32 v7, s21, v10
	v_mad_co_u64_u32 v[9:10], null, s4, v12, v[4:5]
	v_add_nc_u32_e32 v10, v253, v11
	v_mul_hi_u32 v12, v99, s20
	s_delay_alu instid0(VALU_DEP_4)
	v_mul_lo_u32 v7, v7, s22
	v_lshlrev_b64_e32 v[4:5], 2, v[5:6]
	v_mul_hi_u32 v13, v212, s20
	v_lshrrev_b32_e32 v10, s21, v10
	v_lshlrev_b64_e32 v[8:9], 2, v[8:9]
	v_add_nc_u32_e32 v211, s33, v209
	v_add_nc_u32_e32 v208, s33, v207
	;; [unrolled: 1-line block ×3, first 2 shown]
	v_sub_nc_u32_e32 v11, v96, v7
	v_mul_lo_u32 v10, v10, s22
	v_add_nc_u32_e32 v13, v212, v13
	v_mul_hi_u32 v17, v211, s20
	v_lshrrev_b32_e32 v15, s21, v12
	v_mad_co_u64_u32 v[6:7], null, s10, v11, 0
	s_delay_alu instid0(VALU_DEP_4)
	v_lshrrev_b32_e32 v16, s21, v13
	v_lshlrev_b64_e32 v[2:3], 2, v[2:3]
	v_sub_nc_u32_e32 v14, v253, v10
	v_mul_lo_u32 v15, v15, s22
	v_add_nc_u32_e32 v17, v211, v17
	v_mul_lo_u32 v16, v16, s22
	v_mad_co_u64_u32 v[10:11], null, s4, v11, v[7:8]
	v_mad_co_u64_u32 v[11:12], null, s10, v14, 0
	s_wait_alu 0xf1ff
	v_add_co_ci_u32_e64 v36, null, s27, 0, s5
	v_sub_nc_u32_e32 v15, v99, v15
	v_sub_nc_u32_e32 v18, v212, v16
	v_mov_b32_e32 v7, v10
	v_lshrrev_b32_e32 v20, s21, v17
	v_mov_b32_e32 v10, v12
	v_mul_hi_u32 v19, v208, s20
	v_add_co_u32 v0, vcc_lo, v35, v0
	s_wait_alu 0xfffd
	v_add_co_ci_u32_e64 v1, null, v36, v1, vcc_lo
	v_mad_co_u64_u32 v[12:13], null, s4, v14, v[10:11]
	v_mad_co_u64_u32 v[13:14], null, s10, v15, 0
	v_add_co_u32 v2, vcc_lo, v35, v2
	v_lshlrev_b64_e32 v[6:7], 2, v[6:7]
	v_or_b32_e32 v205, 10, v103
	s_wait_alu 0xfffd
	v_add_co_ci_u32_e64 v3, null, v36, v3, vcc_lo
	v_mov_b32_e32 v10, v14
	v_add_co_u32 v4, vcc_lo, v35, v4
	s_wait_alu 0xfffd
	v_add_co_ci_u32_e64 v5, null, v36, v5, vcc_lo
	s_delay_alu instid0(VALU_DEP_3)
	v_mad_co_u64_u32 v[14:15], null, s4, v15, v[10:11]
	v_mad_co_u64_u32 v[15:16], null, s10, v18, 0
	v_lshlrev_b64_e32 v[11:12], 2, v[11:12]
	v_add_co_u32 v8, vcc_lo, v35, v8
	s_wait_alu 0xfffd
	v_add_co_ci_u32_e64 v9, null, v36, v9, vcc_lo
	v_add_co_u32 v6, vcc_lo, v35, v6
	v_mov_b32_e32 v10, v16
	v_add_nc_u32_e32 v206, s33, v205
	s_wait_alu 0xfffd
	v_add_co_ci_u32_e64 v7, null, v36, v7, vcc_lo
	v_or_b32_e32 v203, 11, v103
	v_mad_co_u64_u32 v[16:17], null, s4, v18, v[10:11]
	v_mul_lo_u32 v17, v20, s22
	v_add_nc_u32_e32 v18, v208, v19
	v_add_co_u32 v10, vcc_lo, v35, v11
	s_wait_alu 0xfffd
	v_add_co_ci_u32_e64 v11, null, v36, v12, vcc_lo
	v_lshlrev_b64_e32 v[12:13], 2, v[13:14]
	v_lshrrev_b32_e32 v14, s21, v18
	v_sub_nc_u32_e32 v19, v211, v17
	v_mul_hi_u32 v20, v206, s20
	v_add_nc_u32_e32 v204, s33, v203
	v_or_b32_e32 v201, 12, v103
	v_mul_lo_u32 v21, v14, s22
	v_mad_co_u64_u32 v[17:18], null, s10, v19, 0
	v_lshlrev_b64_e32 v[14:15], 2, v[15:16]
	v_mul_hi_u32 v23, v204, s20
	v_add_nc_u32_e32 v20, v206, v20
	v_add_nc_u32_e32 v202, s33, v201
	v_or_b32_e32 v199, 13, v103
	v_sub_nc_u32_e32 v21, v208, v21
	v_mov_b32_e32 v16, v18
	v_lshrrev_b32_e32 v22, s21, v20
	v_mul_hi_u32 v26, v202, s20
	v_add_nc_u32_e32 v23, v204, v23
	v_add_nc_u32_e32 v200, s33, v199
	v_mad_co_u64_u32 v[18:19], null, s4, v19, v[16:17]
	v_mad_co_u64_u32 v[19:20], null, s10, v21, 0
	v_mul_lo_u32 v22, v22, s22
	v_or_b32_e32 v48, 14, v103
	v_mul_hi_u32 v27, v200, s20
	v_add_co_u32 v12, vcc_lo, v35, v12
	s_wait_alu 0xfffd
	v_add_co_ci_u32_e64 v13, null, v36, v13, vcc_lo
	v_mov_b32_e32 v16, v20
	v_sub_nc_u32_e32 v24, v206, v22
	v_add_nc_u32_e32 v34, s33, v48
	v_add_co_u32 v14, vcc_lo, v35, v14
	s_delay_alu instid0(VALU_DEP_4) | instskip(NEXT) | instid1(VALU_DEP_4)
	v_mad_co_u64_u32 v[20:21], null, s4, v21, v[16:17]
	v_mad_co_u64_u32 v[21:22], null, s10, v24, 0
	v_lshrrev_b32_e32 v16, s21, v23
	v_lshlrev_b64_e32 v[17:18], 2, v[17:18]
	v_mul_hi_u32 v28, v34, s20
	s_wait_alu 0xfffd
	v_add_co_ci_u32_e64 v15, null, v36, v15, vcc_lo
	v_mul_lo_u32 v25, v16, s22
	v_dual_mov_b32 v16, v22 :: v_dual_add_nc_u32 v27, v200, v27
	v_or_b32_e32 v47, 15, v103
	s_clause 0x7
	global_load_b64 v[0:1], v[0:1], off
	global_load_b64 v[2:3], v[2:3], off
	;; [unrolled: 1-line block ×8, first 2 shown]
	v_mad_co_u64_u32 v[22:23], null, s4, v24, v[16:17]
	v_sub_nc_u32_e32 v25, v204, v25
	v_add_nc_u32_e32 v16, v202, v26
	v_add_nc_u32_e32 v33, s33, v47
	scratch_store_b32 off, v34, off offset:16 ; 4-byte Folded Spill
	v_mad_co_u64_u32 v[23:24], null, s10, v25, 0
	v_lshrrev_b32_e32 v26, s21, v16
	v_add_co_u32 v16, vcc_lo, v35, v17
	s_wait_alu 0xfffd
	v_add_co_ci_u32_e64 v17, null, v36, v18, vcc_lo
	s_delay_alu instid0(VALU_DEP_3)
	v_mul_lo_u32 v26, v26, s22
	v_lshlrev_b64_e32 v[18:19], 2, v[19:20]
	v_mov_b32_e32 v20, v24
	scratch_store_b32 off, v33, off offset:20 ; 4-byte Folded Spill
	v_mad_co_u64_u32 v[24:25], null, s4, v25, v[20:21]
	v_sub_nc_u32_e32 v29, v202, v26
	v_lshrrev_b32_e32 v20, s21, v27
	v_add_nc_u32_e32 v27, v34, v28
	v_add_co_u32 v18, vcc_lo, v35, v18
	s_delay_alu instid0(VALU_DEP_4) | instskip(NEXT) | instid1(VALU_DEP_4)
	v_mad_co_u64_u32 v[25:26], null, s10, v29, 0
	v_mul_lo_u32 v28, v20, s22
	s_delay_alu instid0(VALU_DEP_4) | instskip(SKIP_3) | instid1(VALU_DEP_3)
	v_lshrrev_b32_e32 v20, s21, v27
	v_mul_hi_u32 v27, v33, s20
	s_wait_alu 0xfffd
	v_add_co_ci_u32_e64 v19, null, v36, v19, vcc_lo
	v_mul_lo_u32 v30, v20, s22
	v_lshlrev_b64_e32 v[20:21], 2, v[21:22]
	v_mov_b32_e32 v22, v26
	v_sub_nc_u32_e32 v32, v200, v28
	v_add_nc_u32_e32 v31, v33, v27
	s_delay_alu instid0(VALU_DEP_3) | instskip(NEXT) | instid1(VALU_DEP_2)
	v_mad_co_u64_u32 v[26:27], null, s4, v29, v[22:23]
	v_lshrrev_b32_e32 v22, s21, v31
	s_delay_alu instid0(VALU_DEP_4) | instskip(SKIP_2) | instid1(VALU_DEP_4)
	v_mad_co_u64_u32 v[27:28], null, s10, v32, 0
	v_sub_nc_u32_e32 v34, v34, v30
	v_lshlrev_b64_e32 v[23:24], 2, v[23:24]
	v_mul_lo_u32 v31, v22, s22
	v_add_co_u32 v20, vcc_lo, v35, v20
	s_delay_alu instid0(VALU_DEP_4)
	v_mad_co_u64_u32 v[29:30], null, s10, v34, 0
	v_mov_b32_e32 v22, v28
	s_wait_alu 0xfffd
	v_add_co_ci_u32_e64 v21, null, v36, v21, vcc_lo
	v_sub_nc_u32_e32 v37, v33, v31
	v_lshlrev_b64_e32 v[25:26], 2, v[25:26]
	v_mad_co_u64_u32 v[31:32], null, s4, v32, v[22:23]
	v_mov_b32_e32 v22, v30
	s_delay_alu instid0(VALU_DEP_4) | instskip(SKIP_4) | instid1(VALU_DEP_3)
	v_mad_co_u64_u32 v[32:33], null, s10, v37, 0
	v_add_co_u32 v23, vcc_lo, v35, v23
	s_wait_alu 0xfffd
	v_add_co_ci_u32_e64 v24, null, v36, v24, vcc_lo
	v_mov_b32_e32 v28, v31
	v_mad_co_u64_u32 v[30:31], null, s4, v34, v[22:23]
	v_mov_b32_e32 v22, v33
	v_add_co_u32 v25, vcc_lo, v35, v25
	s_delay_alu instid0(VALU_DEP_4)
	v_lshlrev_b64_e32 v[27:28], 2, v[27:28]
	s_wait_alu 0xfffd
	v_add_co_ci_u32_e64 v26, null, v36, v26, vcc_lo
	v_mad_co_u64_u32 v[33:34], null, s4, v37, v[22:23]
	v_lshlrev_b64_e32 v[29:30], 2, v[29:30]
	s_clause 0x4
	global_load_b64 v[16:17], v[16:17], off
	global_load_b64 v[18:19], v[18:19], off
	global_load_b64 v[20:21], v[20:21], off
	global_load_b64 v[22:23], v[23:24], off
	global_load_b64 v[24:25], v[25:26], off
	v_add_co_u32 v26, vcc_lo, v35, v27
	s_wait_alu 0xfffd
	v_add_co_ci_u32_e64 v27, null, v36, v28, vcc_lo
	v_lshlrev_b64_e32 v[31:32], 2, v[32:33]
	v_add_co_u32 v28, vcc_lo, v35, v29
	s_wait_alu 0xfffd
	v_add_co_ci_u32_e64 v29, null, v36, v30, vcc_lo
	s_ashr_i32 s10, s37, 31
	v_add_co_u32 v30, vcc_lo, v35, v31
	s_wait_alu 0xfffd
	v_add_co_ci_u32_e64 v31, null, v36, v32, vcc_lo
	s_clause 0x2
	global_load_b64 v[26:27], v[26:27], off
	global_load_b64 v[28:29], v[28:29], off
	;; [unrolled: 1-line block ×3, first 2 shown]
	v_lshl_add_u32 v32, v100, 2, 0x4400
	s_mul_u64 s[4:5], s[40:41], s[42:43]
	s_mov_b32 s37, 0
	s_cmp_eq_u64 s[14:15], 0
	s_delay_alu instid0(VALU_DEP_1)
	v_add_nc_u32_e32 v33, v32, v106
	v_lshl_add_u32 v34, v218, 7, v32
	v_lshl_add_u32 v35, v217, 7, v32
	;; [unrolled: 1-line block ×13, first 2 shown]
	s_wait_loadcnt 0xf
	v_fma_mixlo_f16 v1, s24, v1, 0
	v_fma_mixlo_f16 v0, s24, v0, 0
	s_wait_loadcnt 0xe
	v_fma_mixlo_f16 v2, s24, v2, 0
	v_fma_mixlo_f16 v3, s24, v3, 0
	s_wait_loadcnt 0xd
	v_fma_mixlo_f16 v4, s24, v4, 0
	v_lshlrev_b32_e32 v1, 16, v1
	v_and_b32_e32 v0, 0xffff, v0
	v_fma_mixlo_f16 v5, s24, v5, 0
	s_wait_loadcnt 0xc
	v_fma_mixlo_f16 v8, s24, v8, 0
	v_fma_mixlo_f16 v9, s24, v9, 0
	s_wait_loadcnt 0xb
	v_fma_mixlo_f16 v6, s24, v6, 0
	v_fma_mixlo_f16 v7, s24, v7, 0
	s_wait_loadcnt 0xa
	v_fma_mixlo_f16 v10, s24, v10, 0
	v_fma_mixlo_f16 v11, s24, v11, 0
	s_wait_loadcnt 0x9
	v_fma_mixlo_f16 v12, s24, v12, 0
	v_fma_mixlo_f16 v13, s24, v13, 0
	s_wait_loadcnt 0x8
	v_fma_mixlo_f16 v14, s24, v14, 0
	v_fma_mixlo_f16 v15, s24, v15, 0
	v_or_b32_e32 v0, v1, v0
	v_lshlrev_b32_e32 v1, 16, v3
	v_and_b32_e32 v2, 0xffff, v2
	v_lshlrev_b32_e32 v3, 16, v5
	v_and_b32_e32 v4, 0xffff, v4
	;; [unrolled: 2-line block ×7, first 2 shown]
	v_or_b32_e32 v1, v1, v2
	v_or_b32_e32 v2, v3, v4
	;; [unrolled: 1-line block ×7, first 2 shown]
	ds_store_b32 v33, v0
	ds_store_b32 v34, v1
	;; [unrolled: 1-line block ×8, first 2 shown]
	s_clause 0x1
	scratch_store_b32 off, v48, off offset:24
	scratch_store_b32 off, v47, off offset:28
	v_lshl_add_u32 v4, v48, 7, v32
	v_lshl_add_u32 v5, v47, 7, v32
	s_wait_loadcnt 0x7
	v_fma_mixlo_f16 v16, s24, v16, 0
	v_fma_mixlo_f16 v17, s24, v17, 0
	s_wait_loadcnt 0x6
	v_fma_mixlo_f16 v18, s24, v18, 0
	v_fma_mixlo_f16 v19, s24, v19, 0
	;; [unrolled: 3-line block ×5, first 2 shown]
	v_lshlrev_b32_e32 v15, 16, v17
	v_and_b32_e32 v16, 0xffff, v16
	v_lshlrev_b32_e32 v17, 16, v19
	v_and_b32_e32 v18, 0xffff, v18
	;; [unrolled: 2-line block ×4, first 2 shown]
	s_wait_loadcnt 0x2
	v_fma_mixlo_f16 v26, s24, v26, 0
	v_fma_mixlo_f16 v27, s24, v27, 0
	s_wait_loadcnt 0x1
	v_fma_mixlo_f16 v28, s24, v28, 0
	v_fma_mixlo_f16 v29, s24, v29, 0
	;; [unrolled: 3-line block ×3, first 2 shown]
	v_lshlrev_b32_e32 v23, 16, v25
	v_and_b32_e32 v24, 0xffff, v24
	v_lshlrev_b32_e32 v25, 16, v27
	v_and_b32_e32 v26, 0xffff, v26
	v_lshlrev_b32_e32 v27, 16, v29
	v_or_b32_e32 v8, v15, v16
	v_and_b32_e32 v0, 0xffff, v28
	v_lshlrev_b32_e32 v1, 16, v31
	v_and_b32_e32 v2, 0xffff, v30
	v_or_b32_e32 v9, v17, v18
	v_or_b32_e32 v10, v19, v20
	;; [unrolled: 1-line block ×7, first 2 shown]
	ds_store_b32 v41, v8
	ds_store_b32 v42, v9
	ds_store_b32 v43, v10
	ds_store_b32 v44, v11
	ds_store_b32 v45, v12
	ds_store_b32 v46, v3
	ds_store_b32 v4, v0
	ds_store_b32 v5, v1
	s_wait_storecnt_dscnt 0x0
	s_barrier_signal -1
	s_barrier_wait -1
	global_inv scope:SCOPE_SE
	s_cbranch_scc1 .LBB52_6
; %bb.5:
	s_load_b32 s2, s[0:1], 0xd0
	s_mov_b32 s25, s37
	s_wait_kmcnt 0x0
	s_mul_i32 s2, s2, s36
	s_delay_alu instid0(SALU_CYCLE_1)
	s_add_co_i32 s24, s2, ttmp9
	s_wait_alu 0xfffe
	s_lshl_b64 s[24:25], s[24:25], 2
	s_wait_alu 0xfffe
	s_add_nc_u64 s[14:15], s[14:15], s[24:25]
	s_load_b32 s2, s[14:15], 0x0
.LBB52_6:
	s_clause 0x2
	s_load_b64 s[14:15], s[0:1], 0x8c
	s_load_b128 s[24:27], s[0:1], 0x98
	s_load_b64 s[42:43], s[0:1], 0xa8
	s_mul_i32 s4, s5, s3
	s_ashr_i32 s28, s31, 1
	s_wait_alu 0xfffe
	s_sub_co_i32 s40, s40, s4
	s_xor_b32 s11, s35, s10
	s_add_co_i32 s29, s5, 1
	s_sub_co_i32 s41, s40, s3
	v_lshrrev_b32_e32 v1, 3, v100
	v_lshlrev_b32_e32 v107, 2, v100
	v_mul_u32_u24_e32 v126, 0x90, v100
	v_or_b32_e32 v125, 1, v104
	v_or_b32_e32 v124, 2, v104
	;; [unrolled: 1-line block ×8, first 2 shown]
	s_wait_kmcnt 0x0
	s_ashr_i32 s4, s14, 2
	s_ashr_i32 s10, s26, 2
	s_cmp_ge_u32 s40, s3
	s_mul_u64 s[24:25], s[24:25], s[36:37]
	s_wait_alu 0xfffe
	s_cselect_b32 s5, s29, s5
	s_cselect_b32 s14, s41, s40
	s_wait_alu 0xfffe
	s_add_co_i32 s26, s5, 1
	s_cmp_ge_u32 s14, s3
	s_mul_u64 s[30:31], s[42:43], s[36:37]
	s_wait_alu 0xfffe
	s_cselect_b32 s3, s26, s5
	s_add_nc_u64 s[6:7], s[6:7], s[24:25]
	s_xor_b32 s3, s3, s11
	s_add_nc_u64 s[24:25], s[8:9], s[30:31]
	s_sub_co_i32 s5, s3, s11
	s_and_b32 s8, ttmp7, 0xffff
	s_wait_alu 0xfffe
	s_mul_i32 s30, s5, s15
	s_mul_i32 s26, s5, s27
	v_or_b32_e32 v23, 9, v104
	v_or_b32_e32 v22, 10, v104
	;; [unrolled: 1-line block ×7, first 2 shown]
	v_add_nc_u32_e32 v109, 0x2400, v106
	v_mbcnt_lo_u32_b32 v105, -1, 0
	s_sub_co_i32 s3, s2, 64
	s_lshl_b32 s14, s8, 6
	s_ashr_i32 s31, s30, 31
	s_wait_alu 0xfffe
	s_ashr_i32 s27, s26, 31
	s_add_nc_u64 s[6:7], s[6:7], s[30:31]
	s_cmp_ge_i32 s14, s3
	s_wait_alu 0xfffe
	s_add_nc_u64 s[24:25], s[24:25], s[26:27]
	s_cbranch_scc1 .LBB52_75
; %bb.7:
	v_mul_hi_u32 v3, s20, v124
	v_lshl_add_u32 v9, v143, 2, v1
	v_mul_hi_u32 v1, s20, v125
	v_mul_hi_u32 v8, s20, v122
	;; [unrolled: 1-line block ×6, first 2 shown]
	v_dual_mov_b32 v130, 0 :: v_dual_add_nc_u32 v3, v124, v3
	v_dual_mov_b32 v131, 0 :: v_dual_add_nc_u32 v4, v125, v1
	;; [unrolled: 1-line block ×3, first 2 shown]
	s_delay_alu instid0(VALU_DEP_3) | instskip(NEXT) | instid1(VALU_DEP_3)
	v_lshrrev_b32_e32 v7, s21, v3
	v_lshrrev_b32_e32 v5, s21, v4
	v_dual_mov_b32 v203, 0xfeffffff :: v_dual_add_nc_u32 v10, v255, v10
	s_delay_alu instid0(VALU_DEP_4) | instskip(NEXT) | instid1(VALU_DEP_4)
	v_lshrrev_b32_e32 v8, s21, v8
	v_mul_lo_u32 v13, v7, s22
	s_delay_alu instid0(VALU_DEP_4) | instskip(NEXT) | instid1(VALU_DEP_4)
	v_mul_lo_u32 v12, v5, s22
	v_lshrrev_b32_e32 v10, s21, v10
	v_mul_lo_u32 v0, s4, v9
	v_mul_lo_u32 v8, v8, s22
	s_lshl_b32 s9, s4, 4
	v_dual_mov_b32 v144, v200 :: v_dual_mov_b32 v127, 0
	v_sub_nc_u32_e32 v13, v124, v13
	v_sub_nc_u32_e32 v12, v125, v12
	v_mul_lo_u32 v10, v10, s22
	v_dual_mov_b32 v133, 0 :: v_dual_add_nc_u32 v2, s9, v0
	s_delay_alu instid0(VALU_DEP_4)
	v_mul_lo_u32 v152, v13, s28
	v_dual_mov_b32 v136, 0 :: v_dual_add_nc_u32 v13, v254, v15
	v_mul_hi_u32 v15, s20, v24
	v_mul_lo_u32 v151, v12, s28
	v_dual_mov_b32 v199, 0xfeffffff :: v_dual_add_nc_u32 v12, v97, v14
	v_dual_mov_b32 v195, 0xfeffffff :: v_dual_add_nc_u32 v14, v25, v17
	v_sub_nc_u32_e32 v8, v122, v8
	s_delay_alu instid0(VALU_DEP_3) | instskip(SKIP_1) | instid1(VALU_DEP_4)
	v_lshrrev_b32_e32 v12, s21, v12
	v_dual_mov_b32 v138, 0 :: v_dual_add_nc_u32 v15, v24, v15
	v_lshrrev_b32_e32 v14, s21, v14
	v_mul_hi_u32 v17, s20, v23
	v_mul_lo_u32 v153, v8, s28
	s_delay_alu instid0(VALU_DEP_4)
	v_lshrrev_b32_e32 v8, s21, v15
	v_sub_nc_u32_e32 v10, v255, v10
	v_lshrrev_b32_e32 v13, s21, v13
	v_mul_lo_u32 v12, v12, s22
	v_mul_lo_u32 v14, v14, s22
	;; [unrolled: 1-line block ×5, first 2 shown]
	v_dual_mov_b32 v191, 0xfeffffff :: v_dual_add_nc_u32 v10, v23, v17
	v_mul_hi_u32 v15, s20, v22
	v_sub_nc_u32_e32 v12, v97, v12
	v_sub_nc_u32_e32 v14, v25, v14
	s_delay_alu instid0(VALU_DEP_4)
	v_lshrrev_b32_e32 v10, s21, v10
	v_mul_hi_u32 v17, s20, v21
	v_sub_nc_u32_e32 v8, v24, v8
	v_sub_nc_u32_e32 v13, v254, v13
	v_mul_lo_u32 v155, v12, s28
	v_dual_mov_b32 v183, 0xfeffffff :: v_dual_add_nc_u32 v12, v22, v15
	v_mul_lo_u32 v157, v14, s28
	v_mul_lo_u32 v10, v10, s22
	v_mul_hi_u32 v14, s20, v20
	v_mul_hi_u32 v15, s20, v19
	v_mul_lo_u32 v158, v8, s28
	v_mul_hi_u32 v8, s20, v18
	v_mul_lo_u32 v156, v13, s28
	v_dual_mov_b32 v140, 0 :: v_dual_add_nc_u32 v13, v21, v17
	v_lshrrev_b32_e32 v12, s21, v12
	v_mul_hi_u32 v17, s20, v219
	v_sub_nc_u32_e32 v10, v23, v10
	s_delay_alu instid0(VALU_DEP_4)
	v_lshrrev_b32_e32 v13, s21, v13
	v_dual_mov_b32 v177, 0xfeffffff :: v_dual_add_nc_u32 v14, v20, v14
	v_dual_mov_b32 v142, 0 :: v_dual_add_nc_u32 v15, v19, v15
	;; [unrolled: 1-line block ×3, first 2 shown]
	v_mul_lo_u32 v12, v12, s22
	v_mul_lo_u32 v159, v10, s28
	;; [unrolled: 1-line block ×3, first 2 shown]
	v_lshrrev_b32_e32 v13, s21, v14
	v_lshrrev_b32_e32 v14, s21, v15
	v_dual_mov_b32 v200, 0xfeffffff :: v_dual_add_nc_u32 v15, v219, v17
	v_lshrrev_b32_e32 v8, s21, v8
	v_sub_nc_u32_e32 v12, v22, v12
	v_mul_lo_u32 v13, v13, s22
	s_delay_alu instid0(VALU_DEP_4)
	v_lshrrev_b32_e32 v15, s21, v15
	v_dual_mov_b32 v135, 0 :: v_dual_add_nc_u32 v4, s9, v2
	v_mul_lo_u32 v17, v8, s22
	v_mul_lo_u32 v8, s10, v9
	s_ashr_i32 s5, s4, 31
	v_sub_nc_u32_e32 v10, v21, v10
	s_cmp_lg_u64 s[38:39], 0
	v_mul_lo_u32 v14, v14, s22
	v_mul_lo_u32 v160, v12, s28
	;; [unrolled: 1-line block ×3, first 2 shown]
	v_dual_mov_b32 v139, 0 :: v_dual_add_nc_u32 v6, s9, v4
	s_cselect_b32 s9, -1, 0
	s_lshl_b32 s11, s10, 4
	v_sub_nc_u32_e32 v13, v20, v13
	v_mul_lo_u32 v161, v10, s28
	s_wait_alu 0xfffe
	v_dual_mov_b32 v197, 0 :: v_dual_add_nc_u32 v10, s11, v8
	v_dual_mov_b32 v129, 0 :: v_dual_and_b32 v16, 28, v107
	v_sub_nc_u32_e32 v14, v19, v14
	v_mul_lo_u32 v162, v13, s28
	v_sub_nc_u32_e32 v13, v219, v12
	v_dual_mov_b32 v193, 0 :: v_dual_add_nc_u32 v12, s11, v10
	v_lshlrev_b32_e32 v11, 2, v16
	v_sub_nc_u32_e32 v15, v18, v17
	v_mul_lo_u32 v163, v14, s28
	s_delay_alu instid0(VALU_DEP_4)
	v_dual_mov_b32 v189, 0 :: v_dual_add_nc_u32 v14, s11, v12
	s_clause 0x5
	scratch_store_b32 off, v212, off offset:52
	scratch_store_b32 off, v211, off offset:48
	;; [unrolled: 1-line block ×6, first 2 shown]
	v_ashrrev_i32_e32 v1, 31, v0
	v_ashrrev_i32_e32 v3, 31, v2
	;; [unrolled: 1-line block ×4, first 2 shown]
	v_mul_lo_u32 v164, v15, s28
	v_mul_lo_u32 v166, v13, s28
	v_ashrrev_i32_e32 v13, 31, v12
	v_ashrrev_i32_e32 v15, 31, v14
	v_mov_b32_e32 v204, 0xfeffffff
	v_mad_u32_u24 v146, 0x90, v9, v11
	v_lshl_or_b32 v165, v9, 7, v11
	v_ashrrev_i32_e32 v9, 31, v8
	v_ashrrev_i32_e32 v11, 31, v10
	v_dual_mov_b32 v196, 0xfeffffff :: v_dual_lshlrev_b32 v17, 4, v100
	v_mul_lo_u32 v150, v123, s28
	v_lshlrev_b64_e32 v[56:57], 2, v[0:1]
	v_lshlrev_b64_e32 v[58:59], 2, v[2:3]
	;; [unrolled: 1-line block ×8, first 2 shown]
	v_dual_mov_b32 v128, 0 :: v_dual_add_nc_u32 v145, 0x4400, v106
	v_dual_mov_b32 v132, 0 :: v_dual_add_nc_u32 v147, 0x900, v146
	;; [unrolled: 1-line block ×7, first 2 shown]
	v_dual_mov_b32 v185, 0 :: v_dual_lshlrev_b32 v170, 2, v16
	v_dual_mov_b32 v192, 0xfeffffff :: v_dual_add_nc_u32 v171, v109, v17
	v_mbcnt_lo_u32_b32 v172, -1, 0
	v_dual_mov_b32 v188, 0xfeffffff :: v_dual_mov_b32 v181, 0
	v_dual_mov_b32 v186, 0xfeffffff :: v_dual_mov_b32 v179, 0
	;; [unrolled: 1-line block ×4, first 2 shown]
	v_mov_b32_e32 v178, 0xfeffffff
	v_mov_b32_e32 v176, 0xfeffffff
	;; [unrolled: 1-line block ×6, first 2 shown]
	s_ashr_i32 s11, s10, 31
	s_add_nc_u64 s[26:27], s[0:1], 0xd0
.LBB52_8:                               ; =>This Inner Loop Header: Depth=1
	s_ashr_i32 s15, s14, 31
	v_dual_mov_b32 v220, 0 :: v_dual_mov_b32 v219, 0
	s_wait_alu 0xfffe
	s_mul_u64 s[30:31], s[14:15], s[4:5]
	v_dual_mov_b32 v218, 0 :: v_dual_mov_b32 v217, 0
	s_wait_alu 0xfffe
	s_lshl_b64 s[30:31], s[30:31], 2
	v_dual_mov_b32 v216, 0 :: v_dual_mov_b32 v215, 0
	s_wait_alu 0xfffe
	s_add_nc_u64 s[30:31], s[6:7], s[30:31]
	v_dual_mov_b32 v214, 0 :: v_dual_mov_b32 v213, 0
	s_wait_alu 0xfffe
	v_add_co_u32 v0, vcc_lo, s30, v56
	s_wait_alu 0xfffd
	v_add_co_ci_u32_e64 v1, null, s31, v57, vcc_lo
	v_dual_mov_b32 v212, 0 :: v_dual_mov_b32 v211, 0
	s_delay_alu instid0(VALU_DEP_3) | instskip(SKIP_1) | instid1(VALU_DEP_3)
	v_add_co_u32 v0, vcc_lo, v0, v170
	s_wait_alu 0xfffd
	v_add_co_ci_u32_e64 v1, null, 0, v1, vcc_lo
	v_dual_mov_b32 v210, 0 :: v_dual_mov_b32 v209, 0
	v_dual_mov_b32 v208, 0 :: v_dual_mov_b32 v207, 0
	global_load_b128 v[0:3], v[0:1], off
	v_dual_mov_b32 v206, 0 :: v_dual_mov_b32 v205, 0
	s_wait_loadcnt 0x0
	ds_store_b128 v146, v[0:3]
	v_add_co_u32 v0, vcc_lo, s30, v58
	s_wait_alu 0xfffd
	v_add_co_ci_u32_e64 v1, null, s31, v59, vcc_lo
	s_delay_alu instid0(VALU_DEP_2) | instskip(SKIP_1) | instid1(VALU_DEP_2)
	v_add_co_u32 v0, vcc_lo, v0, v170
	s_wait_alu 0xfffd
	v_add_co_ci_u32_e64 v1, null, 0, v1, vcc_lo
	global_load_b128 v[0:3], v[0:1], off
	s_wait_loadcnt 0x0
	ds_store_b128 v147, v[0:3]
	v_add_co_u32 v0, vcc_lo, s30, v60
	s_wait_alu 0xfffd
	v_add_co_ci_u32_e64 v1, null, s31, v61, vcc_lo
	s_delay_alu instid0(VALU_DEP_2) | instskip(SKIP_1) | instid1(VALU_DEP_2)
	v_add_co_u32 v0, vcc_lo, v0, v170
	s_wait_alu 0xfffd
	v_add_co_ci_u32_e64 v1, null, 0, v1, vcc_lo
	global_load_b128 v[0:3], v[0:1], off
	s_wait_loadcnt 0x0
	ds_store_b128 v148, v[0:3]
	v_add_co_u32 v0, vcc_lo, s30, v62
	s_wait_alu 0xfffd
	v_add_co_ci_u32_e64 v1, null, s31, v63, vcc_lo
	s_delay_alu instid0(VALU_DEP_2) | instskip(SKIP_1) | instid1(VALU_DEP_2)
	v_add_co_u32 v0, vcc_lo, v0, v170
	s_wait_alu 0xfffd
	v_add_co_ci_u32_e64 v1, null, 0, v1, vcc_lo
	s_and_not1_b32 vcc_lo, exec_lo, s9
	global_load_b128 v[0:3], v[0:1], off
	s_wait_loadcnt 0x0
	ds_store_b128 v149, v[0:3]
	s_wait_storecnt_dscnt 0x0
	s_barrier_signal -1
	s_barrier_wait -1
	global_inv scope:SCOPE_SE
	ds_load_b128 v[221:224], v126
	ds_load_b128 v[0:3], v126 offset:4608
	ds_load_b128 v[225:228], v145
	ds_load_b128 v[229:232], v145 offset:128
	ds_load_b128 v[233:236], v145 offset:256
	;; [unrolled: 1-line block ×15, first 2 shown]
	s_wait_dscnt 0xf
	;;#ASMSTART
	v_dot2_f32_f16 v220, v221, v225, v220
	;;#ASMEND
	;;#ASMSTART
	v_dot2_f32_f16 v220, v222, v226, v220
	;;#ASMEND
	;;#ASMSTART
	v_dot2_f32_f16 v220, v223, v227, v220
	;;#ASMEND
	;;#ASMSTART
	v_dot2_f32_f16 v220, v224, v228, v220
	;;#ASMEND
	s_wait_dscnt 0xe
	;;#ASMSTART
	v_dot2_f32_f16 v219, v221, v229, v219
	;;#ASMEND
	;;#ASMSTART
	v_dot2_f32_f16 v219, v222, v230, v219
	;;#ASMEND
	;;#ASMSTART
	v_dot2_f32_f16 v219, v223, v231, v219
	;;#ASMEND
	;;#ASMSTART
	v_dot2_f32_f16 v219, v224, v232, v219
	;;#ASMEND
	;; [unrolled: 13-line block ×16, first 2 shown]
	v_dual_mov_b32 v224, 0 :: v_dual_mov_b32 v223, 0
	;;#ASMSTART
	v_dot2_f32_f16 v224, v0, v225, v224
	;;#ASMEND
	;;#ASMSTART
	v_dot2_f32_f16 v224, v1, v226, v224
	;;#ASMEND
	;; [unrolled: 3-line block ×7, first 2 shown]
	v_dual_mov_b32 v222, 0 :: v_dual_mov_b32 v221, 0
	;;#ASMSTART
	v_dot2_f32_f16 v223, v3, v232, v223
	;;#ASMEND
	;;#ASMSTART
	v_dot2_f32_f16 v222, v0, v233, v222
	;;#ASMEND
	;; [unrolled: 3-line block ×8, first 2 shown]
	v_mov_b32_e32 v52, 0
	;;#ASMSTART
	v_dot2_f32_f16 v221, v3, v55, v221
	;;#ASMEND
	;;#ASMSTART
	v_dot2_f32_f16 v52, v0, v48, v52
	;;#ASMEND
	;;#ASMSTART
	v_dot2_f32_f16 v52, v1, v49, v52
	;;#ASMEND
	;;#ASMSTART
	v_dot2_f32_f16 v52, v2, v50, v52
	;;#ASMEND
	v_mov_b32_e32 v48, 0
	;;#ASMSTART
	v_dot2_f32_f16 v52, v3, v51, v52
	;;#ASMEND
	;;#ASMSTART
	v_dot2_f32_f16 v48, v0, v44, v48
	;;#ASMEND
	;;#ASMSTART
	v_dot2_f32_f16 v48, v1, v45, v48
	;;#ASMEND
	;;#ASMSTART
	v_dot2_f32_f16 v48, v2, v46, v48
	;;#ASMEND
	;; [unrolled: 13-line block ×12, first 2 shown]
	;;#ASMSTART
	v_dot2_f32_f16 v8, v3, v7, v8
	;;#ASMEND
	ds_load_b128 v[4:7], v126 offset:16
	ds_load_b128 v[0:3], v126 offset:4624
	;; [unrolled: 1-line block ×18, first 2 shown]
	s_wait_dscnt 0xf
	;;#ASMSTART
	v_dot2_f32_f16 v220, v4, v225, v220
	;;#ASMEND
	;;#ASMSTART
	v_dot2_f32_f16 v220, v5, v226, v220
	;;#ASMEND
	;;#ASMSTART
	v_dot2_f32_f16 v220, v6, v227, v220
	;;#ASMEND
	;;#ASMSTART
	v_dot2_f32_f16 v220, v7, v228, v220
	;;#ASMEND
	s_wait_dscnt 0xe
	;;#ASMSTART
	v_dot2_f32_f16 v219, v4, v229, v219
	;;#ASMEND
	;;#ASMSTART
	v_dot2_f32_f16 v219, v5, v230, v219
	;;#ASMEND
	;;#ASMSTART
	v_dot2_f32_f16 v219, v6, v231, v219
	;;#ASMEND
	;;#ASMSTART
	v_dot2_f32_f16 v219, v7, v232, v219
	;;#ASMEND
	;; [unrolled: 13-line block ×16, first 2 shown]
	;;#ASMSTART
	v_dot2_f32_f16 v224, v0, v225, v224
	;;#ASMEND
	;;#ASMSTART
	v_dot2_f32_f16 v224, v1, v226, v224
	;;#ASMEND
	;; [unrolled: 3-line block ×64, first 2 shown]
	ds_load_b128 v[4:7], v126 offset:32
	ds_load_b128 v[0:3], v126 offset:4640
	;; [unrolled: 1-line block ×18, first 2 shown]
	s_wait_dscnt 0xf
	;;#ASMSTART
	v_dot2_f32_f16 v220, v4, v72, v220
	;;#ASMEND
	;;#ASMSTART
	v_dot2_f32_f16 v220, v5, v73, v220
	;;#ASMEND
	;;#ASMSTART
	v_dot2_f32_f16 v220, v6, v74, v220
	;;#ASMEND
	;;#ASMSTART
	v_dot2_f32_f16 v220, v7, v75, v220
	;;#ASMEND
	s_wait_dscnt 0xe
	;;#ASMSTART
	v_dot2_f32_f16 v219, v4, v76, v219
	;;#ASMEND
	;;#ASMSTART
	v_dot2_f32_f16 v219, v5, v77, v219
	;;#ASMEND
	;;#ASMSTART
	v_dot2_f32_f16 v219, v6, v78, v219
	;;#ASMEND
	;;#ASMSTART
	v_dot2_f32_f16 v219, v7, v79, v219
	;;#ASMEND
	;; [unrolled: 13-line block ×16, first 2 shown]
	;;#ASMSTART
	v_dot2_f32_f16 v224, v0, v72, v224
	;;#ASMEND
	;;#ASMSTART
	v_dot2_f32_f16 v224, v1, v73, v224
	;;#ASMEND
	;; [unrolled: 3-line block ×64, first 2 shown]
	ds_load_b128 v[4:7], v126 offset:48
	ds_load_b128 v[0:3], v126 offset:4656
	;; [unrolled: 1-line block ×18, first 2 shown]
	s_wait_dscnt 0xf
	;;#ASMSTART
	v_dot2_f32_f16 v220, v4, v72, v220
	;;#ASMEND
	;;#ASMSTART
	v_dot2_f32_f16 v220, v5, v73, v220
	;;#ASMEND
	;;#ASMSTART
	v_dot2_f32_f16 v220, v6, v74, v220
	;;#ASMEND
	;;#ASMSTART
	v_dot2_f32_f16 v220, v7, v75, v220
	;;#ASMEND
	s_wait_dscnt 0xe
	;;#ASMSTART
	v_dot2_f32_f16 v219, v4, v76, v219
	;;#ASMEND
	;;#ASMSTART
	v_dot2_f32_f16 v219, v5, v77, v219
	;;#ASMEND
	;;#ASMSTART
	v_dot2_f32_f16 v219, v6, v78, v219
	;;#ASMEND
	;;#ASMSTART
	v_dot2_f32_f16 v219, v7, v79, v219
	;;#ASMEND
	;; [unrolled: 13-line block ×16, first 2 shown]
	;;#ASMSTART
	v_dot2_f32_f16 v224, v0, v72, v224
	;;#ASMEND
	;;#ASMSTART
	v_dot2_f32_f16 v224, v1, v73, v224
	;;#ASMEND
	;; [unrolled: 3-line block ×64, first 2 shown]
	ds_load_b128 v[4:7], v126 offset:64
	ds_load_b128 v[0:3], v126 offset:4672
	;; [unrolled: 1-line block ×18, first 2 shown]
	s_wait_dscnt 0xf
	;;#ASMSTART
	v_dot2_f32_f16 v220, v4, v72, v220
	;;#ASMEND
	;;#ASMSTART
	v_dot2_f32_f16 v220, v5, v73, v220
	;;#ASMEND
	;;#ASMSTART
	v_dot2_f32_f16 v220, v6, v74, v220
	;;#ASMEND
	;;#ASMSTART
	v_dot2_f32_f16 v220, v7, v75, v220
	;;#ASMEND
	s_wait_dscnt 0xe
	;;#ASMSTART
	v_dot2_f32_f16 v219, v4, v76, v219
	;;#ASMEND
	;;#ASMSTART
	v_dot2_f32_f16 v219, v5, v77, v219
	;;#ASMEND
	;;#ASMSTART
	v_dot2_f32_f16 v219, v6, v78, v219
	;;#ASMEND
	;;#ASMSTART
	v_dot2_f32_f16 v219, v7, v79, v219
	;;#ASMEND
	;; [unrolled: 13-line block ×16, first 2 shown]
	;;#ASMSTART
	v_dot2_f32_f16 v224, v0, v72, v224
	;;#ASMEND
	;;#ASMSTART
	v_dot2_f32_f16 v224, v1, v73, v224
	;;#ASMEND
	;; [unrolled: 3-line block ×64, first 2 shown]
	ds_load_b128 v[0:3], v126 offset:80
	ds_load_b128 v[4:7], v126 offset:4688
	;; [unrolled: 1-line block ×18, first 2 shown]
	s_wait_dscnt 0xf
	;;#ASMSTART
	v_dot2_f32_f16 v220, v0, v72, v220
	;;#ASMEND
	;;#ASMSTART
	v_dot2_f32_f16 v220, v1, v73, v220
	;;#ASMEND
	;;#ASMSTART
	v_dot2_f32_f16 v220, v2, v74, v220
	;;#ASMEND
	;;#ASMSTART
	v_dot2_f32_f16 v220, v3, v75, v220
	;;#ASMEND
	s_wait_dscnt 0xe
	;;#ASMSTART
	v_dot2_f32_f16 v219, v0, v76, v219
	;;#ASMEND
	;;#ASMSTART
	v_dot2_f32_f16 v219, v1, v77, v219
	;;#ASMEND
	;;#ASMSTART
	v_dot2_f32_f16 v219, v2, v78, v219
	;;#ASMEND
	;;#ASMSTART
	v_dot2_f32_f16 v219, v3, v79, v219
	;;#ASMEND
	;; [unrolled: 13-line block ×16, first 2 shown]
	;;#ASMSTART
	v_dot2_f32_f16 v224, v4, v72, v224
	;;#ASMEND
	;;#ASMSTART
	v_dot2_f32_f16 v224, v5, v73, v224
	;;#ASMEND
	;; [unrolled: 3-line block ×64, first 2 shown]
	ds_load_b128 v[0:3], v126 offset:96
	ds_load_b128 v[4:7], v126 offset:4704
	;; [unrolled: 1-line block ×18, first 2 shown]
	s_wait_dscnt 0xf
	;;#ASMSTART
	v_dot2_f32_f16 v220, v0, v72, v220
	;;#ASMEND
	;;#ASMSTART
	v_dot2_f32_f16 v220, v1, v73, v220
	;;#ASMEND
	;;#ASMSTART
	v_dot2_f32_f16 v220, v2, v74, v220
	;;#ASMEND
	;;#ASMSTART
	v_dot2_f32_f16 v220, v3, v75, v220
	;;#ASMEND
	s_wait_dscnt 0xe
	;;#ASMSTART
	v_dot2_f32_f16 v219, v0, v76, v219
	;;#ASMEND
	;;#ASMSTART
	v_dot2_f32_f16 v219, v1, v77, v219
	;;#ASMEND
	;;#ASMSTART
	v_dot2_f32_f16 v219, v2, v78, v219
	;;#ASMEND
	;;#ASMSTART
	v_dot2_f32_f16 v219, v3, v79, v219
	;;#ASMEND
	;; [unrolled: 13-line block ×16, first 2 shown]
	;;#ASMSTART
	v_dot2_f32_f16 v224, v4, v72, v224
	;;#ASMEND
	;;#ASMSTART
	v_dot2_f32_f16 v224, v5, v73, v224
	;;#ASMEND
	;; [unrolled: 3-line block ×64, first 2 shown]
	ds_load_b128 v[0:3], v126 offset:112
	ds_load_b128 v[4:7], v126 offset:4720
	;; [unrolled: 1-line block ×18, first 2 shown]
	s_wait_dscnt 0xf
	;;#ASMSTART
	v_dot2_f32_f16 v220, v0, v72, v220
	;;#ASMEND
	;;#ASMSTART
	v_dot2_f32_f16 v220, v1, v73, v220
	;;#ASMEND
	;;#ASMSTART
	v_dot2_f32_f16 v220, v2, v74, v220
	;;#ASMEND
	;;#ASMSTART
	v_dot2_f32_f16 v220, v3, v75, v220
	;;#ASMEND
	s_wait_dscnt 0xe
	;;#ASMSTART
	v_dot2_f32_f16 v219, v0, v76, v219
	;;#ASMEND
	;;#ASMSTART
	v_dot2_f32_f16 v219, v1, v77, v219
	;;#ASMEND
	;;#ASMSTART
	v_dot2_f32_f16 v219, v2, v78, v219
	;;#ASMEND
	;;#ASMSTART
	v_dot2_f32_f16 v219, v3, v79, v219
	;;#ASMEND
	;; [unrolled: 13-line block ×16, first 2 shown]
	;;#ASMSTART
	v_dot2_f32_f16 v224, v4, v72, v224
	;;#ASMEND
	;;#ASMSTART
	v_dot2_f32_f16 v224, v5, v73, v224
	;;#ASMEND
	;; [unrolled: 3-line block ×45, first 2 shown]
	v_add_nc_u32_e32 v2, s14, v100
	;;#ASMSTART
	v_dot2_f32_f16 v24, v5, v234, v24
	;;#ASMEND
	;;#ASMSTART
	v_dot2_f32_f16 v24, v6, v235, v24
	;;#ASMEND
	;; [unrolled: 3-line block ×6, first 2 shown]
	v_add_nc_u32_e32 v0, v2, v150
	;;#ASMSTART
	v_dot2_f32_f16 v20, v7, v240, v20
	;;#ASMEND
	;;#ASMSTART
	v_dot2_f32_f16 v16, v4, v241, v16
	;;#ASMEND
	;; [unrolled: 3-line block ×7, first 2 shown]
	v_ashrrev_i32_e32 v1, 31, v0
	v_mov_b32_e32 v3, 0
	;;#ASMSTART
	v_dot2_f32_f16 v12, v6, v247, v12
	;;#ASMEND
	;;#ASMSTART
	v_dot2_f32_f16 v12, v7, v248, v12
	;;#ASMEND
	;; [unrolled: 3-line block ×6, first 2 shown]
	s_wait_alu 0xfffe
	s_cbranch_vccnz .LBB52_10
; %bb.9:                                ;   in Loop: Header=BB52_8 Depth=1
	v_lshlrev_b64_e32 v[3:4], 1, v[0:1]
	s_delay_alu instid0(VALU_DEP_1) | instskip(SKIP_1) | instid1(VALU_DEP_2)
	v_add_co_u32 v3, vcc_lo, s38, v3
	s_wait_alu 0xfffd
	v_add_co_ci_u32_e64 v4, null, s39, v4, vcc_lo
	global_load_u16 v3, v[3:4], off
	s_wait_loadcnt 0x0
	v_cvt_f32_f16_e32 v3, v3
	s_delay_alu instid0(VALU_DEP_1)
	v_mul_f32_e32 v3, v108, v3
.LBB52_10:                              ;   in Loop: Header=BB52_8 Depth=1
	v_dual_mov_b32 v4, 0 :: v_dual_mov_b32 v5, 0
	s_and_not1_b32 vcc_lo, exec_lo, s9
	s_wait_alu 0xfffe
	s_cbranch_vccnz .LBB52_12
; %bb.11:                               ;   in Loop: Header=BB52_8 Depth=1
	v_lshlrev_b64_e32 v[0:1], 1, v[0:1]
	s_delay_alu instid0(VALU_DEP_1) | instskip(SKIP_1) | instid1(VALU_DEP_2)
	v_add_co_u32 v0, vcc_lo, s38, v0
	s_wait_alu 0xfffd
	v_add_co_ci_u32_e64 v1, null, s39, v1, vcc_lo
	global_load_u16 v0, v[0:1], off offset:64
	s_wait_loadcnt 0x0
	v_cvt_f32_f16_e32 v0, v0
	s_delay_alu instid0(VALU_DEP_1)
	v_mul_f32_e32 v5, v108, v0
.LBB52_12:                              ;   in Loop: Header=BB52_8 Depth=1
	v_xor_b32_e32 v0, 16, v172
	v_add_f32_e32 v34, v220, v3
	s_delay_alu instid0(VALU_DEP_2) | instskip(SKIP_1) | instid1(VALU_DEP_2)
	v_cmp_gt_i32_e32 vcc_lo, 32, v0
	s_wait_alu 0xfffd
	v_dual_add_f32 v1, 0x40051340, v34 :: v_dual_cndmask_b32 v0, v172, v0
	s_delay_alu instid0(VALU_DEP_1) | instskip(NEXT) | instid1(VALU_DEP_1)
	v_dual_add_f32 v51, v224, v5 :: v_dual_lshlrev_b32 v18, 2, v0
	v_add_f32_e32 v3, 0x40051340, v51
	s_delay_alu instid0(VALU_DEP_1)
	v_max3_num_f32 v0, v204, v1, v3
	v_xor_b32_e32 v3, 8, v172
	ds_bpermute_b32 v1, v18, v0
	v_cmp_gt_i32_e32 vcc_lo, 32, v3
	s_wait_alu 0xfffd
	v_cndmask_b32_e32 v3, v172, v3, vcc_lo
	s_wait_dscnt 0x0
	v_max_num_f32_e32 v1, v1, v1
	s_delay_alu instid0(VALU_DEP_1)
	v_dual_max_num_f32 v0, v0, v1 :: v_dual_lshlrev_b32 v17, 2, v3
	v_xor_b32_e32 v3, 4, v172
	ds_bpermute_b32 v1, v17, v0
	v_cmp_gt_i32_e32 vcc_lo, 32, v3
	s_wait_alu 0xfffd
	v_cndmask_b32_e32 v3, v172, v3, vcc_lo
	s_delay_alu instid0(VALU_DEP_1) | instskip(SKIP_1) | instid1(VALU_DEP_1)
	v_lshlrev_b32_e32 v33, 2, v3
	v_xor_b32_e32 v3, 2, v172
	v_cmp_gt_i32_e32 vcc_lo, 32, v3
	s_wait_alu 0xfffd
	v_cndmask_b32_e32 v3, v172, v3, vcc_lo
	s_delay_alu instid0(VALU_DEP_1) | instskip(SKIP_1) | instid1(VALU_DEP_1)
	v_lshlrev_b32_e32 v31, 2, v3
	v_xor_b32_e32 v3, 1, v172
	v_cmp_gt_i32_e32 vcc_lo, 32, v3
	s_wait_alu 0xfffd
	v_cndmask_b32_e32 v3, v172, v3, vcc_lo
	s_wait_dscnt 0x0
	v_max_num_f32_e32 v1, v1, v1
	s_and_not1_b32 vcc_lo, exec_lo, s9
	s_delay_alu instid0(VALU_DEP_2) | instskip(NEXT) | instid1(VALU_DEP_2)
	v_lshlrev_b32_e32 v14, 2, v3
	v_max_num_f32_e32 v0, v0, v1
	ds_bpermute_b32 v1, v33, v0
	s_wait_dscnt 0x0
	v_max_num_f32_e32 v1, v1, v1
	s_delay_alu instid0(VALU_DEP_1) | instskip(SKIP_3) | instid1(VALU_DEP_1)
	v_max_num_f32_e32 v0, v0, v1
	ds_bpermute_b32 v1, v31, v0
	s_wait_dscnt 0x0
	v_max_num_f32_e32 v1, v1, v1
	v_dual_max_num_f32 v19, v0, v1 :: v_dual_add_nc_u32 v0, v2, v151
	ds_bpermute_b32 v21, v14, v19
	v_ashrrev_i32_e32 v1, 31, v0
	s_wait_alu 0xfffe
	s_cbranch_vccnz .LBB52_14
; %bb.13:                               ;   in Loop: Header=BB52_8 Depth=1
	s_delay_alu instid0(VALU_DEP_1) | instskip(NEXT) | instid1(VALU_DEP_1)
	v_lshlrev_b64_e32 v[3:4], 1, v[0:1]
	v_add_co_u32 v3, vcc_lo, s38, v3
	s_wait_alu 0xfffd
	s_delay_alu instid0(VALU_DEP_2) | instskip(SKIP_3) | instid1(VALU_DEP_1)
	v_add_co_ci_u32_e64 v4, null, s39, v4, vcc_lo
	global_load_u16 v3, v[3:4], off
	s_wait_loadcnt 0x0
	v_cvt_f32_f16_e32 v3, v3
	v_mul_f32_e32 v4, v108, v3
.LBB52_14:                              ;   in Loop: Header=BB52_8 Depth=1
	v_mov_b32_e32 v3, 0
	v_mov_b32_e32 v5, 0
	s_and_not1_b32 vcc_lo, exec_lo, s9
	s_wait_alu 0xfffe
	s_cbranch_vccnz .LBB52_16
; %bb.15:                               ;   in Loop: Header=BB52_8 Depth=1
	v_lshlrev_b64_e32 v[0:1], 1, v[0:1]
	s_delay_alu instid0(VALU_DEP_1) | instskip(SKIP_1) | instid1(VALU_DEP_2)
	v_add_co_u32 v0, vcc_lo, s38, v0
	s_wait_alu 0xfffd
	v_add_co_ci_u32_e64 v1, null, s39, v1, vcc_lo
	global_load_u16 v0, v[0:1], off offset:64
	s_wait_loadcnt 0x0
	v_cvt_f32_f16_e32 v0, v0
	s_delay_alu instid0(VALU_DEP_1)
	v_mul_f32_e32 v5, v108, v0
.LBB52_16:                              ;   in Loop: Header=BB52_8 Depth=1
	v_add_f32_e32 v55, v219, v4
	s_delay_alu instid0(VALU_DEP_2) | instskip(SKIP_1) | instid1(VALU_DEP_1)
	v_add_f32_e32 v53, v223, v5
	s_and_not1_b32 vcc_lo, exec_lo, s9
	v_dual_add_f32 v0, 0x40051340, v55 :: v_dual_add_f32 v1, 0x40051340, v53
	s_delay_alu instid0(VALU_DEP_1) | instskip(SKIP_3) | instid1(VALU_DEP_1)
	v_max3_num_f32 v0, v203, v0, v1
	ds_bpermute_b32 v1, v18, v0
	s_wait_dscnt 0x0
	v_max_num_f32_e32 v1, v1, v1
	v_max_num_f32_e32 v0, v0, v1
	ds_bpermute_b32 v1, v17, v0
	s_wait_dscnt 0x0
	v_max_num_f32_e32 v1, v1, v1
	s_delay_alu instid0(VALU_DEP_1) | instskip(SKIP_3) | instid1(VALU_DEP_1)
	v_max_num_f32_e32 v0, v0, v1
	ds_bpermute_b32 v1, v33, v0
	s_wait_dscnt 0x0
	v_max_num_f32_e32 v1, v1, v1
	v_max_num_f32_e32 v0, v0, v1
	ds_bpermute_b32 v1, v31, v0
	s_wait_dscnt 0x0
	v_max_num_f32_e32 v1, v1, v1
	s_delay_alu instid0(VALU_DEP_1)
	v_max_num_f32_e32 v22, v0, v1
	v_add_nc_u32_e32 v0, v2, v152
	ds_bpermute_b32 v23, v14, v22
	v_ashrrev_i32_e32 v1, 31, v0
	s_wait_alu 0xfffe
	s_cbranch_vccnz .LBB52_18
; %bb.17:                               ;   in Loop: Header=BB52_8 Depth=1
	s_delay_alu instid0(VALU_DEP_1) | instskip(NEXT) | instid1(VALU_DEP_1)
	v_lshlrev_b64_e32 v[3:4], 1, v[0:1]
	v_add_co_u32 v3, vcc_lo, s38, v3
	s_wait_alu 0xfffd
	s_delay_alu instid0(VALU_DEP_2) | instskip(SKIP_3) | instid1(VALU_DEP_1)
	v_add_co_ci_u32_e64 v4, null, s39, v4, vcc_lo
	global_load_u16 v3, v[3:4], off
	s_wait_loadcnt 0x0
	v_cvt_f32_f16_e32 v3, v3
	v_mul_f32_e32 v3, v108, v3
.LBB52_18:                              ;   in Loop: Header=BB52_8 Depth=1
	v_dual_mov_b32 v4, 0 :: v_dual_mov_b32 v5, 0
	s_and_not1_b32 vcc_lo, exec_lo, s9
	s_wait_alu 0xfffe
	s_cbranch_vccnz .LBB52_20
; %bb.19:                               ;   in Loop: Header=BB52_8 Depth=1
	v_lshlrev_b64_e32 v[0:1], 1, v[0:1]
	s_delay_alu instid0(VALU_DEP_1) | instskip(SKIP_1) | instid1(VALU_DEP_2)
	v_add_co_u32 v0, vcc_lo, s38, v0
	s_wait_alu 0xfffd
	v_add_co_ci_u32_e64 v1, null, s39, v1, vcc_lo
	global_load_u16 v0, v[0:1], off offset:64
	s_wait_loadcnt 0x0
	v_cvt_f32_f16_e32 v0, v0
	s_delay_alu instid0(VALU_DEP_1)
	v_mul_f32_e32 v5, v108, v0
.LBB52_20:                              ;   in Loop: Header=BB52_8 Depth=1
	s_delay_alu instid0(VALU_DEP_1) | instskip(SKIP_2) | instid1(VALU_DEP_2)
	v_add_f32_e32 v54, v222, v5
	v_add_f32_e32 v218, v218, v3
	s_and_not1_b32 vcc_lo, exec_lo, s9
	v_add_f32_e32 v1, 0x40051340, v54
	s_delay_alu instid0(VALU_DEP_2) | instskip(NEXT) | instid1(VALU_DEP_1)
	v_add_f32_e32 v0, 0x40051340, v218
	v_max3_num_f32 v0, v200, v0, v1
	ds_bpermute_b32 v1, v18, v0
	s_wait_dscnt 0x0
	v_max_num_f32_e32 v1, v1, v1
	s_delay_alu instid0(VALU_DEP_1) | instskip(SKIP_3) | instid1(VALU_DEP_1)
	v_max_num_f32_e32 v0, v0, v1
	ds_bpermute_b32 v1, v17, v0
	s_wait_dscnt 0x0
	v_max_num_f32_e32 v1, v1, v1
	v_max_num_f32_e32 v0, v0, v1
	ds_bpermute_b32 v1, v33, v0
	s_wait_dscnt 0x0
	v_max_num_f32_e32 v1, v1, v1
	s_delay_alu instid0(VALU_DEP_1) | instskip(SKIP_3) | instid1(VALU_DEP_1)
	v_max_num_f32_e32 v0, v0, v1
	ds_bpermute_b32 v1, v31, v0
	s_wait_dscnt 0x0
	v_max_num_f32_e32 v1, v1, v1
	v_max_num_f32_e32 v25, v0, v1
	v_add_nc_u32_e32 v0, v2, v153
	ds_bpermute_b32 v26, v14, v25
	v_ashrrev_i32_e32 v1, 31, v0
	s_wait_alu 0xfffe
	s_cbranch_vccnz .LBB52_22
; %bb.21:                               ;   in Loop: Header=BB52_8 Depth=1
	s_delay_alu instid0(VALU_DEP_1) | instskip(NEXT) | instid1(VALU_DEP_1)
	v_lshlrev_b64_e32 v[3:4], 1, v[0:1]
	v_add_co_u32 v3, vcc_lo, s38, v3
	s_wait_alu 0xfffd
	s_delay_alu instid0(VALU_DEP_2) | instskip(SKIP_3) | instid1(VALU_DEP_1)
	v_add_co_ci_u32_e64 v4, null, s39, v4, vcc_lo
	global_load_u16 v3, v[3:4], off
	s_wait_loadcnt 0x0
	v_cvt_f32_f16_e32 v3, v3
	v_mul_f32_e32 v4, v108, v3
.LBB52_22:                              ;   in Loop: Header=BB52_8 Depth=1
	v_mov_b32_e32 v3, 0
	v_mov_b32_e32 v5, 0
	s_and_not1_b32 vcc_lo, exec_lo, s9
	s_wait_alu 0xfffe
	s_cbranch_vccnz .LBB52_24
; %bb.23:                               ;   in Loop: Header=BB52_8 Depth=1
	v_lshlrev_b64_e32 v[0:1], 1, v[0:1]
	s_delay_alu instid0(VALU_DEP_1) | instskip(SKIP_1) | instid1(VALU_DEP_2)
	v_add_co_u32 v0, vcc_lo, s38, v0
	s_wait_alu 0xfffd
	v_add_co_ci_u32_e64 v1, null, s39, v1, vcc_lo
	global_load_u16 v0, v[0:1], off offset:64
	s_wait_loadcnt 0x0
	v_cvt_f32_f16_e32 v0, v0
	s_delay_alu instid0(VALU_DEP_1)
	v_mul_f32_e32 v5, v108, v0
.LBB52_24:                              ;   in Loop: Header=BB52_8 Depth=1
	v_add_f32_e32 v35, v217, v4
	s_delay_alu instid0(VALU_DEP_2) | instskip(SKIP_1) | instid1(VALU_DEP_1)
	v_add_f32_e32 v50, v221, v5
	s_and_not1_b32 vcc_lo, exec_lo, s9
	v_dual_add_f32 v0, 0x40051340, v35 :: v_dual_add_f32 v1, 0x40051340, v50
	s_delay_alu instid0(VALU_DEP_1) | instskip(SKIP_3) | instid1(VALU_DEP_1)
	v_max3_num_f32 v0, v199, v0, v1
	ds_bpermute_b32 v1, v18, v0
	s_wait_dscnt 0x0
	v_max_num_f32_e32 v1, v1, v1
	v_max_num_f32_e32 v0, v0, v1
	ds_bpermute_b32 v1, v17, v0
	s_wait_dscnt 0x0
	v_max_num_f32_e32 v1, v1, v1
	s_delay_alu instid0(VALU_DEP_1) | instskip(SKIP_3) | instid1(VALU_DEP_1)
	v_max_num_f32_e32 v0, v0, v1
	ds_bpermute_b32 v1, v33, v0
	s_wait_dscnt 0x0
	v_max_num_f32_e32 v1, v1, v1
	v_max_num_f32_e32 v0, v0, v1
	ds_bpermute_b32 v1, v31, v0
	s_wait_dscnt 0x0
	v_max_num_f32_e32 v1, v1, v1
	s_delay_alu instid0(VALU_DEP_1)
	v_dual_max_num_f32 v27, v0, v1 :: v_dual_add_nc_u32 v0, v2, v154
	ds_bpermute_b32 v29, v14, v27
	v_ashrrev_i32_e32 v1, 31, v0
	s_wait_alu 0xfffe
	s_cbranch_vccnz .LBB52_26
; %bb.25:                               ;   in Loop: Header=BB52_8 Depth=1
	s_delay_alu instid0(VALU_DEP_1) | instskip(NEXT) | instid1(VALU_DEP_1)
	v_lshlrev_b64_e32 v[3:4], 1, v[0:1]
	v_add_co_u32 v3, vcc_lo, s38, v3
	s_wait_alu 0xfffd
	s_delay_alu instid0(VALU_DEP_2) | instskip(SKIP_3) | instid1(VALU_DEP_1)
	v_add_co_ci_u32_e64 v4, null, s39, v4, vcc_lo
	global_load_u16 v3, v[3:4], off
	s_wait_loadcnt 0x0
	v_cvt_f32_f16_e32 v3, v3
	v_mul_f32_e32 v3, v108, v3
.LBB52_26:                              ;   in Loop: Header=BB52_8 Depth=1
	v_dual_mov_b32 v4, 0 :: v_dual_mov_b32 v5, 0
	s_and_not1_b32 vcc_lo, exec_lo, s9
	s_wait_alu 0xfffe
	s_cbranch_vccnz .LBB52_28
; %bb.27:                               ;   in Loop: Header=BB52_8 Depth=1
	v_lshlrev_b64_e32 v[0:1], 1, v[0:1]
	s_delay_alu instid0(VALU_DEP_1) | instskip(SKIP_1) | instid1(VALU_DEP_2)
	v_add_co_u32 v0, vcc_lo, s38, v0
	s_wait_alu 0xfffd
	v_add_co_ci_u32_e64 v1, null, s39, v1, vcc_lo
	global_load_u16 v0, v[0:1], off offset:64
	s_wait_loadcnt 0x0
	v_cvt_f32_f16_e32 v0, v0
	s_delay_alu instid0(VALU_DEP_1)
	v_mul_f32_e32 v5, v108, v0
.LBB52_28:                              ;   in Loop: Header=BB52_8 Depth=1
	v_add_f32_e32 v49, v216, v3
	s_delay_alu instid0(VALU_DEP_2) | instskip(SKIP_1) | instid1(VALU_DEP_1)
	v_add_f32_e32 v47, v52, v5
	s_and_not1_b32 vcc_lo, exec_lo, s9
	v_dual_add_f32 v0, 0x40051340, v49 :: v_dual_add_f32 v1, 0x40051340, v47
	s_delay_alu instid0(VALU_DEP_1) | instskip(SKIP_3) | instid1(VALU_DEP_1)
	v_max3_num_f32 v0, v196, v0, v1
	ds_bpermute_b32 v1, v18, v0
	s_wait_dscnt 0x0
	v_max_num_f32_e32 v1, v1, v1
	v_max_num_f32_e32 v0, v0, v1
	ds_bpermute_b32 v1, v17, v0
	s_wait_dscnt 0x0
	v_max_num_f32_e32 v1, v1, v1
	s_delay_alu instid0(VALU_DEP_1) | instskip(SKIP_3) | instid1(VALU_DEP_1)
	v_max_num_f32_e32 v0, v0, v1
	ds_bpermute_b32 v1, v33, v0
	s_wait_dscnt 0x0
	v_max_num_f32_e32 v1, v1, v1
	v_max_num_f32_e32 v0, v0, v1
	ds_bpermute_b32 v1, v31, v0
	s_wait_dscnt 0x0
	v_max_num_f32_e32 v1, v1, v1
	s_delay_alu instid0(VALU_DEP_1)
	v_max_num_f32_e32 v30, v0, v1
	v_add_nc_u32_e32 v0, v2, v155
	ds_bpermute_b32 v52, v14, v30
	v_ashrrev_i32_e32 v1, 31, v0
	s_wait_alu 0xfffe
	s_cbranch_vccnz .LBB52_30
; %bb.29:                               ;   in Loop: Header=BB52_8 Depth=1
	s_delay_alu instid0(VALU_DEP_1) | instskip(NEXT) | instid1(VALU_DEP_1)
	v_lshlrev_b64_e32 v[3:4], 1, v[0:1]
	v_add_co_u32 v3, vcc_lo, s38, v3
	s_wait_alu 0xfffd
	s_delay_alu instid0(VALU_DEP_2) | instskip(SKIP_3) | instid1(VALU_DEP_1)
	v_add_co_ci_u32_e64 v4, null, s39, v4, vcc_lo
	global_load_u16 v3, v[3:4], off
	s_wait_loadcnt 0x0
	v_cvt_f32_f16_e32 v3, v3
	v_mul_f32_e32 v4, v108, v3
.LBB52_30:                              ;   in Loop: Header=BB52_8 Depth=1
	v_mov_b32_e32 v3, 0
	v_mov_b32_e32 v5, 0
	s_and_not1_b32 vcc_lo, exec_lo, s9
	s_wait_alu 0xfffe
	s_cbranch_vccnz .LBB52_32
; %bb.31:                               ;   in Loop: Header=BB52_8 Depth=1
	v_lshlrev_b64_e32 v[0:1], 1, v[0:1]
	s_delay_alu instid0(VALU_DEP_1) | instskip(SKIP_1) | instid1(VALU_DEP_2)
	v_add_co_u32 v0, vcc_lo, s38, v0
	s_wait_alu 0xfffd
	v_add_co_ci_u32_e64 v1, null, s39, v1, vcc_lo
	global_load_u16 v0, v[0:1], off offset:64
	s_wait_loadcnt 0x0
	v_cvt_f32_f16_e32 v0, v0
	s_delay_alu instid0(VALU_DEP_1)
	v_mul_f32_e32 v5, v108, v0
.LBB52_32:                              ;   in Loop: Header=BB52_8 Depth=1
	s_delay_alu instid0(VALU_DEP_1) | instskip(SKIP_1) | instid1(VALU_DEP_1)
	v_dual_add_f32 v46, v215, v4 :: v_dual_add_f32 v37, v48, v5
	s_and_not1_b32 vcc_lo, exec_lo, s9
	v_dual_add_f32 v0, 0x40051340, v46 :: v_dual_add_f32 v1, 0x40051340, v37
	s_delay_alu instid0(VALU_DEP_1) | instskip(SKIP_3) | instid1(VALU_DEP_1)
	v_max3_num_f32 v0, v195, v0, v1
	ds_bpermute_b32 v1, v18, v0
	s_wait_dscnt 0x0
	v_max_num_f32_e32 v1, v1, v1
	v_max_num_f32_e32 v0, v0, v1
	ds_bpermute_b32 v1, v17, v0
	s_wait_dscnt 0x0
	v_max_num_f32_e32 v1, v1, v1
	s_delay_alu instid0(VALU_DEP_1) | instskip(SKIP_3) | instid1(VALU_DEP_1)
	v_max_num_f32_e32 v0, v0, v1
	ds_bpermute_b32 v1, v33, v0
	s_wait_dscnt 0x0
	v_max_num_f32_e32 v1, v1, v1
	v_max_num_f32_e32 v0, v0, v1
	ds_bpermute_b32 v1, v31, v0
	s_wait_dscnt 0x0
	v_max_num_f32_e32 v1, v1, v1
	s_delay_alu instid0(VALU_DEP_1)
	v_max_num_f32_e32 v48, v0, v1
	v_add_nc_u32_e32 v0, v2, v156
	ds_bpermute_b32 v215, v14, v48
	v_ashrrev_i32_e32 v1, 31, v0
	s_wait_alu 0xfffe
	s_cbranch_vccnz .LBB52_34
; %bb.33:                               ;   in Loop: Header=BB52_8 Depth=1
	s_delay_alu instid0(VALU_DEP_1) | instskip(NEXT) | instid1(VALU_DEP_1)
	v_lshlrev_b64_e32 v[3:4], 1, v[0:1]
	v_add_co_u32 v3, vcc_lo, s38, v3
	s_wait_alu 0xfffd
	s_delay_alu instid0(VALU_DEP_2) | instskip(SKIP_3) | instid1(VALU_DEP_1)
	v_add_co_ci_u32_e64 v4, null, s39, v4, vcc_lo
	global_load_u16 v3, v[3:4], off
	s_wait_loadcnt 0x0
	v_cvt_f32_f16_e32 v3, v3
	v_mul_f32_e32 v3, v108, v3
.LBB52_34:                              ;   in Loop: Header=BB52_8 Depth=1
	v_dual_mov_b32 v4, 0 :: v_dual_mov_b32 v5, 0
	s_and_not1_b32 vcc_lo, exec_lo, s9
	s_wait_alu 0xfffe
	s_cbranch_vccnz .LBB52_36
; %bb.35:                               ;   in Loop: Header=BB52_8 Depth=1
	v_lshlrev_b64_e32 v[0:1], 1, v[0:1]
	s_delay_alu instid0(VALU_DEP_1) | instskip(SKIP_1) | instid1(VALU_DEP_2)
	v_add_co_u32 v0, vcc_lo, s38, v0
	s_wait_alu 0xfffd
	v_add_co_ci_u32_e64 v1, null, s39, v1, vcc_lo
	global_load_u16 v0, v[0:1], off offset:64
	s_wait_loadcnt 0x0
	v_cvt_f32_f16_e32 v0, v0
	s_delay_alu instid0(VALU_DEP_1)
	v_mul_f32_e32 v5, v108, v0
.LBB52_36:                              ;   in Loop: Header=BB52_8 Depth=1
	s_delay_alu instid0(VALU_DEP_1) | instskip(SKIP_1) | instid1(VALU_DEP_1)
	v_dual_add_f32 v45, v214, v3 :: v_dual_add_f32 v38, v44, v5
	s_and_not1_b32 vcc_lo, exec_lo, s9
	v_dual_add_f32 v0, 0x40051340, v45 :: v_dual_add_f32 v1, 0x40051340, v38
	s_delay_alu instid0(VALU_DEP_1) | instskip(SKIP_3) | instid1(VALU_DEP_1)
	v_max3_num_f32 v0, v192, v0, v1
	ds_bpermute_b32 v1, v18, v0
	s_wait_dscnt 0x0
	v_max_num_f32_e32 v1, v1, v1
	v_max_num_f32_e32 v0, v0, v1
	ds_bpermute_b32 v1, v17, v0
	s_wait_dscnt 0x0
	v_max_num_f32_e32 v1, v1, v1
	s_delay_alu instid0(VALU_DEP_1) | instskip(SKIP_3) | instid1(VALU_DEP_1)
	v_max_num_f32_e32 v0, v0, v1
	ds_bpermute_b32 v1, v33, v0
	s_wait_dscnt 0x0
	v_max_num_f32_e32 v1, v1, v1
	v_max_num_f32_e32 v0, v0, v1
	ds_bpermute_b32 v1, v31, v0
	s_wait_dscnt 0x0
	v_max_num_f32_e32 v1, v1, v1
	s_delay_alu instid0(VALU_DEP_1)
	v_max_num_f32_e32 v44, v0, v1
	v_add_nc_u32_e32 v0, v2, v157
	ds_bpermute_b32 v214, v14, v44
	v_ashrrev_i32_e32 v1, 31, v0
	s_wait_alu 0xfffe
	s_cbranch_vccnz .LBB52_38
; %bb.37:                               ;   in Loop: Header=BB52_8 Depth=1
	s_delay_alu instid0(VALU_DEP_1) | instskip(NEXT) | instid1(VALU_DEP_1)
	v_lshlrev_b64_e32 v[3:4], 1, v[0:1]
	v_add_co_u32 v3, vcc_lo, s38, v3
	s_wait_alu 0xfffd
	s_delay_alu instid0(VALU_DEP_2) | instskip(SKIP_3) | instid1(VALU_DEP_1)
	v_add_co_ci_u32_e64 v4, null, s39, v4, vcc_lo
	global_load_u16 v3, v[3:4], off
	s_wait_loadcnt 0x0
	v_cvt_f32_f16_e32 v3, v3
	v_mul_f32_e32 v4, v108, v3
.LBB52_38:                              ;   in Loop: Header=BB52_8 Depth=1
	v_mov_b32_e32 v3, 0
	v_mov_b32_e32 v5, 0
	s_and_not1_b32 vcc_lo, exec_lo, s9
	s_wait_alu 0xfffe
	s_cbranch_vccnz .LBB52_40
; %bb.39:                               ;   in Loop: Header=BB52_8 Depth=1
	v_lshlrev_b64_e32 v[0:1], 1, v[0:1]
	s_delay_alu instid0(VALU_DEP_1) | instskip(SKIP_1) | instid1(VALU_DEP_2)
	v_add_co_u32 v0, vcc_lo, s38, v0
	s_wait_alu 0xfffd
	v_add_co_ci_u32_e64 v1, null, s39, v1, vcc_lo
	global_load_u16 v0, v[0:1], off offset:64
	s_wait_loadcnt 0x0
	v_cvt_f32_f16_e32 v0, v0
	s_delay_alu instid0(VALU_DEP_1)
	v_mul_f32_e32 v5, v108, v0
.LBB52_40:                              ;   in Loop: Header=BB52_8 Depth=1
	v_add_f32_e32 v39, v213, v4
	s_delay_alu instid0(VALU_DEP_2) | instskip(SKIP_1) | instid1(VALU_DEP_2)
	v_add_f32_e32 v43, v40, v5
	s_and_not1_b32 vcc_lo, exec_lo, s9
	v_add_f32_e32 v0, 0x40051340, v39
	s_delay_alu instid0(VALU_DEP_2) | instskip(NEXT) | instid1(VALU_DEP_1)
	v_add_f32_e32 v1, 0x40051340, v43
	v_max3_num_f32 v0, v191, v0, v1
	ds_bpermute_b32 v1, v18, v0
	s_wait_dscnt 0x0
	v_max_num_f32_e32 v1, v1, v1
	s_delay_alu instid0(VALU_DEP_1) | instskip(SKIP_3) | instid1(VALU_DEP_1)
	v_max_num_f32_e32 v0, v0, v1
	ds_bpermute_b32 v1, v17, v0
	s_wait_dscnt 0x0
	v_max_num_f32_e32 v1, v1, v1
	v_max_num_f32_e32 v0, v0, v1
	ds_bpermute_b32 v1, v33, v0
	s_wait_dscnt 0x0
	v_max_num_f32_e32 v1, v1, v1
	s_delay_alu instid0(VALU_DEP_1) | instskip(SKIP_3) | instid1(VALU_DEP_1)
	v_max_num_f32_e32 v0, v0, v1
	ds_bpermute_b32 v1, v31, v0
	s_wait_dscnt 0x0
	v_max_num_f32_e32 v1, v1, v1
	v_dual_max_num_f32 v213, v0, v1 :: v_dual_add_nc_u32 v0, v2, v158
	ds_bpermute_b32 v216, v14, v213
	v_ashrrev_i32_e32 v1, 31, v0
	s_wait_alu 0xfffe
	s_cbranch_vccnz .LBB52_42
; %bb.41:                               ;   in Loop: Header=BB52_8 Depth=1
	s_delay_alu instid0(VALU_DEP_1) | instskip(NEXT) | instid1(VALU_DEP_1)
	v_lshlrev_b64_e32 v[3:4], 1, v[0:1]
	v_add_co_u32 v3, vcc_lo, s38, v3
	s_wait_alu 0xfffd
	s_delay_alu instid0(VALU_DEP_2) | instskip(SKIP_3) | instid1(VALU_DEP_1)
	v_add_co_ci_u32_e64 v4, null, s39, v4, vcc_lo
	global_load_u16 v3, v[3:4], off
	s_wait_loadcnt 0x0
	v_cvt_f32_f16_e32 v3, v3
	v_mul_f32_e32 v3, v108, v3
.LBB52_42:                              ;   in Loop: Header=BB52_8 Depth=1
	v_dual_mov_b32 v4, 0 :: v_dual_mov_b32 v5, 0
	s_and_not1_b32 vcc_lo, exec_lo, s9
	s_wait_alu 0xfffe
	s_cbranch_vccnz .LBB52_44
; %bb.43:                               ;   in Loop: Header=BB52_8 Depth=1
	v_lshlrev_b64_e32 v[0:1], 1, v[0:1]
	s_delay_alu instid0(VALU_DEP_1) | instskip(SKIP_1) | instid1(VALU_DEP_2)
	v_add_co_u32 v0, vcc_lo, s38, v0
	s_wait_alu 0xfffd
	v_add_co_ci_u32_e64 v1, null, s39, v1, vcc_lo
	global_load_u16 v0, v[0:1], off offset:64
	s_wait_loadcnt 0x0
	v_cvt_f32_f16_e32 v0, v0
	s_delay_alu instid0(VALU_DEP_1)
	v_mul_f32_e32 v5, v108, v0
.LBB52_44:                              ;   in Loop: Header=BB52_8 Depth=1
	s_delay_alu instid0(VALU_DEP_1) | instskip(SKIP_2) | instid1(VALU_DEP_1)
	v_add_f32_e32 v41, v36, v5
	v_add_f32_e32 v40, v212, v3
	s_and_not1_b32 vcc_lo, exec_lo, s9
	v_dual_add_f32 v1, 0x40051340, v41 :: v_dual_add_f32 v0, 0x40051340, v40
	s_delay_alu instid0(VALU_DEP_1) | instskip(SKIP_3) | instid1(VALU_DEP_1)
	v_max3_num_f32 v0, v188, v0, v1
	ds_bpermute_b32 v1, v18, v0
	s_wait_dscnt 0x0
	v_max_num_f32_e32 v1, v1, v1
	v_max_num_f32_e32 v0, v0, v1
	ds_bpermute_b32 v1, v17, v0
	s_wait_dscnt 0x0
	v_max_num_f32_e32 v1, v1, v1
	s_delay_alu instid0(VALU_DEP_1) | instskip(SKIP_3) | instid1(VALU_DEP_1)
	v_max_num_f32_e32 v0, v0, v1
	ds_bpermute_b32 v1, v33, v0
	s_wait_dscnt 0x0
	v_max_num_f32_e32 v1, v1, v1
	v_max_num_f32_e32 v0, v0, v1
	ds_bpermute_b32 v1, v31, v0
	s_wait_dscnt 0x0
	v_max_num_f32_e32 v1, v1, v1
	s_delay_alu instid0(VALU_DEP_1)
	v_max_num_f32_e32 v36, v0, v1
	v_add_nc_u32_e32 v0, v2, v159
	ds_bpermute_b32 v212, v14, v36
	v_ashrrev_i32_e32 v1, 31, v0
	s_wait_alu 0xfffe
	s_cbranch_vccnz .LBB52_46
; %bb.45:                               ;   in Loop: Header=BB52_8 Depth=1
	s_delay_alu instid0(VALU_DEP_1) | instskip(NEXT) | instid1(VALU_DEP_1)
	v_lshlrev_b64_e32 v[3:4], 1, v[0:1]
	v_add_co_u32 v3, vcc_lo, s38, v3
	s_wait_alu 0xfffd
	s_delay_alu instid0(VALU_DEP_2) | instskip(SKIP_3) | instid1(VALU_DEP_1)
	v_add_co_ci_u32_e64 v4, null, s39, v4, vcc_lo
	global_load_u16 v3, v[3:4], off
	s_wait_loadcnt 0x0
	v_cvt_f32_f16_e32 v3, v3
	v_mul_f32_e32 v4, v108, v3
.LBB52_46:                              ;   in Loop: Header=BB52_8 Depth=1
	v_mov_b32_e32 v3, 0
	v_mov_b32_e32 v5, 0
	s_and_not1_b32 vcc_lo, exec_lo, s9
	s_wait_alu 0xfffe
	s_cbranch_vccnz .LBB52_48
; %bb.47:                               ;   in Loop: Header=BB52_8 Depth=1
	v_lshlrev_b64_e32 v[0:1], 1, v[0:1]
	s_delay_alu instid0(VALU_DEP_1) | instskip(SKIP_1) | instid1(VALU_DEP_2)
	v_add_co_u32 v0, vcc_lo, s38, v0
	s_wait_alu 0xfffd
	v_add_co_ci_u32_e64 v1, null, s39, v1, vcc_lo
	global_load_u16 v0, v[0:1], off offset:64
	s_wait_loadcnt 0x0
	v_cvt_f32_f16_e32 v0, v0
	s_delay_alu instid0(VALU_DEP_1)
	v_mul_f32_e32 v5, v108, v0
.LBB52_48:                              ;   in Loop: Header=BB52_8 Depth=1
	s_delay_alu instid0(VALU_DEP_1) | instskip(SKIP_1) | instid1(VALU_DEP_1)
	v_dual_add_f32 v42, v211, v4 :: v_dual_add_f32 v15, v32, v5
	s_and_not1_b32 vcc_lo, exec_lo, s9
	v_dual_add_f32 v0, 0x40051340, v42 :: v_dual_add_f32 v1, 0x40051340, v15
	s_delay_alu instid0(VALU_DEP_1) | instskip(SKIP_3) | instid1(VALU_DEP_1)
	v_max3_num_f32 v0, v186, v0, v1
	ds_bpermute_b32 v1, v18, v0
	s_wait_dscnt 0x0
	v_max_num_f32_e32 v1, v1, v1
	v_max_num_f32_e32 v0, v0, v1
	ds_bpermute_b32 v1, v17, v0
	s_wait_dscnt 0x0
	v_max_num_f32_e32 v1, v1, v1
	s_delay_alu instid0(VALU_DEP_1) | instskip(SKIP_3) | instid1(VALU_DEP_1)
	v_max_num_f32_e32 v0, v0, v1
	ds_bpermute_b32 v1, v33, v0
	s_wait_dscnt 0x0
	v_max_num_f32_e32 v1, v1, v1
	v_max_num_f32_e32 v0, v0, v1
	ds_bpermute_b32 v1, v31, v0
	s_wait_dscnt 0x0
	v_max_num_f32_e32 v1, v1, v1
	s_delay_alu instid0(VALU_DEP_1)
	v_max_num_f32_e32 v32, v0, v1
	v_add_nc_u32_e32 v0, v2, v160
	ds_bpermute_b32 v211, v14, v32
	v_ashrrev_i32_e32 v1, 31, v0
	s_wait_alu 0xfffe
	s_cbranch_vccnz .LBB52_50
; %bb.49:                               ;   in Loop: Header=BB52_8 Depth=1
	s_delay_alu instid0(VALU_DEP_1) | instskip(NEXT) | instid1(VALU_DEP_1)
	v_lshlrev_b64_e32 v[3:4], 1, v[0:1]
	v_add_co_u32 v3, vcc_lo, s38, v3
	s_wait_alu 0xfffd
	s_delay_alu instid0(VALU_DEP_2) | instskip(SKIP_3) | instid1(VALU_DEP_1)
	v_add_co_ci_u32_e64 v4, null, s39, v4, vcc_lo
	global_load_u16 v3, v[3:4], off
	s_wait_loadcnt 0x0
	v_cvt_f32_f16_e32 v3, v3
	v_mul_f32_e32 v3, v108, v3
.LBB52_50:                              ;   in Loop: Header=BB52_8 Depth=1
	v_dual_mov_b32 v5, 0 :: v_dual_mov_b32 v4, 0
	s_and_not1_b32 vcc_lo, exec_lo, s9
	s_wait_alu 0xfffe
	s_cbranch_vccnz .LBB52_52
; %bb.51:                               ;   in Loop: Header=BB52_8 Depth=1
	v_lshlrev_b64_e32 v[0:1], 1, v[0:1]
	s_delay_alu instid0(VALU_DEP_1) | instskip(SKIP_1) | instid1(VALU_DEP_2)
	v_add_co_u32 v0, vcc_lo, s38, v0
	s_wait_alu 0xfffd
	v_add_co_ci_u32_e64 v1, null, s39, v1, vcc_lo
	global_load_u16 v0, v[0:1], off offset:64
	s_wait_loadcnt 0x0
	v_cvt_f32_f16_e32 v0, v0
	s_delay_alu instid0(VALU_DEP_1)
	v_mul_f32_e32 v4, v108, v0
.LBB52_52:                              ;   in Loop: Header=BB52_8 Depth=1
	s_delay_alu instid0(VALU_DEP_1) | instskip(SKIP_1) | instid1(VALU_DEP_1)
	v_dual_add_f32 v3, v210, v3 :: v_dual_add_f32 v4, v28, v4
	s_and_not1_b32 vcc_lo, exec_lo, s9
	v_dual_add_f32 v0, 0x40051340, v3 :: v_dual_add_f32 v1, 0x40051340, v4
	s_delay_alu instid0(VALU_DEP_1) | instskip(SKIP_3) | instid1(VALU_DEP_1)
	v_max3_num_f32 v0, v184, v0, v1
	ds_bpermute_b32 v1, v18, v0
	s_wait_dscnt 0x0
	v_max_num_f32_e32 v1, v1, v1
	v_max_num_f32_e32 v0, v0, v1
	ds_bpermute_b32 v1, v17, v0
	s_wait_dscnt 0x0
	v_max_num_f32_e32 v1, v1, v1
	s_delay_alu instid0(VALU_DEP_1) | instskip(SKIP_3) | instid1(VALU_DEP_1)
	v_max_num_f32_e32 v0, v0, v1
	ds_bpermute_b32 v1, v33, v0
	s_wait_dscnt 0x0
	v_max_num_f32_e32 v1, v1, v1
	v_max_num_f32_e32 v0, v0, v1
	ds_bpermute_b32 v1, v31, v0
	s_wait_dscnt 0x0
	v_max_num_f32_e32 v1, v1, v1
	s_delay_alu instid0(VALU_DEP_1)
	v_max_num_f32_e32 v28, v0, v1
	v_add_nc_u32_e32 v0, v2, v161
	ds_bpermute_b32 v210, v14, v28
	v_ashrrev_i32_e32 v1, 31, v0
	s_wait_alu 0xfffe
	s_cbranch_vccnz .LBB52_54
; %bb.53:                               ;   in Loop: Header=BB52_8 Depth=1
	s_delay_alu instid0(VALU_DEP_1) | instskip(NEXT) | instid1(VALU_DEP_1)
	v_lshlrev_b64_e32 v[5:6], 1, v[0:1]
	v_add_co_u32 v5, vcc_lo, s38, v5
	s_wait_alu 0xfffd
	s_delay_alu instid0(VALU_DEP_2) | instskip(SKIP_3) | instid1(VALU_DEP_1)
	v_add_co_ci_u32_e64 v6, null, s39, v6, vcc_lo
	global_load_u16 v5, v[5:6], off
	s_wait_loadcnt 0x0
	v_cvt_f32_f16_e32 v5, v5
	v_mul_f32_e32 v5, v108, v5
.LBB52_54:                              ;   in Loop: Header=BB52_8 Depth=1
	v_dual_mov_b32 v6, 0 :: v_dual_mov_b32 v9, 0
	s_and_not1_b32 vcc_lo, exec_lo, s9
	s_wait_alu 0xfffe
	s_cbranch_vccnz .LBB52_56
; %bb.55:                               ;   in Loop: Header=BB52_8 Depth=1
	v_lshlrev_b64_e32 v[0:1], 1, v[0:1]
	s_delay_alu instid0(VALU_DEP_1) | instskip(SKIP_1) | instid1(VALU_DEP_2)
	v_add_co_u32 v0, vcc_lo, s38, v0
	s_wait_alu 0xfffd
	v_add_co_ci_u32_e64 v1, null, s39, v1, vcc_lo
	global_load_u16 v0, v[0:1], off offset:64
	s_wait_loadcnt 0x0
	v_cvt_f32_f16_e32 v0, v0
	s_delay_alu instid0(VALU_DEP_1)
	v_mul_f32_e32 v9, v108, v0
.LBB52_56:                              ;   in Loop: Header=BB52_8 Depth=1
	v_add_f32_e32 v7, v209, v5
	s_delay_alu instid0(VALU_DEP_2) | instskip(SKIP_1) | instid1(VALU_DEP_1)
	v_add_f32_e32 v5, v24, v9
	s_and_not1_b32 vcc_lo, exec_lo, s9
	v_dual_add_f32 v0, 0x40051340, v7 :: v_dual_add_f32 v1, 0x40051340, v5
	s_delay_alu instid0(VALU_DEP_1) | instskip(SKIP_3) | instid1(VALU_DEP_1)
	v_max3_num_f32 v0, v183, v0, v1
	ds_bpermute_b32 v1, v18, v0
	s_wait_dscnt 0x0
	v_max_num_f32_e32 v1, v1, v1
	v_max_num_f32_e32 v0, v0, v1
	ds_bpermute_b32 v1, v17, v0
	s_wait_dscnt 0x0
	v_max_num_f32_e32 v1, v1, v1
	s_delay_alu instid0(VALU_DEP_1) | instskip(SKIP_3) | instid1(VALU_DEP_1)
	v_max_num_f32_e32 v0, v0, v1
	ds_bpermute_b32 v1, v33, v0
	s_wait_dscnt 0x0
	v_max_num_f32_e32 v1, v1, v1
	v_max_num_f32_e32 v0, v0, v1
	ds_bpermute_b32 v1, v31, v0
	s_wait_dscnt 0x0
	v_max_num_f32_e32 v1, v1, v1
	s_delay_alu instid0(VALU_DEP_1)
	v_max_num_f32_e32 v24, v0, v1
	v_add_nc_u32_e32 v0, v2, v162
	ds_bpermute_b32 v209, v14, v24
	v_ashrrev_i32_e32 v1, 31, v0
	s_wait_alu 0xfffe
	s_cbranch_vccnz .LBB52_58
; %bb.57:                               ;   in Loop: Header=BB52_8 Depth=1
	s_delay_alu instid0(VALU_DEP_1) | instskip(NEXT) | instid1(VALU_DEP_1)
	v_lshlrev_b64_e32 v[9:10], 1, v[0:1]
	v_add_co_u32 v9, vcc_lo, s38, v9
	s_wait_alu 0xfffd
	s_delay_alu instid0(VALU_DEP_2) | instskip(SKIP_3) | instid1(VALU_DEP_1)
	v_add_co_ci_u32_e64 v10, null, s39, v10, vcc_lo
	global_load_u16 v6, v[9:10], off
	s_wait_loadcnt 0x0
	v_cvt_f32_f16_e32 v6, v6
	v_mul_f32_e32 v6, v108, v6
.LBB52_58:                              ;   in Loop: Header=BB52_8 Depth=1
	v_dual_mov_b32 v10, 0 :: v_dual_mov_b32 v11, 0
	s_and_not1_b32 vcc_lo, exec_lo, s9
	s_wait_alu 0xfffe
	s_cbranch_vccnz .LBB52_60
; %bb.59:                               ;   in Loop: Header=BB52_8 Depth=1
	v_lshlrev_b64_e32 v[0:1], 1, v[0:1]
	s_delay_alu instid0(VALU_DEP_1) | instskip(SKIP_1) | instid1(VALU_DEP_2)
	v_add_co_u32 v0, vcc_lo, s38, v0
	s_wait_alu 0xfffd
	v_add_co_ci_u32_e64 v1, null, s39, v1, vcc_lo
	global_load_u16 v0, v[0:1], off offset:64
	s_wait_loadcnt 0x0
	v_cvt_f32_f16_e32 v0, v0
	s_delay_alu instid0(VALU_DEP_1)
	v_mul_f32_e32 v11, v108, v0
.LBB52_60:                              ;   in Loop: Header=BB52_8 Depth=1
	v_add_f32_e32 v9, v208, v6
	s_delay_alu instid0(VALU_DEP_2) | instskip(SKIP_1) | instid1(VALU_DEP_1)
	v_add_f32_e32 v6, v20, v11
	s_and_not1_b32 vcc_lo, exec_lo, s9
	v_dual_add_f32 v0, 0x40051340, v9 :: v_dual_add_f32 v1, 0x40051340, v6
	s_delay_alu instid0(VALU_DEP_1) | instskip(SKIP_3) | instid1(VALU_DEP_1)
	v_max3_num_f32 v0, v180, v0, v1
	ds_bpermute_b32 v1, v18, v0
	s_wait_dscnt 0x0
	v_max_num_f32_e32 v1, v1, v1
	v_max_num_f32_e32 v0, v0, v1
	ds_bpermute_b32 v1, v17, v0
	s_wait_dscnt 0x0
	v_max_num_f32_e32 v1, v1, v1
	s_delay_alu instid0(VALU_DEP_1) | instskip(SKIP_3) | instid1(VALU_DEP_1)
	v_max_num_f32_e32 v0, v0, v1
	ds_bpermute_b32 v1, v33, v0
	s_wait_dscnt 0x0
	v_max_num_f32_e32 v1, v1, v1
	v_max_num_f32_e32 v0, v0, v1
	ds_bpermute_b32 v1, v31, v0
	s_wait_dscnt 0x0
	v_max_num_f32_e32 v1, v1, v1
	s_delay_alu instid0(VALU_DEP_1)
	v_max_num_f32_e32 v20, v0, v1
	v_add_nc_u32_e32 v0, v2, v163
	ds_bpermute_b32 v208, v14, v20
	v_ashrrev_i32_e32 v1, 31, v0
	s_wait_alu 0xfffe
	s_cbranch_vccnz .LBB52_62
; %bb.61:                               ;   in Loop: Header=BB52_8 Depth=1
	s_delay_alu instid0(VALU_DEP_1) | instskip(NEXT) | instid1(VALU_DEP_1)
	v_lshlrev_b64_e32 v[10:11], 1, v[0:1]
	v_add_co_u32 v10, vcc_lo, s38, v10
	s_wait_alu 0xfffd
	s_delay_alu instid0(VALU_DEP_2) | instskip(SKIP_3) | instid1(VALU_DEP_1)
	v_add_co_ci_u32_e64 v11, null, s39, v11, vcc_lo
	global_load_u16 v10, v[10:11], off
	s_wait_loadcnt 0x0
	v_cvt_f32_f16_e32 v10, v10
	v_mul_f32_e32 v10, v108, v10
.LBB52_62:                              ;   in Loop: Header=BB52_8 Depth=1
	v_mov_b32_e32 v13, 0
	v_mov_b32_e32 v217, 0
	s_and_not1_b32 vcc_lo, exec_lo, s9
	s_wait_alu 0xfffe
	s_cbranch_vccnz .LBB52_64
; %bb.63:                               ;   in Loop: Header=BB52_8 Depth=1
	v_lshlrev_b64_e32 v[0:1], 1, v[0:1]
	s_delay_alu instid0(VALU_DEP_1) | instskip(SKIP_1) | instid1(VALU_DEP_2)
	v_add_co_u32 v0, vcc_lo, s38, v0
	s_wait_alu 0xfffd
	v_add_co_ci_u32_e64 v1, null, s39, v1, vcc_lo
	global_load_u16 v0, v[0:1], off offset:64
	s_wait_loadcnt 0x0
	v_cvt_f32_f16_e32 v0, v0
	s_delay_alu instid0(VALU_DEP_1)
	v_mul_f32_e32 v217, v108, v0
.LBB52_64:                              ;   in Loop: Header=BB52_8 Depth=1
	s_delay_alu instid0(VALU_DEP_1) | instskip(SKIP_1) | instid1(VALU_DEP_1)
	v_dual_add_f32 v11, v207, v10 :: v_dual_add_f32 v10, v16, v217
	s_and_not1_b32 vcc_lo, exec_lo, s9
	v_dual_add_f32 v0, 0x40051340, v11 :: v_dual_add_f32 v1, 0x40051340, v10
	s_delay_alu instid0(VALU_DEP_1) | instskip(SKIP_3) | instid1(VALU_DEP_1)
	v_max3_num_f32 v0, v178, v0, v1
	ds_bpermute_b32 v1, v18, v0
	s_wait_dscnt 0x0
	v_max_num_f32_e32 v1, v1, v1
	v_max_num_f32_e32 v0, v0, v1
	ds_bpermute_b32 v1, v17, v0
	s_wait_dscnt 0x0
	v_max_num_f32_e32 v1, v1, v1
	s_delay_alu instid0(VALU_DEP_1) | instskip(SKIP_3) | instid1(VALU_DEP_1)
	v_max_num_f32_e32 v0, v0, v1
	ds_bpermute_b32 v1, v33, v0
	s_wait_dscnt 0x0
	v_max_num_f32_e32 v1, v1, v1
	v_max_num_f32_e32 v0, v0, v1
	ds_bpermute_b32 v1, v31, v0
	s_wait_dscnt 0x0
	v_max_num_f32_e32 v1, v1, v1
	s_delay_alu instid0(VALU_DEP_1)
	v_max_num_f32_e32 v16, v0, v1
	v_add_nc_u32_e32 v0, v2, v164
	ds_bpermute_b32 v207, v14, v16
	v_ashrrev_i32_e32 v1, 31, v0
	s_wait_alu 0xfffe
	s_cbranch_vccnz .LBB52_66
; %bb.65:                               ;   in Loop: Header=BB52_8 Depth=1
	s_delay_alu instid0(VALU_DEP_1) | instskip(NEXT) | instid1(VALU_DEP_1)
	v_lshlrev_b64_e32 v[72:73], 1, v[0:1]
	v_add_co_u32 v72, vcc_lo, s38, v72
	s_wait_alu 0xfffd
	s_delay_alu instid0(VALU_DEP_2) | instskip(SKIP_3) | instid1(VALU_DEP_1)
	v_add_co_ci_u32_e64 v73, null, s39, v73, vcc_lo
	global_load_u16 v13, v[72:73], off
	s_wait_loadcnt 0x0
	v_cvt_f32_f16_e32 v13, v13
	v_mul_f32_e32 v13, v108, v13
.LBB52_66:                              ;   in Loop: Header=BB52_8 Depth=1
	v_mov_b32_e32 v219, 0
	v_mov_b32_e32 v217, 0
	s_and_not1_b32 vcc_lo, exec_lo, s9
	s_wait_alu 0xfffe
	s_cbranch_vccnz .LBB52_68
; %bb.67:                               ;   in Loop: Header=BB52_8 Depth=1
	v_lshlrev_b64_e32 v[0:1], 1, v[0:1]
	s_delay_alu instid0(VALU_DEP_1) | instskip(SKIP_1) | instid1(VALU_DEP_2)
	v_add_co_u32 v0, vcc_lo, s38, v0
	s_wait_alu 0xfffd
	v_add_co_ci_u32_e64 v1, null, s39, v1, vcc_lo
	global_load_u16 v0, v[0:1], off offset:64
	s_wait_loadcnt 0x0
	v_cvt_f32_f16_e32 v0, v0
	s_delay_alu instid0(VALU_DEP_1)
	v_mul_f32_e32 v217, v108, v0
.LBB52_68:                              ;   in Loop: Header=BB52_8 Depth=1
	v_add_f32_e32 v13, v206, v13
	s_delay_alu instid0(VALU_DEP_2) | instskip(SKIP_1) | instid1(VALU_DEP_1)
	v_add_f32_e32 v12, v12, v217
	s_and_not1_b32 vcc_lo, exec_lo, s9
	v_dual_add_f32 v0, 0x40051340, v13 :: v_dual_add_f32 v1, 0x40051340, v12
	s_delay_alu instid0(VALU_DEP_1) | instskip(SKIP_3) | instid1(VALU_DEP_1)
	v_max3_num_f32 v0, v177, v0, v1
	ds_bpermute_b32 v1, v18, v0
	s_wait_dscnt 0x0
	v_max_num_f32_e32 v1, v1, v1
	v_max_num_f32_e32 v0, v0, v1
	ds_bpermute_b32 v1, v17, v0
	s_wait_dscnt 0x0
	v_max_num_f32_e32 v1, v1, v1
	s_delay_alu instid0(VALU_DEP_1) | instskip(SKIP_3) | instid1(VALU_DEP_1)
	v_max_num_f32_e32 v0, v0, v1
	ds_bpermute_b32 v1, v33, v0
	s_wait_dscnt 0x0
	v_max_num_f32_e32 v1, v1, v1
	v_max_num_f32_e32 v0, v0, v1
	ds_bpermute_b32 v1, v31, v0
	s_wait_dscnt 0x0
	v_max_num_f32_e32 v1, v1, v1
	s_delay_alu instid0(VALU_DEP_1)
	v_max_num_f32_e32 v206, v0, v1
	v_add_nc_u32_e32 v0, v2, v166
	ds_bpermute_b32 v217, v14, v206
	v_ashrrev_i32_e32 v1, 31, v0
	s_wait_alu 0xfffe
	s_cbranch_vccnz .LBB52_70
; %bb.69:                               ;   in Loop: Header=BB52_8 Depth=1
	s_delay_alu instid0(VALU_DEP_1) | instskip(NEXT) | instid1(VALU_DEP_1)
	v_lshlrev_b64_e32 v[72:73], 1, v[0:1]
	v_add_co_u32 v72, vcc_lo, s38, v72
	s_wait_alu 0xfffd
	s_delay_alu instid0(VALU_DEP_2) | instskip(SKIP_3) | instid1(VALU_DEP_1)
	v_add_co_ci_u32_e64 v73, null, s39, v73, vcc_lo
	global_load_u16 v2, v[72:73], off
	s_wait_loadcnt 0x0
	v_cvt_f32_f16_e32 v2, v2
	v_mul_f32_e32 v219, v108, v2
.LBB52_70:                              ;   in Loop: Header=BB52_8 Depth=1
	s_and_not1_b32 vcc_lo, exec_lo, s9
	s_wait_alu 0xfffe
	s_cbranch_vccnz .LBB52_72
; %bb.71:                               ;   in Loop: Header=BB52_8 Depth=1
	v_lshlrev_b64_e32 v[0:1], 1, v[0:1]
	s_delay_alu instid0(VALU_DEP_1) | instskip(SKIP_1) | instid1(VALU_DEP_2)
	v_add_co_u32 v0, vcc_lo, s38, v0
	s_wait_alu 0xfffd
	v_add_co_ci_u32_e64 v1, null, s39, v1, vcc_lo
	global_load_u16 v0, v[0:1], off offset:64
	s_wait_loadcnt 0x0
	v_cvt_f32_f16_e32 v0, v0
	s_delay_alu instid0(VALU_DEP_1)
	v_mul_f32_e32 v1, v108, v0
	s_branch .LBB52_73
.LBB52_72:                              ;   in Loop: Header=BB52_8 Depth=1
	v_mov_b32_e32 v1, 0
.LBB52_73:                              ;   in Loop: Header=BB52_8 Depth=1
	s_delay_alu instid0(VALU_DEP_1) | instskip(SKIP_2) | instid1(VALU_DEP_3)
	v_dual_add_f32 v0, v205, v219 :: v_dual_add_f32 v1, v8, v1
	v_max_num_f32_e32 v8, v206, v206
	v_dual_max_num_f32 v74, v207, v207 :: v_dual_max_num_f32 v77, v28, v28
	v_dual_add_f32 v72, 0x40051340, v0 :: v_dual_add_f32 v73, 0x40051340, v1
	v_dual_max_num_f32 v16, v16, v16 :: v_dual_max_num_f32 v81, v213, v213
	v_dual_max_num_f32 v36, v36, v36 :: v_dual_max_num_f32 v91, v21, v21
	s_delay_alu instid0(VALU_DEP_3)
	v_max3_num_f32 v72, v176, v72, v73
	v_dual_max_num_f32 v80, v216, v216 :: v_dual_max_num_f32 v19, v19, v19
	v_dual_max_num_f32 v24, v24, v24 :: v_dual_max_num_f32 v85, v29, v29
	ds_bpermute_b32 v18, v18, v72
	v_dual_max_num_f32 v78, v211, v211 :: v_dual_max_num_f32 v87, v26, v26
	v_dual_max_num_f32 v32, v32, v32 :: v_dual_max_num_f32 v89, v23, v23
	;; [unrolled: 1-line block ×3, first 2 shown]
	v_max_num_f32_e32 v16, v19, v91
	s_wait_dscnt 0x1
	v_dual_max_num_f32 v2, v217, v217 :: v_dual_max_num_f32 v75, v208, v208
	v_dual_max_num_f32 v88, v25, v25 :: v_dual_max_num_f32 v25, v32, v78
	s_delay_alu instid0(VALU_DEP_3) | instskip(SKIP_1) | instid1(VALU_DEP_4)
	v_sub_f32_e32 v32, v34, v16
	v_dual_max_num_f32 v84, v30, v30 :: v_dual_max_num_f32 v23, v81, v80
	v_max_num_f32_e32 v30, v8, v2
	v_sub_f32_e32 v8, v204, v16
	v_dual_max_num_f32 v20, v20, v20 :: v_dual_max_num_f32 v83, v215, v215
	v_max_num_f32_e32 v90, v22, v22
	s_wait_dscnt 0x0
	v_dual_max_num_f32 v18, v18, v18 :: v_dual_max_num_f32 v73, v209, v209
	v_max_num_f32_e32 v82, v214, v214
	v_dual_max_num_f32 v44, v44, v44 :: v_dual_max_num_f32 v19, v86, v85
	s_delay_alu instid0(VALU_DEP_3) | instskip(SKIP_2) | instid1(VALU_DEP_4)
	v_max_num_f32_e32 v72, v72, v18
	v_max_num_f32_e32 v48, v48, v48
	;; [unrolled: 1-line block ×4, first 2 shown]
	v_dual_max_num_f32 v76, v210, v210 :: v_dual_max_num_f32 v79, v212, v212
	ds_bpermute_b32 v2, v17, v72
	v_max_num_f32_e32 v17, v90, v89
	v_max_num_f32_e32 v21, v48, v83
	v_sub_f32_e32 v50, v50, v19
	s_wait_loadcnt_dscnt 0x0
	s_barrier_signal -1
	v_sub_f32_e32 v44, v55, v17
	v_dual_sub_f32 v48, v53, v17 :: v_dual_mul_f32 v55, 0x3fb8aa3b, v8
	v_dual_mul_f32 v53, 0x3fb8aa3b, v32 :: v_dual_sub_f32 v46, v46, v21
	s_barrier_wait -1
	global_inv scope:SCOPE_SE
	v_fma_f32 v81, 0x3fb8aa3b, v8, -v55
	v_max_num_f32_e32 v18, v88, v87
	v_rndne_f32_e32 v82, v55
	v_rndne_f32_e32 v78, v53
	s_delay_alu instid0(VALU_DEP_4)
	v_dual_max_num_f32 v24, v36, v79 :: v_dual_fmac_f32 v81, 0x32a5705f, v8
	v_max_num_f32_e32 v52, v52, v52
	v_max_num_f32_e32 v2, v2, v2
	v_sub_f32_e32 v10, v10, v29
	v_sub_f32_e32 v42, v42, v25
	s_mul_u64 s[30:31], s[14:15], s[10:11]
	v_sub_f32_e32 v55, v55, v82
	v_max_num_f32_e32 v2, v72, v2
	v_mul_f32_e32 v72, 0x3fb8aa3b, v44
	v_cvt_i32_f32_e32 v82, v82
	s_wait_alu 0xfffe
	s_lshl_b64 s[30:31], s[30:31], 2
	v_add_f32_e32 v55, v55, v81
	ds_bpermute_b32 v33, v33, v2
	v_fma_f32 v83, 0x3fb8aa3b, v44, -v72
	v_sub_f32_e32 v36, v203, v17
	v_cmp_ngt_f32_e32 vcc_lo, 0xc2ce8ed0, v32
	s_wait_alu 0xfffe
	s_add_nc_u64 s[30:31], s[24:25], s[30:31]
	v_exp_f32_e32 v55, v55
	v_fmac_f32_e32 v83, 0x32a5705f, v44
	v_dual_sub_f32 v34, v51, v16 :: v_dual_sub_f32 v51, v218, v18
	v_max_num_f32_e32 v26, v77, v76
	v_fma_f32 v77, 0x3fb8aa3b, v32, -v53
	v_max_num_f32_e32 v28, v20, v75
	v_dual_max_num_f32 v20, v84, v52 :: v_dual_sub_f32 v53, v53, v78
	v_cvt_i32_f32_e32 v78, v78
	s_delay_alu instid0(VALU_DEP_4) | instskip(NEXT) | instid1(VALU_DEP_4)
	v_fmac_f32_e32 v77, 0x32a5705f, v32
	v_dual_mul_f32 v75, 0x3fb8aa3b, v51 :: v_dual_sub_f32 v6, v6, v28
	v_sub_f32_e32 v4, v4, v26
	v_ldexp_f32 v55, v55, v82
	s_delay_alu instid0(VALU_DEP_4)
	v_add_f32_e32 v53, v53, v77
	s_wait_dscnt 0x0
	v_max_num_f32_e32 v33, v33, v33
	v_sub_f32_e32 v49, v49, v20
	v_sub_f32_e32 v47, v47, v20
	v_sub_f32_e32 v45, v45, v22
	v_exp_f32_e32 v53, v53
	v_max_num_f32_e32 v2, v2, v33
	v_dual_mul_f32 v74, 0x3fb8aa3b, v36 :: v_dual_sub_f32 v43, v43, v23
	v_sub_f32_e32 v41, v41, v24
	v_sub_f32_e32 v3, v3, v26
	ds_bpermute_b32 v31, v31, v2
	v_fma_f32 v87, 0x3fb8aa3b, v36, -v74
	v_rndne_f32_e32 v88, v74
	v_sub_f32_e32 v7, v7, v27
	v_ldexp_f32 v53, v53, v78
	v_sub_f32_e32 v9, v9, v28
	v_fmac_f32_e32 v87, 0x32a5705f, v36
	v_dual_mul_f32 v73, 0x3fb8aa3b, v48 :: v_dual_sub_f32 v12, v12, v30
	s_wait_alu 0xfffd
	v_cndmask_b32_e32 v53, 0, v53, vcc_lo
	v_rndne_f32_e32 v84, v72
	v_sub_f32_e32 v5, v5, v27
	v_rndne_f32_e32 v86, v73
	v_fma_f32 v85, 0x3fb8aa3b, v48, -v73
	s_delay_alu instid0(VALU_DEP_2) | instskip(SKIP_1) | instid1(VALU_DEP_2)
	v_dual_sub_f32 v33, v72, v84 :: v_dual_sub_f32 v72, v73, v86
	v_sub_f32_e32 v73, v74, v88
	v_dual_sub_f32 v52, v54, v18 :: v_dual_add_f32 v33, v33, v83
	s_wait_dscnt 0x0
	v_dual_mul_f32 v54, 0x3fb8aa3b, v34 :: v_dual_max_num_f32 v31, v31, v31
	v_cmp_ngt_f32_e32 vcc_lo, 0xc2ce8ed0, v34
	v_cvt_i32_f32_e32 v74, v84
	v_exp_f32_e32 v33, v33
	s_delay_alu instid0(VALU_DEP_3) | instskip(SKIP_4) | instid1(VALU_DEP_4)
	v_fma_f32 v79, 0x3fb8aa3b, v34, -v54
	v_rndne_f32_e32 v80, v54
	v_max_num_f32_e32 v31, v2, v31
	v_fmac_f32_e32 v85, 0x32a5705f, v48
	v_add_f32_e32 v73, v73, v87
	v_dual_fmac_f32 v79, 0x32a5705f, v34 :: v_dual_sub_f32 v54, v54, v80
	v_cvt_i32_f32_e32 v80, v80
	v_cvt_i32_f32_e32 v77, v86
	s_delay_alu instid0(TRANS32_DEP_1) | instskip(SKIP_4) | instid1(VALU_DEP_2)
	v_ldexp_f32 v33, v33, v74
	ds_bpermute_b32 v14, v14, v31
	v_add_f32_e32 v54, v54, v79
	v_exp_f32_e32 v73, v73
	v_cvt_i32_f32_e32 v79, v88
	v_exp_f32_e32 v54, v54
	s_delay_alu instid0(TRANS32_DEP_1) | instskip(SKIP_3) | instid1(VALU_DEP_2)
	v_ldexp_f32 v54, v54, v80
	s_wait_dscnt 0x0
	v_max_num_f32_e32 v14, v14, v14
	s_wait_alu 0xfffd
	v_cndmask_b32_e32 v2, 0, v54, vcc_lo
	v_cmp_ngt_f32_e32 vcc_lo, 0xc2ce8ed0, v8
	s_delay_alu instid0(VALU_DEP_3)
	v_max_num_f32_e32 v31, v31, v14
	v_fma_f32 v14, 0x3fb8aa3b, v51, -v75
	s_wait_alu 0xfffd
	v_cndmask_b32_e32 v54, 0, v55, vcc_lo
	v_cmp_ngt_f32_e32 vcc_lo, 0xc2ce8ed0, v44
	v_mul_f32_e32 v76, 0x3fb8aa3b, v52
	v_sub_f32_e32 v0, v0, v31
	v_fmac_f32_e32 v14, 0x32a5705f, v51
	v_sub_f32_e32 v1, v1, v31
	s_wait_alu 0xfffd
	v_cndmask_b32_e32 v33, 0, v33, vcc_lo
	v_fma_f32 v55, 0x3fb8aa3b, v52, -v76
	v_add_f32_e32 v72, v72, v85
	v_cmp_nlt_f32_e32 vcc_lo, 0x42b17218, v8
	s_delay_alu instid0(VALU_DEP_3) | instskip(NEXT) | instid1(VALU_DEP_3)
	v_fmac_f32_e32 v55, 0x32a5705f, v52
	v_exp_f32_e32 v72, v72
	s_wait_alu 0xfffd
	v_cndmask_b32_e32 v8, 0x7f800000, v54, vcc_lo
	v_cmp_ngt_f32_e32 vcc_lo, 0xc2ce8ed0, v48
	s_delay_alu instid0(TRANS32_DEP_1) | instskip(SKIP_1) | instid1(VALU_DEP_1)
	v_ldexp_f32 v72, v72, v77
	s_wait_alu 0xfffd
	v_cndmask_b32_e32 v54, 0, v72, vcc_lo
	v_cmp_nlt_f32_e32 vcc_lo, 0x42b17218, v32
	v_rndne_f32_e32 v72, v76
	s_wait_alu 0xfffd
	v_cndmask_b32_e32 v32, 0x7f800000, v53, vcc_lo
	v_cvt_f16_f32_e32 v53, v8
	v_cmp_nlt_f32_e32 vcc_lo, 0x42b17218, v34
	v_sub_f32_e32 v74, v76, v72
	s_wait_alu 0xfffd
	v_cndmask_b32_e32 v2, 0x7f800000, v2, vcc_lo
	v_cmp_nlt_f32_e32 vcc_lo, 0x42b17218, v44
	v_and_b32_e32 v44, 0xffff, v53
	v_cvt_f16_f32_e32 v53, v32
	s_wait_alu 0xfffd
	v_dual_cndmask_b32 v34, 0x7f800000, v33 :: v_dual_add_f32 v33, v32, v2
	s_delay_alu instid0(VALU_DEP_3) | instskip(SKIP_2) | instid1(VALU_DEP_4)
	v_mul_u32_u24_e32 v32, 0x10001, v44
	v_cmp_nlt_f32_e32 vcc_lo, 0x42b17218, v48
	v_cvt_f16_f32_e32 v44, v2
	v_fmac_f32_e32 v33, v202, v8
	s_delay_alu instid0(VALU_DEP_4)
	v_pk_mul_f16 v2, v142, v32
	v_rndne_f32_e32 v32, v75
	s_wait_alu 0xfffd
	v_cndmask_b32_e32 v48, 0x7f800000, v54, vcc_lo
	v_ldexp_f32 v8, v73, v79
	v_cmp_ngt_f32_e32 vcc_lo, 0xc2ce8ed0, v36
	v_cvt_f16_f32_e32 v54, v34
	v_sub_f32_e32 v73, v75, v32
	v_add_f32_e32 v34, v34, v48
	v_cvt_i32_f32_e32 v32, v32
	s_wait_alu 0xfffd
	v_cndmask_b32_e32 v8, 0, v8, vcc_lo
	v_cmp_nlt_f32_e32 vcc_lo, 0x42b17218, v36
	v_add_f32_e32 v14, v73, v14
	v_dual_add_f32 v36, v74, v55 :: v_dual_sub_f32 v73, v200, v18
	s_wait_alu 0xfffd
	v_cndmask_b32_e32 v8, 0x7f800000, v8, vcc_lo
	s_delay_alu instid0(VALU_DEP_3) | instskip(NEXT) | instid1(VALU_DEP_2)
	v_exp_f32_e32 v14, v14
	v_exp_f32_e32 v36, v36
	v_mul_f32_e32 v74, 0x3fb8aa3b, v73
	v_cmp_ngt_f32_e32 vcc_lo, 0xc2ce8ed0, v51
	v_cvt_f16_f32_e32 v55, v8
	v_fmac_f32_e32 v34, v201, v8
	s_delay_alu instid0(VALU_DEP_4) | instskip(NEXT) | instid1(VALU_DEP_3)
	v_rndne_f32_e32 v75, v74
	v_and_b32_e32 v8, 0xffff, v55
	v_cvt_i32_f32_e32 v55, v72
	s_delay_alu instid0(TRANS32_DEP_2) | instskip(SKIP_1) | instid1(VALU_DEP_3)
	v_ldexp_f32 v14, v14, v32
	v_fma_f32 v72, 0x3fb8aa3b, v73, -v74
	v_ldexp_f32 v32, v36, v55
	s_wait_alu 0xfffd
	s_delay_alu instid0(VALU_DEP_3)
	v_cndmask_b32_e32 v14, 0, v14, vcc_lo
	v_cmp_ngt_f32_e32 vcc_lo, 0xc2ce8ed0, v52
	v_fmac_f32_e32 v72, 0x32a5705f, v73
	v_sub_f32_e32 v36, v74, v75
	s_wait_alu 0xfffd
	v_cndmask_b32_e32 v32, 0, v32, vcc_lo
	v_cmp_nlt_f32_e32 vcc_lo, 0x42b17218, v51
	s_delay_alu instid0(VALU_DEP_3)
	v_add_f32_e32 v36, v36, v72
	v_sub_f32_e32 v72, v35, v19
	s_wait_alu 0xfffd
	v_cndmask_b32_e32 v14, 0x7f800000, v14, vcc_lo
	v_cmp_nlt_f32_e32 vcc_lo, 0x42b17218, v52
	v_exp_f32_e32 v36, v36
	v_mul_f32_e32 v51, 0x3fb8aa3b, v72
	s_delay_alu instid0(VALU_DEP_3)
	v_cvt_f16_f32_e32 v76, v14
	s_wait_alu 0xfffd
	v_cndmask_b32_e32 v32, 0x7f800000, v32, vcc_lo
	v_cmp_ngt_f32_e32 vcc_lo, 0xc2ce8ed0, v73
	v_fma_f32 v52, 0x3fb8aa3b, v72, -v51
	v_rndne_f32_e32 v74, v51
	s_delay_alu instid0(VALU_DEP_4)
	v_add_f32_e32 v35, v14, v32
	v_cvt_i32_f32_e32 v14, v75
	v_cvt_f16_f32_e32 v55, v32
	v_fmac_f32_e32 v52, 0x32a5705f, v72
	v_sub_f32_e32 v32, v51, v74
	v_sub_f32_e32 v51, v199, v19
	v_ldexp_f32 v14, v36, v14
	v_mul_f32_e32 v36, 0x3fb8aa3b, v50
	v_cvt_i32_f32_e32 v74, v74
	s_delay_alu instid0(VALU_DEP_4)
	v_dual_add_f32 v32, v32, v52 :: v_dual_mul_f32 v77, 0x3fb8aa3b, v51
	s_wait_alu 0xfffd
	v_cndmask_b32_e32 v14, 0, v14, vcc_lo
	v_fma_f32 v52, 0x3fb8aa3b, v50, -v36
	v_rndne_f32_e32 v75, v36
	v_cmp_nlt_f32_e32 vcc_lo, 0x42b17218, v73
	v_exp_f32_e32 v32, v32
	v_fma_f32 v73, 0x3fb8aa3b, v51, -v77
	v_fmac_f32_e32 v52, 0x32a5705f, v50
	v_sub_f32_e32 v36, v36, v75
	s_wait_alu 0xfffd
	v_cndmask_b32_e32 v14, 0x7f800000, v14, vcc_lo
	v_rndne_f32_e32 v78, v77
	v_fmac_f32_e32 v73, 0x32a5705f, v51
	v_cmp_ngt_f32_e32 vcc_lo, 0xc2ce8ed0, v72
	v_add_f32_e32 v36, v36, v52
	v_cvt_f16_f32_e32 v79, v14
	v_sub_f32_e32 v52, v77, v78
	v_fmac_f32_e32 v35, v198, v14
	v_ldexp_f32 v14, v32, v74
	v_exp_f32_e32 v32, v36
	s_delay_alu instid0(VALU_DEP_3)
	v_dual_add_f32 v36, v52, v73 :: v_dual_and_b32 v77, 0xffff, v79
	v_cvt_i32_f32_e32 v73, v75
	s_wait_alu 0xfffd
	v_cndmask_b32_e32 v14, 0, v14, vcc_lo
	v_cmp_nlt_f32_e32 vcc_lo, 0x42b17218, v72
	v_mul_u32_u24_e32 v52, 0x10001, v77
	v_exp_f32_e32 v36, v36
	v_mul_f32_e32 v75, 0x3fb8aa3b, v47
	s_wait_alu 0xfffd
	v_cndmask_b32_e32 v72, 0x7f800000, v14, vcc_lo
	v_pk_mul_f16 v14, v140, v52
	v_ldexp_f32 v32, v32, v73
	v_cvt_i32_f32_e32 v52, v78
	v_cmp_ngt_f32_e32 vcc_lo, 0xc2ce8ed0, v50
	v_mul_f32_e32 v73, 0x3fb8aa3b, v49
	v_cvt_f16_f32_e32 v77, v72
	v_sub_f32_e32 v78, v196, v20
	v_ldexp_f32 v36, v36, v52
	s_wait_alu 0xfffd
	v_cndmask_b32_e32 v32, 0, v32, vcc_lo
	v_cmp_ngt_f32_e32 vcc_lo, 0xc2ce8ed0, v51
	v_fma_f32 v52, 0x3fb8aa3b, v49, -v73
	v_rndne_f32_e32 v74, v73
	s_wait_alu 0xfffd
	v_cndmask_b32_e32 v36, 0, v36, vcc_lo
	v_cmp_nlt_f32_e32 vcc_lo, 0x42b17218, v50
	s_delay_alu instid0(VALU_DEP_3) | instskip(SKIP_3) | instid1(VALU_DEP_3)
	v_dual_fmac_f32 v52, 0x32a5705f, v49 :: v_dual_sub_f32 v73, v73, v74
	s_wait_alu 0xfffd
	v_cndmask_b32_e32 v32, 0x7f800000, v32, vcc_lo
	v_cmp_nlt_f32_e32 vcc_lo, 0x42b17218, v51
	v_add_f32_e32 v51, v73, v52
	v_fma_f32 v52, 0x3fb8aa3b, v47, -v75
	v_rndne_f32_e32 v73, v75
	v_cvt_f16_f32_e32 v79, v32
	s_wait_alu 0xfffd
	v_cndmask_b32_e32 v50, 0x7f800000, v36, vcc_lo
	v_add_f32_e32 v36, v72, v32
	v_exp_f32_e32 v51, v51
	v_dual_fmac_f32 v52, 0x32a5705f, v47 :: v_dual_sub_f32 v75, v75, v73
	s_delay_alu instid0(VALU_DEP_3) | instskip(NEXT) | instid1(VALU_DEP_3)
	v_cvt_f16_f32_e32 v72, v50
	v_fmac_f32_e32 v36, v197, v50
	v_cmp_ngt_f32_e32 vcc_lo, 0xc2ce8ed0, v49
	v_cvt_i32_f32_e32 v73, v73
	v_add_f32_e32 v52, v75, v52
	v_and_b32_e32 v32, 0xffff, v72
	v_cvt_i32_f32_e32 v72, v74
	v_mul_f32_e32 v74, 0x3fb8aa3b, v78
	v_cvt_f16_f32_e32 v48, v48
	s_delay_alu instid0(VALU_DEP_3) | instskip(SKIP_1) | instid1(VALU_DEP_3)
	v_ldexp_f32 v50, v51, v72
	v_exp_f32_e32 v51, v52
	v_fma_f32 v52, 0x3fb8aa3b, v78, -v74
	v_rndne_f32_e32 v72, v74
	v_pack_b32_f16 v44, v44, v48
	s_wait_alu 0xfffd
	v_cndmask_b32_e32 v50, 0, v50, vcc_lo
	v_cmp_nlt_f32_e32 vcc_lo, 0x42b17218, v49
	v_fmac_f32_e32 v52, 0x32a5705f, v78
	s_wait_alu 0xfffd
	s_delay_alu instid0(VALU_DEP_3) | instskip(SKIP_1) | instid1(VALU_DEP_2)
	v_dual_sub_f32 v74, v74, v72 :: v_dual_cndmask_b32 v49, 0x7f800000, v50
	v_ldexp_f32 v50, v51, v73
	v_add_f32_e32 v51, v74, v52
	v_cmp_ngt_f32_e32 vcc_lo, 0xc2ce8ed0, v47
	v_mul_f32_e32 v52, 0x3fb8aa3b, v46
	v_cvt_f16_f32_e32 v73, v49
	v_mul_u32_u24_e32 v8, 0x10001, v8
	v_exp_f32_e32 v51, v51
	s_wait_alu 0xfffd
	v_cndmask_b32_e32 v50, 0, v50, vcc_lo
	v_cmp_nlt_f32_e32 vcc_lo, 0x42b17218, v47
	v_fma_f32 v74, 0x3fb8aa3b, v46, -v52
	v_rndne_f32_e32 v75, v52
	v_pk_mul_f16 v8, v141, v8
	s_wait_alu 0xfffd
	v_cndmask_b32_e32 v47, 0x7f800000, v50, vcc_lo
	v_cvt_i32_f32_e32 v50, v72
	v_sub_f32_e32 v72, v37, v21
	v_fmac_f32_e32 v74, 0x32a5705f, v46
	v_sub_f32_e32 v52, v52, v75
	v_add_f32_e32 v37, v49, v47
	v_cvt_f16_f32_e32 v80, v47
	v_ldexp_f32 v47, v51, v50
	v_dual_mul_f32 v50, 0x3fb8aa3b, v72 :: v_dual_sub_f32 v51, v195, v21
	v_add_f32_e32 v49, v52, v74
	v_cmp_ngt_f32_e32 vcc_lo, 0xc2ce8ed0, v78
	v_cvt_i32_f32_e32 v75, v75
	s_delay_alu instid0(VALU_DEP_4)
	v_fma_f32 v52, 0x3fb8aa3b, v72, -v50
	v_rndne_f32_e32 v74, v50
	v_mul_f32_e32 v81, 0x3fb8aa3b, v51
	s_wait_alu 0xfffd
	v_cndmask_b32_e32 v47, 0, v47, vcc_lo
	v_exp_f32_e32 v49, v49
	v_cmp_nlt_f32_e32 vcc_lo, 0x42b17218, v78
	v_fmac_f32_e32 v52, 0x32a5705f, v72
	v_sub_f32_e32 v50, v50, v74
	v_fma_f32 v78, 0x3fb8aa3b, v51, -v81
	v_rndne_f32_e32 v82, v81
	s_wait_alu 0xfffd
	v_cndmask_b32_e32 v47, 0x7f800000, v47, vcc_lo
	v_cmp_ngt_f32_e32 vcc_lo, 0xc2ce8ed0, v46
	v_add_f32_e32 v50, v50, v52
	v_fmac_f32_e32 v78, 0x32a5705f, v51
	v_sub_f32_e32 v52, v81, v82
	v_cvt_f16_f32_e32 v83, v47
	v_ldexp_f32 v49, v49, v75
	v_exp_f32_e32 v50, v50
	v_cvt_i32_f32_e32 v74, v74
	s_delay_alu instid0(VALU_DEP_3)
	v_dual_add_f32 v52, v52, v78 :: v_dual_and_b32 v75, 0xffff, v83
	s_wait_alu 0xfffd
	v_cndmask_b32_e32 v49, 0, v49, vcc_lo
	v_cmp_nlt_f32_e32 vcc_lo, 0x42b17218, v46
	v_fmac_f32_e32 v37, v194, v47
	v_exp_f32_e32 v52, v52
	v_mul_u32_u24_e32 v75, 0x10001, v75
	s_wait_alu 0xfffd
	v_dual_sub_f32 v83, v192, v22 :: v_dual_cndmask_b32 v46, 0x7f800000, v49
	v_ldexp_f32 v47, v50, v74
	v_cvt_i32_f32_e32 v50, v82
	v_cmp_ngt_f32_e32 vcc_lo, 0xc2ce8ed0, v72
	v_pk_mul_f16 v49, v138, v75
	v_sub_f32_e32 v75, v38, v22
	v_cvt_f16_f32_e32 v74, v46
	v_ldexp_f32 v38, v52, v50
	s_wait_alu 0xfffd
	v_dual_cndmask_b32 v47, 0, v47 :: v_dual_mul_f32 v50, 0x3fb8aa3b, v45
	v_cmp_nlt_f32_e32 vcc_lo, 0x42b17218, v72
	v_mul_f32_e32 v52, 0x3fb8aa3b, v75
	v_pack_b32_f16 v74, v73, v74
	v_pack_b32_f16 v73, v76, v77
	v_fma_f32 v72, 0x3fb8aa3b, v45, -v50
	s_wait_alu 0xfffd
	v_cndmask_b32_e32 v47, 0x7f800000, v47, vcc_lo
	v_cmp_ngt_f32_e32 vcc_lo, 0xc2ce8ed0, v51
	v_rndne_f32_e32 v78, v50
	v_fma_f32 v81, 0x3fb8aa3b, v75, -v52
	v_rndne_f32_e32 v82, v52
	v_fmac_f32_e32 v72, 0x32a5705f, v45
	s_wait_alu 0xfffd
	v_cndmask_b32_e32 v38, 0, v38, vcc_lo
	v_cmp_nlt_f32_e32 vcc_lo, 0x42b17218, v51
	v_dual_sub_f32 v50, v50, v78 :: v_dual_fmac_f32 v81, 0x32a5705f, v75
	v_sub_f32_e32 v52, v52, v82
	v_mul_f32_e32 v76, 0x3fb8aa3b, v41
	s_wait_alu 0xfffd
	s_delay_alu instid0(VALU_DEP_3) | instskip(SKIP_3) | instid1(VALU_DEP_4)
	v_dual_cndmask_b32 v51, 0x7f800000, v38 :: v_dual_add_f32 v50, v50, v72
	v_add_f32_e32 v38, v46, v47
	v_add_f32_e32 v52, v52, v81
	v_cvt_f16_f32_e32 v81, v47
	v_cvt_f16_f32_e32 v46, v51
	v_exp_f32_e32 v47, v50
	v_mul_f32_e32 v72, 0x3fb8aa3b, v83
	v_exp_f32_e32 v52, v52
	v_cvt_i32_f32_e32 v50, v78
	v_and_b32_e32 v46, 0xffff, v46
	v_cvt_i32_f32_e32 v78, v82
	v_fma_f32 v84, 0x3fb8aa3b, v83, -v72
	v_rndne_f32_e32 v85, v72
	v_cmp_ngt_f32_e32 vcc_lo, 0xc2ce8ed0, v45
	v_mul_u32_u24_e32 v46, 0x10001, v46
	v_ldexp_f32 v47, v47, v50
	v_fmac_f32_e32 v84, 0x32a5705f, v83
	v_sub_f32_e32 v72, v72, v85
	v_fmac_f32_e32 v38, v193, v51
	v_pk_mul_f16 v50, v137, v46
	v_ldexp_f32 v46, v52, v78
	s_wait_alu 0xfffd
	v_cndmask_b32_e32 v47, 0, v47, vcc_lo
	v_cmp_ngt_f32_e32 vcc_lo, 0xc2ce8ed0, v75
	v_add_f32_e32 v51, v72, v84
	v_cvt_i32_f32_e32 v52, v85
	v_sub_f32_e32 v72, v39, v23
	v_mul_f32_e32 v84, 0x3fb8aa3b, v43
	s_wait_alu 0xfffd
	v_cndmask_b32_e32 v46, 0, v46, vcc_lo
	v_cmp_nlt_f32_e32 vcc_lo, 0x42b17218, v45
	v_exp_f32_e32 v51, v51
	v_rndne_f32_e32 v77, v76
	v_fma_f32 v87, 0x3fb8aa3b, v43, -v84
	v_rndne_f32_e32 v88, v84
	s_wait_alu 0xfffd
	v_cndmask_b32_e32 v45, 0x7f800000, v47, vcc_lo
	v_sub_f32_e32 v47, v191, v23
	v_cmp_nlt_f32_e32 vcc_lo, 0x42b17218, v75
	v_fmac_f32_e32 v87, 0x32a5705f, v43
	s_delay_alu instid0(VALU_DEP_4) | instskip(NEXT) | instid1(VALU_DEP_4)
	v_cvt_f16_f32_e32 v75, v45
	v_mul_f32_e32 v78, 0x3fb8aa3b, v47
	s_wait_alu 0xfffd
	v_cndmask_b32_e32 v46, 0x7f800000, v46, vcc_lo
	v_cmp_ngt_f32_e32 vcc_lo, 0xc2ce8ed0, v83
	s_delay_alu instid0(VALU_DEP_3) | instskip(NEXT) | instid1(VALU_DEP_3)
	v_rndne_f32_e32 v82, v78
	v_add_f32_e32 v39, v45, v46
	v_ldexp_f32 v45, v51, v52
	v_fma_f32 v52, 0x3fb8aa3b, v47, -v78
	s_delay_alu instid0(VALU_DEP_4) | instskip(SKIP_2) | instid1(VALU_DEP_3)
	v_dual_mul_f32 v51, 0x3fb8aa3b, v72 :: v_dual_sub_f32 v78, v78, v82
	v_cvt_i32_f32_e32 v82, v82
	s_wait_alu 0xfffd
	v_dual_cndmask_b32 v45, 0, v45 :: v_dual_fmac_f32 v52, 0x32a5705f, v47
	s_delay_alu instid0(VALU_DEP_3)
	v_fma_f32 v85, 0x3fb8aa3b, v72, -v51
	v_rndne_f32_e32 v86, v51
	v_cmp_nlt_f32_e32 vcc_lo, 0x42b17218, v83
	v_cvt_f16_f32_e32 v46, v46
	v_add_f32_e32 v52, v78, v52
	v_fmac_f32_e32 v85, 0x32a5705f, v72
	v_dual_sub_f32 v51, v51, v86 :: v_dual_sub_f32 v78, v84, v88
	s_wait_alu 0xfffd
	v_cndmask_b32_e32 v45, 0x7f800000, v45, vcc_lo
	v_exp_f32_e32 v52, v52
	v_cmp_ngt_f32_e32 vcc_lo, 0xc2ce8ed0, v47
	v_dual_add_f32 v51, v51, v85 :: v_dual_add_f32 v78, v78, v87
	s_delay_alu instid0(VALU_DEP_3) | instskip(SKIP_1) | instid1(VALU_DEP_3)
	v_cvt_f16_f32_e32 v83, v45
	v_fmac_f32_e32 v39, v190, v45
	v_exp_f32_e32 v51, v51
	s_delay_alu instid0(VALU_DEP_3) | instskip(NEXT) | instid1(TRANS32_DEP_3)
	v_exp_f32_e32 v78, v78
	v_ldexp_f32 v45, v52, v82
	v_cvt_i32_f32_e32 v82, v86
	v_and_b32_e32 v52, 0xffff, v83
	v_cvt_i32_f32_e32 v83, v88
	v_sub_f32_e32 v88, v186, v25
	s_wait_alu 0xfffd
	v_cndmask_b32_e32 v45, 0, v45, vcc_lo
	v_cmp_nlt_f32_e32 vcc_lo, 0x42b17218, v47
	v_ldexp_f32 v51, v51, v82
	v_ldexp_f32 v78, v78, v83
	v_sub_f32_e32 v82, v40, v24
	v_mul_u32_u24_e32 v52, 0x10001, v52
	s_wait_alu 0xfffd
	v_cndmask_b32_e32 v45, 0x7f800000, v45, vcc_lo
	v_cmp_ngt_f32_e32 vcc_lo, 0xc2ce8ed0, v72
	s_wait_alu 0xfffd
	v_cndmask_b32_e32 v47, 0, v51, vcc_lo
	v_cmp_ngt_f32_e32 vcc_lo, 0xc2ce8ed0, v43
	v_mul_u32_u24_e32 v32, 0x10001, v32
	s_wait_alu 0xfffd
	v_cndmask_b32_e32 v51, 0, v78, vcc_lo
	v_cmp_nlt_f32_e32 vcc_lo, 0x42b17218, v72
	v_cvt_f16_f32_e32 v78, v45
	v_pk_mul_f16 v32, v139, v32
	s_wait_alu 0xfffd
	v_cndmask_b32_e32 v47, 0x7f800000, v47, vcc_lo
	v_cmp_nlt_f32_e32 vcc_lo, 0x42b17218, v43
	v_and_b32_e32 v72, 0xffff, v78
	v_mul_f32_e32 v78, 0x3fb8aa3b, v82
	s_delay_alu instid0(VALU_DEP_4)
	v_cvt_f16_f32_e32 v83, v47
	s_wait_alu 0xfffd
	v_cndmask_b32_e32 v43, 0x7f800000, v51, vcc_lo
	v_pk_mul_f16 v51, v136, v52
	v_rndne_f32_e32 v84, v78
	v_cmp_ngt_f32_e32 vcc_lo, 0xc2ce8ed0, v82
	v_pack_b32_f16 v75, v75, v83
	v_add_f32_e32 v40, v47, v43
	v_mul_u32_u24_e32 v47, 0x10001, v72
	v_fma_f32 v72, 0x3fb8aa3b, v82, -v78
	v_cvt_f16_f32_e32 v43, v43
	s_delay_alu instid0(VALU_DEP_4) | instskip(NEXT) | instid1(VALU_DEP_3)
	v_dual_fmac_f32 v40, v189, v45 :: v_dual_sub_f32 v45, v78, v84
	v_fmac_f32_e32 v72, 0x32a5705f, v82
	v_sub_f32_e32 v78, v188, v24
	v_pk_mul_f16 v52, v135, v47
	v_pack_b32_f16 v47, v46, v43
	v_cvt_i32_f32_e32 v84, v84
	v_add_f32_e32 v45, v45, v72
	v_pack_b32_f16 v72, v53, v54
	v_mul_f32_e32 v53, 0x3fb8aa3b, v78
	v_fma_f32 v54, 0x3fb8aa3b, v41, -v76
	v_sub_f32_e32 v76, v76, v77
	v_exp_f32_e32 v43, v45
	v_pack_b32_f16 v46, v80, v81
	v_fma_f32 v83, 0x3fb8aa3b, v78, -v53
	v_rndne_f32_e32 v85, v53
	v_fmac_f32_e32 v54, 0x32a5705f, v41
	v_pack_b32_f16 v45, v55, v79
	ds_store_b128 v171, v[72:75]
	ds_store_b128 v171, v[44:47] offset:512
	v_fmac_f32_e32 v83, 0x32a5705f, v78
	v_dual_sub_f32 v53, v53, v85 :: v_dual_add_f32 v54, v76, v54
	v_ldexp_f32 v43, v43, v84
	v_cvt_i32_f32_e32 v55, v85
	s_delay_alu instid0(VALU_DEP_3) | instskip(NEXT) | instid1(VALU_DEP_4)
	v_dual_mul_f32 v76, 0x3fb8aa3b, v42 :: v_dual_add_f32 v53, v53, v83
	v_exp_f32_e32 v48, v54
	s_wait_alu 0xfffd
	v_cndmask_b32_e32 v43, 0, v43, vcc_lo
	v_cmp_nlt_f32_e32 vcc_lo, 0x42b17218, v82
	v_cvt_i32_f32_e32 v54, v77
	v_exp_f32_e32 v53, v53
	v_fma_f32 v46, 0x3fb8aa3b, v42, -v76
	s_wait_alu 0xfffd
	v_cndmask_b32_e32 v43, 0x7f800000, v43, vcc_lo
	v_cmp_ngt_f32_e32 vcc_lo, 0xc2ce8ed0, v41
	v_ldexp_f32 v44, v48, v54
	v_rndne_f32_e32 v48, v76
	v_fmac_f32_e32 v46, 0x32a5705f, v42
	v_cvt_f16_f32_e32 v47, v43
	s_delay_alu instid0(TRANS32_DEP_1)
	v_ldexp_f32 v45, v53, v55
	s_wait_alu 0xfffd
	v_cndmask_b32_e32 v44, 0, v44, vcc_lo
	v_cmp_ngt_f32_e32 vcc_lo, 0xc2ce8ed0, v78
	v_sub_f32_e32 v53, v76, v48
	v_dual_sub_f32 v55, v15, v25 :: v_dual_mul_f32 v54, 0x3fb8aa3b, v88
	s_wait_alu 0xfffd
	v_cndmask_b32_e32 v45, 0, v45, vcc_lo
	v_cmp_nlt_f32_e32 vcc_lo, 0x42b17218, v41
	v_add_f32_e32 v46, v53, v46
	s_wait_alu 0xfffd
	v_cndmask_b32_e32 v44, 0x7f800000, v44, vcc_lo
	v_cmp_nlt_f32_e32 vcc_lo, 0x42b17218, v78
	s_delay_alu instid0(VALU_DEP_2)
	v_add_f32_e32 v41, v43, v44
	s_wait_alu 0xfffd
	v_cndmask_b32_e32 v45, 0x7f800000, v45, vcc_lo
	v_cvt_f16_f32_e32 v15, v44
	v_exp_f32_e32 v44, v46
	v_mul_f32_e32 v46, 0x3fb8aa3b, v55
	v_cmp_ngt_f32_e32 vcc_lo, 0xc2ce8ed0, v42
	v_cvt_f16_f32_e32 v43, v45
	v_fmac_f32_e32 v41, v187, v45
	v_cvt_i32_f32_e32 v45, v48
	v_fma_f32 v48, 0x3fb8aa3b, v55, -v46
	v_rndne_f32_e32 v53, v46
	v_and_b32_e32 v43, 0xffff, v43
	s_delay_alu instid0(VALU_DEP_3) | instskip(NEXT) | instid1(VALU_DEP_3)
	v_fmac_f32_e32 v48, 0x32a5705f, v55
	v_cvt_i32_f32_e32 v92, v53
	s_delay_alu instid0(VALU_DEP_3)
	v_mul_u32_u24_e32 v89, 0x10001, v43
	v_ldexp_f32 v43, v44, v45
	v_sub_f32_e32 v44, v46, v53
	v_fma_f32 v45, 0x3fb8aa3b, v88, -v54
	v_rndne_f32_e32 v46, v54
	v_pk_mul_f16 v89, v134, v89
	s_wait_alu 0xfffd
	v_cndmask_b32_e32 v43, 0, v43, vcc_lo
	v_cmp_nlt_f32_e32 vcc_lo, 0x42b17218, v42
	v_add_f32_e32 v44, v44, v48
	v_dual_fmac_f32 v45, 0x32a5705f, v88 :: v_dual_sub_f32 v48, v54, v46
	s_wait_alu 0xfffd
	v_cndmask_b32_e32 v90, 0x7f800000, v43, vcc_lo
	s_wait_alu 0xfffe
	v_add_co_u32 v42, vcc_lo, s30, v64
	v_exp_f32_e32 v91, v44
	s_wait_alu 0xfffd
	v_add_co_ci_u32_e64 v43, null, s31, v65, vcc_lo
	v_add_co_u32 v44, vcc_lo, s30, v66
	v_add_f32_e32 v48, v48, v45
	s_wait_alu 0xfffd
	v_add_co_ci_u32_e64 v45, null, s31, v67, vcc_lo
	v_add_co_u32 v42, vcc_lo, v42, v170
	s_wait_alu 0xfffd
	v_add_co_ci_u32_e64 v43, null, 0, v43, vcc_lo
	v_add_co_u32 v44, vcc_lo, v44, v170
	;; [unrolled: 3-line block ×6, first 2 shown]
	s_wait_alu 0xfffd
	v_add_co_ci_u32_e64 v85, null, 0, v73, vcc_lo
	s_clause 0x3
	global_load_b128 v[72:75], v[42:43], off
	global_load_b128 v[76:79], v[44:45], off
	global_load_b128 v[80:83], v[53:54], off
	global_load_b128 v[84:87], v[84:85], off
	v_exp_f32_e32 v48, v48
	v_ldexp_f32 v42, v91, v92
	v_cmp_ngt_f32_e32 vcc_lo, 0xc2ce8ed0, v55
	v_cvt_i32_f32_e32 v43, v46
	v_dual_mul_f32 v44, 0x3fb8aa3b, v3 :: v_dual_sub_f32 v91, v184, v26
	v_cvt_f16_f32_e32 v53, v90
	s_wait_alu 0xfffd
	v_cndmask_b32_e32 v42, 0, v42, vcc_lo
	v_cmp_nlt_f32_e32 vcc_lo, 0x42b17218, v55
	v_fma_f32 v46, 0x3fb8aa3b, v3, -v44
	v_ldexp_f32 v43, v48, v43
	v_rndne_f32_e32 v48, v44
	s_wait_alu 0xfffd
	v_cndmask_b32_e32 v45, 0x7f800000, v42, vcc_lo
	v_mul_f32_e32 v42, 0x3fb8aa3b, v4
	v_cmp_ngt_f32_e32 vcc_lo, 0xc2ce8ed0, v88
	v_fmac_f32_e32 v46, 0x32a5705f, v3
	v_sub_f32_e32 v44, v44, v48
	v_cvt_i32_f32_e32 v48, v48
	v_fma_f32 v54, 0x3fb8aa3b, v4, -v42
	v_rndne_f32_e32 v55, v42
	s_wait_alu 0xfffd
	v_cndmask_b32_e32 v43, 0, v43, vcc_lo
	v_cmp_nlt_f32_e32 vcc_lo, 0x42b17218, v88
	v_add_f32_e32 v44, v44, v46
	v_fmac_f32_e32 v54, 0x32a5705f, v4
	v_sub_f32_e32 v88, v42, v55
	s_wait_alu 0xfffd
	v_dual_add_f32 v42, v90, v45 :: v_dual_cndmask_b32 v43, 0x7f800000, v43
	v_exp_f32_e32 v44, v44
	v_cvt_i32_f32_e32 v55, v55
	v_add_f32_e32 v46, v88, v54
	v_mul_f32_e32 v54, 0x3fb8aa3b, v91
	v_cvt_f16_f32_e32 v90, v43
	v_cvt_f16_f32_e32 v88, v45
	v_fmac_f32_e32 v42, v185, v43
	v_exp_f32_e32 v46, v46
	v_rndne_f32_e32 v92, v54
	v_and_b32_e32 v45, 0xffff, v90
	v_fma_f32 v90, 0x3fb8aa3b, v91, -v54
	v_ldexp_f32 v43, v44, v48
	v_cmp_ngt_f32_e32 vcc_lo, 0xc2ce8ed0, v3
	v_sub_f32_e32 v54, v54, v92
	v_mul_u32_u24_e32 v45, 0x10001, v45
	v_fmac_f32_e32 v90, 0x32a5705f, v91
	s_delay_alu instid0(TRANS32_DEP_1)
	v_ldexp_f32 v44, v46, v55
	s_wait_alu 0xfffd
	v_cndmask_b32_e32 v43, 0, v43, vcc_lo
	v_cmp_ngt_f32_e32 vcc_lo, 0xc2ce8ed0, v4
	v_pk_mul_f16 v93, v133, v45
	v_dual_add_f32 v45, v54, v90 :: v_dual_mul_f32 v46, 0x3fb8aa3b, v7
	s_wait_alu 0xfffd
	v_cndmask_b32_e32 v44, 0, v44, vcc_lo
	v_cmp_nlt_f32_e32 vcc_lo, 0x42b17218, v3
	s_delay_alu instid0(VALU_DEP_3)
	v_exp_f32_e32 v45, v45
	v_fma_f32 v54, 0x3fb8aa3b, v7, -v46
	v_rndne_f32_e32 v55, v46
	s_wait_alu 0xfffd
	v_cndmask_b32_e32 v3, 0x7f800000, v43, vcc_lo
	v_cmp_nlt_f32_e32 vcc_lo, 0x42b17218, v4
	v_fmac_f32_e32 v54, 0x32a5705f, v7
	s_delay_alu instid0(VALU_DEP_3) | instskip(SKIP_4) | instid1(VALU_DEP_3)
	v_cvt_f16_f32_e32 v48, v3
	s_wait_alu 0xfffd
	v_cndmask_b32_e32 v4, 0x7f800000, v44, vcc_lo
	v_cvt_i32_f32_e32 v44, v92
	v_cmp_ngt_f32_e32 vcc_lo, 0xc2ce8ed0, v91
	v_add_f32_e32 v43, v3, v4
	s_delay_alu instid0(VALU_DEP_3) | instskip(SKIP_4) | instid1(VALU_DEP_3)
	v_ldexp_f32 v3, v45, v44
	v_sub_f32_e32 v44, v183, v27
	v_sub_f32_e32 v45, v46, v55
	v_cvt_i32_f32_e32 v55, v55
	s_wait_alu 0xfffd
	v_dual_cndmask_b32 v3, 0, v3 :: v_dual_mul_f32 v46, 0x3fb8aa3b, v44
	s_delay_alu instid0(VALU_DEP_3) | instskip(SKIP_1) | instid1(VALU_DEP_3)
	v_dual_add_f32 v45, v45, v54 :: v_dual_mul_f32 v54, 0x3fb8aa3b, v5
	v_cmp_nlt_f32_e32 vcc_lo, 0x42b17218, v91
	v_fma_f32 v90, 0x3fb8aa3b, v44, -v46
	v_rndne_f32_e32 v91, v46
	s_delay_alu instid0(VALU_DEP_4)
	v_exp_f32_e32 v45, v45
	v_fma_f32 v92, 0x3fb8aa3b, v5, -v54
	v_rndne_f32_e32 v94, v54
	v_fmac_f32_e32 v90, 0x32a5705f, v44
	v_sub_f32_e32 v46, v46, v91
	s_wait_alu 0xfffd
	v_cndmask_b32_e32 v3, 0x7f800000, v3, vcc_lo
	v_fmac_f32_e32 v92, 0x32a5705f, v5
	v_sub_f32_e32 v54, v54, v94
	v_cmp_ngt_f32_e32 vcc_lo, 0xc2ce8ed0, v7
	v_add_f32_e32 v46, v46, v90
	v_cvt_f16_f32_e32 v90, v4
	v_ldexp_f32 v4, v45, v55
	v_add_f32_e32 v45, v54, v92
	v_cvt_i32_f32_e32 v55, v91
	v_exp_f32_e32 v46, v46
	v_cvt_f16_f32_e32 v95, v3
	s_wait_alu 0xfffd
	v_cndmask_b32_e32 v4, 0, v4, vcc_lo
	v_exp_f32_e32 v45, v45
	v_cmp_nlt_f32_e32 vcc_lo, 0x42b17218, v7
	v_cvt_i32_f32_e32 v7, v94
	v_fmac_f32_e32 v43, v182, v3
	v_and_b32_e32 v54, 0xffff, v95
	v_sub_f32_e32 v92, v180, v28
	s_wait_alu 0xfffd
	v_cndmask_b32_e32 v4, 0x7f800000, v4, vcc_lo
	v_ldexp_f32 v3, v46, v55
	v_cmp_ngt_f32_e32 vcc_lo, 0xc2ce8ed0, v44
	v_mul_u32_u24_e32 v54, 0x10001, v54
	v_ldexp_f32 v7, v45, v7
	v_dual_mul_f32 v45, 0x3fb8aa3b, v9 :: v_dual_mul_f32 v94, 0x3fb8aa3b, v6
	s_wait_alu 0xfffd
	v_cndmask_b32_e32 v3, 0, v3, vcc_lo
	v_cmp_ngt_f32_e32 vcc_lo, 0xc2ce8ed0, v5
	v_pk_mul_f16 v91, v132, v54
	v_rndne_f32_e32 v46, v45
	v_cvt_f16_f32_e32 v54, v4
	v_rndne_f32_e32 v95, v94
	s_wait_alu 0xfffd
	v_cndmask_b32_e32 v7, 0, v7, vcc_lo
	v_cmp_nlt_f32_e32 vcc_lo, 0x42b17218, v44
	s_wait_alu 0xfffd
	v_cndmask_b32_e32 v3, 0x7f800000, v3, vcc_lo
	v_cmp_nlt_f32_e32 vcc_lo, 0x42b17218, v5
	s_delay_alu instid0(VALU_DEP_2)
	v_cvt_f16_f32_e32 v55, v3
	s_wait_alu 0xfffd
	v_cndmask_b32_e32 v5, 0x7f800000, v7, vcc_lo
	v_fma_f32 v7, 0x3fb8aa3b, v9, -v45
	v_sub_f32_e32 v45, v45, v46
	v_cvt_i32_f32_e32 v46, v46
	s_delay_alu instid0(VALU_DEP_4) | instskip(NEXT) | instid1(VALU_DEP_4)
	v_dual_add_f32 v44, v4, v5 :: v_dual_and_b32 v55, 0xffff, v55
	v_fmac_f32_e32 v7, 0x32a5705f, v9
	v_mul_f32_e32 v4, 0x3fb8aa3b, v92
	v_cvt_f16_f32_e32 v112, v5
	s_delay_alu instid0(VALU_DEP_4)
	v_mul_u32_u24_e32 v5, 0x10001, v55
	v_fmac_f32_e32 v44, v181, v3
	v_add_f32_e32 v7, v45, v7
	v_fma_f32 v45, 0x3fb8aa3b, v6, -v94
	v_fma_f32 v110, 0x3fb8aa3b, v92, -v4
	v_rndne_f32_e32 v111, v4
	v_sub_f32_e32 v94, v94, v95
	v_exp_f32_e32 v7, v7
	s_delay_alu instid0(VALU_DEP_3) | instskip(NEXT) | instid1(VALU_DEP_3)
	v_dual_fmac_f32 v45, 0x32a5705f, v6 :: v_dual_fmac_f32 v110, 0x32a5705f, v92
	v_sub_f32_e32 v4, v4, v111
	v_pk_mul_f16 v55, v131, v5
	v_cmp_ngt_f32_e32 vcc_lo, 0xc2ce8ed0, v9
	s_delay_alu instid0(VALU_DEP_3) | instskip(NEXT) | instid1(TRANS32_DEP_1)
	v_dual_add_f32 v45, v94, v45 :: v_dual_add_f32 v4, v4, v110
	v_ldexp_f32 v3, v7, v46
	s_delay_alu instid0(VALU_DEP_2) | instskip(SKIP_1) | instid1(VALU_DEP_3)
	v_exp_f32_e32 v5, v45
	v_sub_f32_e32 v7, v11, v29
	v_exp_f32_e32 v4, v4
	v_cvt_i32_f32_e32 v11, v95
	s_wait_alu 0xfffd
	v_cndmask_b32_e32 v3, 0, v3, vcc_lo
	v_cmp_nlt_f32_e32 vcc_lo, 0x42b17218, v9
	v_cvt_i32_f32_e32 v45, v111
	v_mul_f32_e32 v46, 0x3fb8aa3b, v7
	s_wait_alu 0xfffd
	v_cndmask_b32_e32 v3, 0x7f800000, v3, vcc_lo
	v_ldexp_f32 v5, v5, v11
	v_cmp_ngt_f32_e32 vcc_lo, 0xc2ce8ed0, v6
	v_ldexp_f32 v4, v4, v45
	v_fma_f32 v9, 0x3fb8aa3b, v7, -v46
	v_rndne_f32_e32 v11, v46
	s_wait_alu 0xfffd
	v_cndmask_b32_e32 v5, 0, v5, vcc_lo
	v_cmp_ngt_f32_e32 vcc_lo, 0xc2ce8ed0, v92
	v_fmac_f32_e32 v9, 0x32a5705f, v7
	s_wait_alu 0xfffd
	v_dual_sub_f32 v45, v46, v11 :: v_dual_cndmask_b32 v4, 0, v4
	v_cmp_nlt_f32_e32 vcc_lo, 0x42b17218, v6
	s_delay_alu instid0(VALU_DEP_2)
	v_dual_add_f32 v6, v45, v9 :: v_dual_mul_f32 v9, 0x3fb8aa3b, v10
	s_wait_alu 0xfffd
	v_cndmask_b32_e32 v5, 0x7f800000, v5, vcc_lo
	v_cmp_nlt_f32_e32 vcc_lo, 0x42b17218, v92
	v_cvt_f16_f32_e32 v92, v3
	v_exp_f32_e32 v6, v6
	v_fma_f32 v46, 0x3fb8aa3b, v10, -v9
	s_wait_alu 0xfffd
	v_dual_add_f32 v45, v3, v5 :: v_dual_cndmask_b32 v4, 0x7f800000, v4
	v_rndne_f32_e32 v94, v9
	v_cvt_f16_f32_e32 v95, v5
	v_cvt_i32_f32_e32 v5, v11
	v_sub_f32_e32 v11, v178, v29
	v_cvt_f16_f32_e32 v3, v4
	v_fmac_f32_e32 v46, 0x32a5705f, v10
	v_sub_f32_e32 v9, v9, v94
	v_fmac_f32_e32 v45, v179, v4
	v_cmp_ngt_f32_e32 vcc_lo, 0xc2ce8ed0, v7
	s_delay_alu instid0(VALU_DEP_3) | instskip(NEXT) | instid1(VALU_DEP_1)
	v_dual_add_f32 v4, v9, v46 :: v_dual_and_b32 v3, 0xffff, v3
	v_mul_u32_u24_e32 v110, 0x10001, v3
	v_ldexp_f32 v3, v6, v5
	v_dual_mul_f32 v5, 0x3fb8aa3b, v11 :: v_dual_sub_f32 v6, v13, v30
	s_delay_alu instid0(VALU_DEP_4) | instskip(SKIP_1) | instid1(VALU_DEP_2)
	v_exp_f32_e32 v4, v4
	s_wait_alu 0xfffd
	v_cndmask_b32_e32 v3, 0, v3, vcc_lo
	s_delay_alu instid0(VALU_DEP_2)
	v_fma_f32 v9, 0x3fb8aa3b, v11, -v5
	v_rndne_f32_e32 v13, v5
	v_mul_f32_e32 v46, 0x3fb8aa3b, v6
	v_cmp_nlt_f32_e32 vcc_lo, 0x42b17218, v7
	v_cvt_i32_f32_e32 v7, v94
	v_fmac_f32_e32 v9, 0x32a5705f, v11
	v_sub_f32_e32 v5, v5, v13
	v_fma_f32 v94, 0x3fb8aa3b, v6, -v46
	v_rndne_f32_e32 v111, v46
	s_wait_alu 0xfffd
	v_cndmask_b32_e32 v3, 0x7f800000, v3, vcc_lo
	v_ldexp_f32 v4, v4, v7
	v_dual_add_f32 v5, v5, v9 :: v_dual_fmac_f32 v94, 0x32a5705f, v6
	v_sub_f32_e32 v7, v46, v111
	v_mul_f32_e32 v9, 0x3fb8aa3b, v12
	v_cmp_ngt_f32_e32 vcc_lo, 0xc2ce8ed0, v10
	s_delay_alu instid0(VALU_DEP_4) | instskip(NEXT) | instid1(VALU_DEP_3)
	v_exp_f32_e32 v5, v5
	v_add_f32_e32 v7, v7, v94
	s_delay_alu instid0(VALU_DEP_3)
	v_fma_f32 v94, 0x3fb8aa3b, v12, -v9
	s_wait_alu 0xfffd
	v_cndmask_b32_e32 v4, 0, v4, vcc_lo
	v_rndne_f32_e32 v113, v9
	v_cmp_nlt_f32_e32 vcc_lo, 0x42b17218, v10
	v_cvt_i32_f32_e32 v10, v13
	v_exp_f32_e32 v7, v7
	s_delay_alu instid0(VALU_DEP_3)
	v_dual_fmac_f32 v94, 0x32a5705f, v12 :: v_dual_sub_f32 v9, v9, v113
	s_wait_alu 0xfffd
	v_cndmask_b32_e32 v4, 0x7f800000, v4, vcc_lo
	v_ldexp_f32 v5, v5, v10
	v_cmp_ngt_f32_e32 vcc_lo, 0xc2ce8ed0, v11
	v_cvt_f16_f32_e32 v13, v3
	s_delay_alu instid0(VALU_DEP_4)
	v_dual_add_f32 v9, v9, v94 :: v_dual_add_f32 v46, v3, v4
	v_cvt_i32_f32_e32 v3, v111
	s_wait_alu 0xfffd
	v_cndmask_b32_e32 v5, 0, v5, vcc_lo
	v_cmp_nlt_f32_e32 vcc_lo, 0x42b17218, v11
	v_cvt_f16_f32_e32 v10, v4
	v_exp_f32_e32 v4, v9
	v_ldexp_f32 v3, v7, v3
	v_cvt_i32_f32_e32 v9, v113
	s_wait_alu 0xfffd
	v_cndmask_b32_e32 v7, 0x7f800000, v5, vcc_lo
	v_cmp_ngt_f32_e32 vcc_lo, 0xc2ce8ed0, v6
	v_sub_f32_e32 v5, v177, v30
	s_delay_alu instid0(VALU_DEP_3)
	v_cvt_f16_f32_e32 v111, v7
	s_wait_alu 0xfffd
	v_cndmask_b32_e32 v3, 0, v3, vcc_lo
	v_cmp_nlt_f32_e32 vcc_lo, 0x42b17218, v6
	v_mul_f32_e32 v6, 0x3fb8aa3b, v0
	v_fmac_f32_e32 v46, v175, v7
	s_wait_alu 0xfffd
	v_cndmask_b32_e32 v94, 0x7f800000, v3, vcc_lo
	v_ldexp_f32 v3, v4, v9
	v_cmp_ngt_f32_e32 vcc_lo, 0xc2ce8ed0, v12
	v_fma_f32 v113, 0x3fb8aa3b, v0, -v6
	v_rndne_f32_e32 v114, v6
	v_mul_f32_e32 v4, 0x3fb8aa3b, v5
	v_cvt_f16_f32_e32 v9, v94
	s_wait_alu 0xfffd
	v_cndmask_b32_e32 v3, 0, v3, vcc_lo
	v_cmp_nlt_f32_e32 vcc_lo, 0x42b17218, v12
	v_dual_fmac_f32 v113, 0x32a5705f, v0 :: v_dual_sub_f32 v6, v6, v114
	v_fma_f32 v11, 0x3fb8aa3b, v5, -v4
	v_sub_f32_e32 v12, v176, v31
	s_wait_alu 0xfffd
	v_cndmask_b32_e32 v115, 0x7f800000, v3, vcc_lo
	v_mul_f32_e32 v3, 0x3fb8aa3b, v1
	v_rndne_f32_e32 v116, v4
	v_add_f32_e32 v6, v6, v113
	v_fmac_f32_e32 v11, 0x32a5705f, v5
	v_mul_f32_e32 v113, 0x3fb8aa3b, v12
	v_fma_f32 v117, 0x3fb8aa3b, v1, -v3
	v_rndne_f32_e32 v118, v3
	v_sub_f32_e32 v4, v4, v116
	v_exp_f32_e32 v6, v6
	v_fma_f32 v119, 0x3fb8aa3b, v12, -v113
	v_fmac_f32_e32 v117, 0x32a5705f, v1
	v_sub_f32_e32 v3, v3, v118
	v_rndne_f32_e32 v120, v113
	v_add_f32_e32 v4, v4, v11
	v_cvt_i32_f32_e32 v11, v114
	v_fmac_f32_e32 v119, 0x32a5705f, v12
	v_add_f32_e32 v3, v3, v117
	v_sub_f32_e32 v113, v113, v120
	v_cmp_ngt_f32_e32 vcc_lo, 0xc2ce8ed0, v0
	v_ldexp_f32 v6, v6, v11
	v_exp_f32_e32 v4, v4
	v_exp_f32_e32 v3, v3
	v_add_f32_e32 v11, v113, v119
	v_cvt_i32_f32_e32 v113, v116
	v_cvt_i32_f32_e32 v116, v118
	s_wait_alu 0xfffd
	v_cndmask_b32_e32 v6, 0, v6, vcc_lo
	v_cmp_nlt_f32_e32 vcc_lo, 0x42b17218, v0
	v_exp_f32_e32 v11, v11
	v_cvt_f16_f32_e32 v114, v115
	v_ldexp_f32 v4, v4, v113
	v_ldexp_f32 v3, v3, v116
	s_wait_alu 0xfffd
	v_cndmask_b32_e32 v0, 0x7f800000, v6, vcc_lo
	v_cmp_ngt_f32_e32 vcc_lo, 0xc2ce8ed0, v1
	v_cvt_i32_f32_e32 v6, v120
	s_wait_alu 0xfffd
	v_cndmask_b32_e32 v3, 0, v3, vcc_lo
	v_cmp_ngt_f32_e32 vcc_lo, 0xc2ce8ed0, v5
	s_delay_alu instid0(VALU_DEP_3)
	v_ldexp_f32 v6, v11, v6
	v_cvt_f16_f32_e32 v11, v0
	s_wait_alu 0xfffd
	v_cndmask_b32_e32 v4, 0, v4, vcc_lo
	v_cmp_nlt_f32_e32 vcc_lo, 0x42b17218, v1
	s_wait_alu 0xfffd
	v_cndmask_b32_e32 v1, 0x7f800000, v3, vcc_lo
	v_cmp_ngt_f32_e32 vcc_lo, 0xc2ce8ed0, v12
	s_delay_alu instid0(VALU_DEP_2)
	v_cvt_f16_f32_e32 v116, v1
	s_wait_alu 0xfffd
	v_cndmask_b32_e32 v3, 0, v6, vcc_lo
	v_cmp_nlt_f32_e32 vcc_lo, 0x42b17218, v5
	v_pack_b32_f16 v6, v9, v11
	v_pack_b32_f16 v5, v92, v13
	;; [unrolled: 1-line block ×4, first 2 shown]
	s_wait_alu 0xfffd
	v_cndmask_b32_e32 v113, 0x7f800000, v4, vcc_lo
	v_cmp_nlt_f32_e32 vcc_lo, 0x42b17218, v12
	v_pack_b32_f16 v4, v48, v54
	v_pack_b32_f16 v12, v114, v116
	;; [unrolled: 1-line block ×3, first 2 shown]
	v_cvt_f16_f32_e32 v15, v113
	s_wait_alu 0xfffd
	v_cndmask_b32_e32 v117, 0x7f800000, v3, vcc_lo
	v_pack_b32_f16 v3, v47, v53
	ds_store_b128 v171, v[3:6] offset:1024
	ds_store_b128 v171, v[9:12] offset:1536
	s_wait_loadcnt 0x3
	ds_store_b128 v165, v[72:75]
	s_wait_loadcnt 0x2
	ds_store_b128 v167, v[76:79]
	;; [unrolled: 2-line block ×4, first 2 shown]
	s_wait_dscnt 0x0
	s_barrier_signal -1
	s_barrier_wait -1
	global_inv scope:SCOPE_SE
	ds_load_b128 v[3:6], v109
	v_and_b32_e32 v13, 0xffff, v111
	v_cvt_f16_f32_e32 v47, v117
	v_dual_add_f32 v48, v0, v1 :: v_dual_and_b32 v9, 0xffff, v15
	v_pk_mul_f16 v84, v130, v110
	s_delay_alu instid0(VALU_DEP_4) | instskip(NEXT) | instid1(VALU_DEP_4)
	v_mul_u32_u24_e32 v10, 0x10001, v13
	v_and_b32_e32 v7, 0xffff, v47
	s_delay_alu instid0(VALU_DEP_4) | instskip(SKIP_1) | instid1(VALU_DEP_4)
	v_mul_u32_u24_e32 v9, 0x10001, v9
	v_add_f32_e32 v47, v94, v115
	v_pk_mul_f16 v1, v129, v10
	s_delay_alu instid0(VALU_DEP_4) | instskip(NEXT) | instid1(VALU_DEP_4)
	v_mul_u32_u24_e32 v0, 0x10001, v7
	v_pk_mul_f16 v7, v128, v9
	ds_load_2addr_b32 v[53:54], v107 offset1:32
	ds_load_b128 v[9:12], v109 offset:16
	ds_load_b128 v[72:75], v109 offset:1024
	;; [unrolled: 1-line block ×4, first 2 shown]
	v_fmac_f32_e32 v47, v173, v113
	v_pk_mul_f16 v0, v127, v0
	s_wait_dscnt 0x5
	v_lshrrev_b32_e32 v13, 16, v3
	v_and_b32_e32 v3, 0xffff, v3
	v_lshrrev_b32_e32 v15, 16, v4
	v_lshrrev_b32_e32 v85, 16, v5
	v_and_b32_e32 v4, 0xffff, v4
	v_lshrrev_b32_e32 v86, 16, v6
	v_mul_u32_u24_e32 v87, 0x10001, v3
	v_and_b32_e32 v3, 0xffff, v5
	v_and_b32_e32 v5, 0xffff, v6
	v_mul_u32_u24_e32 v88, 0x10001, v4
	v_mul_u32_u24_e32 v13, 0x10001, v13
	;; [unrolled: 1-line block ×5, first 2 shown]
	ds_load_b128 v[3:6], v109 offset:1040
	s_wait_dscnt 0x3
	v_lshrrev_b32_e32 v94, 16, v72
	v_and_b32_e32 v72, 0xffff, v72
	v_lshrrev_b32_e32 v95, 16, v73
	v_lshrrev_b32_e32 v110, 16, v74
	;; [unrolled: 1-line block ×3, first 2 shown]
	v_and_b32_e32 v73, 0xffff, v73
	v_and_b32_e32 v74, 0xffff, v74
	;; [unrolled: 1-line block ×3, first 2 shown]
	v_mul_u32_u24_e32 v85, 0x10001, v85
	v_mul_u32_u24_e32 v86, 0x10001, v86
	v_mul_u32_u24_e32 v72, 0x10001, v72
	v_mul_u32_u24_e32 v94, 0x10001, v94
	v_mul_u32_u24_e32 v73, 0x10001, v73
	v_mul_u32_u24_e32 v95, 0x10001, v95
	v_mul_u32_u24_e32 v74, 0x10001, v74
	v_mul_u32_u24_e32 v110, 0x10001, v110
	v_mul_u32_u24_e32 v75, 0x10001, v75
	v_mul_u32_u24_e32 v111, 0x10001, v111
	v_pk_fma_f16 v2, v53, v87, v2
	v_pk_fma_f16 v8, v53, v13, v8
	;; [unrolled: 1-line block ×16, first 2 shown]
	v_lshrrev_b32_e32 v0, 16, v9
	v_and_b32_e32 v9, 0xffff, v9
	v_lshrrev_b32_e32 v74, 16, v10
	v_lshrrev_b32_e32 v75, 16, v11
	v_and_b32_e32 v10, 0xffff, v10
	s_wait_dscnt 0x0
	v_lshrrev_b32_e32 v85, 16, v3
	v_and_b32_e32 v3, 0xffff, v3
	v_lshrrev_b32_e32 v86, 16, v4
	v_lshrrev_b32_e32 v87, 16, v5
	v_mul_u32_u24_e32 v9, 0x10001, v9
	v_mul_u32_u24_e32 v0, 0x10001, v0
	v_mul_u32_u24_e32 v10, 0x10001, v10
	v_mul_u32_u24_e32 v74, 0x10001, v74
	v_mul_u32_u24_e32 v75, 0x10001, v75
	v_mul_u32_u24_e32 v3, 0x10001, v3
	v_mul_u32_u24_e32 v86, 0x10001, v86
	v_mul_u32_u24_e32 v87, 0x10001, v87
	v_lshrrev_b32_e32 v84, 16, v12
	v_and_b32_e32 v11, 0xffff, v11
	v_and_b32_e32 v12, 0xffff, v12
	;; [unrolled: 1-line block ×4, first 2 shown]
	v_pk_fma_f16 v89, v54, v9, v2
	v_pk_fma_f16 v90, v54, v0, v8
	;; [unrolled: 1-line block ×8, first 2 shown]
	ds_load_b128 v[0:3], v109 offset:1056
	v_mul_u32_u24_e32 v11, 0x10001, v11
	v_mul_u32_u24_e32 v12, 0x10001, v12
	;; [unrolled: 1-line block ×3, first 2 shown]
	v_lshrrev_b32_e32 v88, 16, v6
	v_mul_u32_u24_e32 v85, 0x10001, v85
	v_and_b32_e32 v6, 0xffff, v6
	v_mul_u32_u24_e32 v4, 0x10001, v4
	v_mul_u32_u24_e32 v5, 0x10001, v5
	v_pk_fma_f16 v11, v54, v11, v15
	v_pk_fma_f16 v12, v54, v12, v49
	v_mul_u32_u24_e32 v6, 0x10001, v6
	v_pk_fma_f16 v15, v54, v84, v50
	v_pk_fma_f16 v49, v54, v85, v52
	;; [unrolled: 1-line block ×4, first 2 shown]
	ds_load_2addr_b32 v[8:9], v107 offset0:64 offset1:96
	v_lshrrev_b32_e32 v4, 16, v76
	v_and_b32_e32 v5, 0xffff, v76
	v_mul_u32_u24_e32 v88, 0x10001, v88
	v_pk_fma_f16 v72, v54, v6, v7
	v_lshrrev_b32_e32 v6, 16, v77
	v_lshrrev_b32_e32 v7, 16, v78
	v_mul_u32_u24_e32 v74, 0x10001, v5
	v_and_b32_e32 v5, 0xffff, v78
	v_mul_u32_u24_e32 v75, 0x10001, v4
	v_and_b32_e32 v4, 0xffff, v79
	v_pk_fma_f16 v53, v54, v88, v53
	v_lshrrev_b32_e32 v54, 16, v79
	v_and_b32_e32 v73, 0xffff, v77
	v_mul_u32_u24_e32 v76, 0x10001, v6
	v_mul_u32_u24_e32 v77, 0x10001, v5
	;; [unrolled: 1-line block ×4, first 2 shown]
	ds_load_b128 v[4:7], v109 offset:1072
	s_wait_dscnt 0x2
	v_lshrrev_b32_e32 v84, 16, v0
	v_and_b32_e32 v0, 0xffff, v0
	v_lshrrev_b32_e32 v85, 16, v1
	v_and_b32_e32 v1, 0xffff, v1
	v_mul_u32_u24_e32 v73, 0x10001, v73
	v_lshrrev_b32_e32 v86, 16, v2
	v_mul_u32_u24_e32 v0, 0x10001, v0
	v_lshrrev_b32_e32 v87, 16, v3
	v_mul_u32_u24_e32 v1, 0x10001, v1
	v_and_b32_e32 v2, 0xffff, v2
	v_and_b32_e32 v3, 0xffff, v3
	s_wait_dscnt 0x1
	v_pk_fma_f16 v32, v8, v0, v32
	v_lshrrev_b32_e32 v0, 16, v80
	v_pk_fma_f16 v50, v8, v1, v50
	v_and_b32_e32 v1, 0xffff, v80
	v_mul_u32_u24_e32 v54, 0x10001, v54
	v_mul_u32_u24_e32 v2, 0x10001, v2
	;; [unrolled: 1-line block ×4, first 2 shown]
	v_pk_fma_f16 v10, v8, v73, v10
	v_pk_fma_f16 v13, v8, v76, v13
	v_mul_u32_u24_e32 v73, 0x10001, v1
	v_and_b32_e32 v1, 0xffff, v82
	v_mul_u32_u24_e32 v76, 0x10001, v0
	v_and_b32_e32 v0, 0xffff, v83
	v_pk_fma_f16 v14, v8, v78, v14
	v_pk_fma_f16 v15, v8, v54, v15
	v_pk_fma_f16 v52, v8, v2, v52
	v_pk_fma_f16 v54, v8, v86, v55
	v_pk_fma_f16 v55, v8, v3, v72
	v_lshrrev_b32_e32 v2, 16, v81
	v_lshrrev_b32_e32 v3, 16, v82
	v_mul_u32_u24_e32 v78, 0x10001, v1
	v_mul_u32_u24_e32 v80, 0x10001, v0
	s_wait_dscnt 0x0
	v_lshrrev_b32_e32 v0, 16, v4
	v_and_b32_e32 v1, 0xffff, v4
	v_mul_u32_u24_e32 v84, 0x10001, v84
	v_mul_u32_u24_e32 v85, 0x10001, v85
	;; [unrolled: 1-line block ×3, first 2 shown]
	v_pk_fma_f16 v11, v8, v77, v11
	v_pk_fma_f16 v12, v8, v79, v12
	v_and_b32_e32 v72, 0xffff, v81
	v_mul_u32_u24_e32 v77, 0x10001, v2
	v_mul_u32_u24_e32 v79, 0x10001, v3
	v_lshrrev_b32_e32 v2, 16, v5
	v_lshrrev_b32_e32 v3, 16, v6
	v_mul_u32_u24_e32 v81, 0x10001, v1
	v_and_b32_e32 v1, 0xffff, v6
	v_mul_u32_u24_e32 v6, 0x10001, v0
	v_and_b32_e32 v0, 0xffff, v7
	v_pk_fma_f16 v74, v8, v74, v89
	v_pk_fma_f16 v75, v8, v75, v90
	;; [unrolled: 1-line block ×5, first 2 shown]
	v_lshrrev_b32_e32 v53, 16, v83
	v_lshrrev_b32_e32 v4, 16, v7
	v_mul_u32_u24_e32 v7, 0x10001, v2
	v_mul_u32_u24_e32 v82, 0x10001, v1
	;; [unrolled: 1-line block ×4, first 2 shown]
	ds_load_b128 v[0:3], v109 offset:64
	v_and_b32_e32 v5, 0xffff, v5
	v_mul_u32_u24_e32 v72, 0x10001, v72
	v_mul_u32_u24_e32 v53, 0x10001, v53
	;; [unrolled: 1-line block ×3, first 2 shown]
	v_pk_fma_f16 v73, v9, v73, v74
	v_mul_u32_u24_e32 v5, 0x10001, v5
	v_pk_fma_f16 v74, v9, v76, v75
	v_pk_fma_f16 v76, v9, v78, v11
	;; [unrolled: 1-line block ×13, first 2 shown]
	s_wait_dscnt 0x0
	v_lshrrev_b32_e32 v78, 16, v0
	v_and_b32_e32 v0, 0xffff, v0
	v_pk_fma_f16 v54, v9, v84, v55
	v_pk_fma_f16 v55, v9, v4, v8
	ds_load_b128 v[4:7], v109 offset:1088
	ds_load_2addr_b32 v[12:13], v107 offset0:128 offset1:160
	ds_load_b128 v[8:11], v109 offset:80
	v_lshrrev_b32_e32 v79, 16, v1
	v_lshrrev_b32_e32 v80, 16, v2
	v_and_b32_e32 v1, 0xffff, v1
	v_mul_u32_u24_e32 v82, 0x10001, v0
	v_and_b32_e32 v0, 0xffff, v2
	v_and_b32_e32 v2, 0xffff, v3
	v_lshrrev_b32_e32 v81, 16, v3
	v_mul_u32_u24_e32 v83, 0x10001, v1
	v_mul_u32_u24_e32 v78, 0x10001, v78
	;; [unrolled: 1-line block ×4, first 2 shown]
	ds_load_b128 v[0:3], v109 offset:1104
	v_mul_u32_u24_e32 v79, 0x10001, v79
	v_mul_u32_u24_e32 v80, 0x10001, v80
	;; [unrolled: 1-line block ×3, first 2 shown]
	s_wait_dscnt 0x3
	v_lshrrev_b32_e32 v86, 16, v4
	v_and_b32_e32 v4, 0xffff, v4
	v_lshrrev_b32_e32 v87, 16, v5
	v_lshrrev_b32_e32 v88, 16, v6
	;; [unrolled: 1-line block ×3, first 2 shown]
	v_and_b32_e32 v5, 0xffff, v5
	v_and_b32_e32 v6, 0xffff, v6
	;; [unrolled: 1-line block ×3, first 2 shown]
	v_mul_u32_u24_e32 v4, 0x10001, v4
	v_mul_u32_u24_e32 v86, 0x10001, v86
	;; [unrolled: 1-line block ×8, first 2 shown]
	s_wait_dscnt 0x2
	v_pk_fma_f16 v73, v12, v82, v73
	v_pk_fma_f16 v74, v12, v78, v74
	;; [unrolled: 1-line block ×16, first 2 shown]
	s_wait_dscnt 0x0
	v_lshrrev_b32_e32 v55, 16, v0
	v_and_b32_e32 v0, 0xffff, v0
	v_lshrrev_b32_e32 v78, 16, v1
	v_lshrrev_b32_e32 v79, 16, v2
	v_and_b32_e32 v1, 0xffff, v1
	v_lshrrev_b32_e32 v80, 16, v3
	v_mul_u32_u24_e32 v81, 0x10001, v0
	v_and_b32_e32 v0, 0xffff, v2
	v_and_b32_e32 v2, 0xffff, v3
	v_mul_u32_u24_e32 v82, 0x10001, v1
	v_fmac_f32_e32 v48, v174, v117
	v_lshrrev_b32_e32 v51, 16, v8
	v_mul_u32_u24_e32 v83, 0x10001, v0
	v_mul_u32_u24_e32 v84, 0x10001, v2
	ds_load_b128 v[0:3], v109 offset:96
	v_and_b32_e32 v8, 0xffff, v8
	v_lshrrev_b32_e32 v52, 16, v9
	v_lshrrev_b32_e32 v53, 16, v10
	;; [unrolled: 1-line block ×3, first 2 shown]
	v_and_b32_e32 v9, 0xffff, v9
	v_and_b32_e32 v10, 0xffff, v10
	;; [unrolled: 1-line block ×3, first 2 shown]
	v_mul_u32_u24_e32 v8, 0x10001, v8
	v_mul_u32_u24_e32 v51, 0x10001, v51
	;; [unrolled: 1-line block ×12, first 2 shown]
	v_pk_fma_f16 v73, v13, v8, v73
	v_pk_fma_f16 v51, v13, v51, v74
	;; [unrolled: 1-line block ×16, first 2 shown]
	ds_load_b128 v[4:7], v109 offset:1120
	ds_load_2addr_b32 v[12:13], v107 offset0:192 offset1:224
	ds_load_b128 v[8:11], v109 offset:112
	s_wait_dscnt 0x3
	v_lshrrev_b32_e32 v78, 16, v0
	v_and_b32_e32 v0, 0xffff, v0
	v_lshrrev_b32_e32 v79, 16, v1
	v_lshrrev_b32_e32 v80, 16, v2
	v_and_b32_e32 v1, 0xffff, v1
	v_lshrrev_b32_e32 v81, 16, v3
	v_mul_u32_u24_e32 v82, 0x10001, v0
	v_and_b32_e32 v0, 0xffff, v2
	v_and_b32_e32 v2, 0xffff, v3
	v_mul_u32_u24_e32 v83, 0x10001, v1
	v_mul_u32_u24_e32 v78, 0x10001, v78
	;; [unrolled: 1-line block ×5, first 2 shown]
	ds_load_b128 v[0:3], v109 offset:1136
	v_mul_u32_u24_e32 v80, 0x10001, v80
	v_mul_u32_u24_e32 v81, 0x10001, v81
	s_wait_dscnt 0x3
	v_lshrrev_b32_e32 v86, 16, v4
	v_and_b32_e32 v4, 0xffff, v4
	v_lshrrev_b32_e32 v87, 16, v5
	v_lshrrev_b32_e32 v88, 16, v6
	;; [unrolled: 1-line block ×3, first 2 shown]
	v_and_b32_e32 v5, 0xffff, v5
	v_mul_u32_u24_e32 v4, 0x10001, v4
	v_and_b32_e32 v6, 0xffff, v6
	v_and_b32_e32 v7, 0xffff, v7
	v_mul_u32_u24_e32 v86, 0x10001, v86
	v_mul_u32_u24_e32 v5, 0x10001, v5
	;; [unrolled: 1-line block ×7, first 2 shown]
	s_wait_dscnt 0x2
	v_pk_fma_f16 v54, v12, v4, v54
	s_wait_dscnt 0x1
	v_lshrrev_b32_e32 v4, 16, v8
	v_pk_fma_f16 v73, v12, v82, v73
	v_pk_fma_f16 v51, v12, v78, v51
	;; [unrolled: 1-line block ×15, first 2 shown]
	v_lshrrev_b32_e32 v55, 16, v9
	v_lshrrev_b32_e32 v75, 16, v10
	v_mul_u32_u24_e32 v77, 0x10001, v4
	v_and_b32_e32 v4, 0xffff, v11
	v_lshrrev_b32_e32 v76, 16, v11
	v_mul_u32_u24_e32 v11, 0x10001, v55
	v_mul_u32_u24_e32 v55, 0x10001, v75
	s_wait_dscnt 0x0
	v_lshrrev_b32_e32 v78, 16, v1
	v_mul_u32_u24_e32 v75, 0x10001, v4
	v_lshrrev_b32_e32 v4, 16, v0
	v_lshrrev_b32_e32 v79, 16, v2
	;; [unrolled: 1-line block ×3, first 2 shown]
	v_and_b32_e32 v1, 0xffff, v1
	v_and_b32_e32 v2, 0xffff, v2
	;; [unrolled: 1-line block ×3, first 2 shown]
	v_mul_u32_u24_e32 v81, 0x10001, v4
	v_and_b32_e32 v0, 0xffff, v0
	v_mul_u32_u24_e32 v82, 0x10001, v1
	v_mul_u32_u24_e32 v83, 0x10001, v2
	;; [unrolled: 1-line block ×3, first 2 shown]
	ds_load_b128 v[1:4], v109 offset:128
	v_and_b32_e32 v8, 0xffff, v8
	v_and_b32_e32 v9, 0xffff, v9
	;; [unrolled: 1-line block ×3, first 2 shown]
	v_mul_u32_u24_e32 v0, 0x10001, v0
	v_mul_u32_u24_e32 v79, 0x10001, v79
	;; [unrolled: 1-line block ×8, first 2 shown]
	v_pk_fma_f16 v54, v13, v0, v54
	v_add_nc_u32_e32 v0, 0x400, v107
	v_pk_fma_f16 v50, v13, v79, v50
	v_pk_fma_f16 v73, v13, v8, v73
	;; [unrolled: 1-line block ×6, first 2 shown]
	s_wait_dscnt 0x0
	v_lshrrev_b32_e32 v79, 16, v1
	v_and_b32_e32 v1, 0xffff, v1
	v_pk_fma_f16 v55, v13, v55, v14
	v_pk_fma_f16 v53, v13, v75, v53
	;; [unrolled: 1-line block ×9, first 2 shown]
	ds_load_b128 v[5:8], v109 offset:1152
	ds_load_2addr_b32 v[13:14], v0 offset1:32
	ds_load_b128 v[9:12], v109 offset:144
	v_lshrrev_b32_e32 v80, 16, v2
	v_lshrrev_b32_e32 v81, 16, v3
	v_and_b32_e32 v2, 0xffff, v2
	v_mul_u32_u24_e32 v83, 0x10001, v1
	v_and_b32_e32 v1, 0xffff, v3
	v_and_b32_e32 v3, 0xffff, v4
	v_lshrrev_b32_e32 v82, 16, v4
	v_mul_u32_u24_e32 v84, 0x10001, v2
	v_mul_u32_u24_e32 v79, 0x10001, v79
	;; [unrolled: 1-line block ×4, first 2 shown]
	ds_load_b128 v[1:4], v109 offset:1168
	v_mul_u32_u24_e32 v80, 0x10001, v80
	v_mul_u32_u24_e32 v81, 0x10001, v81
	;; [unrolled: 1-line block ×3, first 2 shown]
	s_wait_dscnt 0x3
	v_lshrrev_b32_e32 v87, 16, v5
	v_and_b32_e32 v5, 0xffff, v5
	v_lshrrev_b32_e32 v88, 16, v6
	v_lshrrev_b32_e32 v89, 16, v7
	;; [unrolled: 1-line block ×3, first 2 shown]
	v_and_b32_e32 v6, 0xffff, v6
	v_and_b32_e32 v7, 0xffff, v7
	;; [unrolled: 1-line block ×3, first 2 shown]
	v_mul_u32_u24_e32 v5, 0x10001, v5
	v_mul_u32_u24_e32 v87, 0x10001, v87
	;; [unrolled: 1-line block ×8, first 2 shown]
	s_wait_dscnt 0x2
	v_pk_fma_f16 v73, v13, v83, v73
	v_pk_fma_f16 v51, v13, v79, v51
	;; [unrolled: 1-line block ×16, first 2 shown]
	s_wait_dscnt 0x0
	v_lshrrev_b32_e32 v78, 16, v1
	v_and_b32_e32 v1, 0xffff, v1
	v_lshrrev_b32_e32 v79, 16, v2
	v_lshrrev_b32_e32 v80, 16, v3
	v_and_b32_e32 v2, 0xffff, v2
	v_lshrrev_b32_e32 v81, 16, v4
	v_mul_u32_u24_e32 v82, 0x10001, v1
	v_and_b32_e32 v1, 0xffff, v3
	v_and_b32_e32 v3, 0xffff, v4
	v_mul_u32_u24_e32 v83, 0x10001, v2
	v_lshrrev_b32_e32 v54, 16, v9
	v_and_b32_e32 v9, 0xffff, v9
	v_mul_u32_u24_e32 v84, 0x10001, v1
	v_mul_u32_u24_e32 v85, 0x10001, v3
	ds_load_b128 v[1:4], v109 offset:160
	v_lshrrev_b32_e32 v75, 16, v10
	v_lshrrev_b32_e32 v76, 16, v11
	;; [unrolled: 1-line block ×3, first 2 shown]
	v_and_b32_e32 v10, 0xffff, v10
	v_and_b32_e32 v11, 0xffff, v11
	;; [unrolled: 1-line block ×3, first 2 shown]
	v_mul_u32_u24_e32 v79, 0x10001, v79
	v_mul_u32_u24_e32 v9, 0x10001, v9
	;; [unrolled: 1-line block ×12, first 2 shown]
	v_pk_fma_f16 v49, v14, v79, v49
	s_wait_dscnt 0x0
	v_lshrrev_b32_e32 v79, 16, v1
	v_and_b32_e32 v1, 0xffff, v1
	v_pk_fma_f16 v73, v14, v9, v73
	v_pk_fma_f16 v51, v14, v54, v51
	;; [unrolled: 1-line block ×15, first 2 shown]
	ds_load_b128 v[5:8], v109 offset:1184
	ds_load_2addr_b32 v[13:14], v0 offset0:64 offset1:96
	ds_load_b128 v[9:12], v109 offset:176
	v_lshrrev_b32_e32 v80, 16, v2
	v_lshrrev_b32_e32 v81, 16, v3
	v_and_b32_e32 v2, 0xffff, v2
	v_mul_u32_u24_e32 v83, 0x10001, v1
	v_and_b32_e32 v1, 0xffff, v3
	v_and_b32_e32 v3, 0xffff, v4
	v_lshrrev_b32_e32 v82, 16, v4
	v_mul_u32_u24_e32 v84, 0x10001, v2
	v_mul_u32_u24_e32 v79, 0x10001, v79
	;; [unrolled: 1-line block ×4, first 2 shown]
	ds_load_b128 v[1:4], v109 offset:1200
	v_mul_u32_u24_e32 v80, 0x10001, v80
	v_mul_u32_u24_e32 v81, 0x10001, v81
	;; [unrolled: 1-line block ×3, first 2 shown]
	s_wait_dscnt 0x3
	v_lshrrev_b32_e32 v87, 16, v5
	v_and_b32_e32 v5, 0xffff, v5
	v_lshrrev_b32_e32 v88, 16, v6
	v_lshrrev_b32_e32 v89, 16, v7
	;; [unrolled: 1-line block ×3, first 2 shown]
	v_and_b32_e32 v6, 0xffff, v6
	v_and_b32_e32 v7, 0xffff, v7
	;; [unrolled: 1-line block ×3, first 2 shown]
	v_mul_u32_u24_e32 v5, 0x10001, v5
	v_mul_u32_u24_e32 v87, 0x10001, v87
	;; [unrolled: 1-line block ×8, first 2 shown]
	s_wait_dscnt 0x2
	v_pk_fma_f16 v73, v13, v83, v73
	v_pk_fma_f16 v51, v13, v79, v51
	;; [unrolled: 1-line block ×16, first 2 shown]
	s_wait_dscnt 0x0
	v_lshrrev_b32_e32 v78, 16, v1
	v_and_b32_e32 v1, 0xffff, v1
	v_lshrrev_b32_e32 v79, 16, v2
	v_lshrrev_b32_e32 v80, 16, v3
	v_and_b32_e32 v2, 0xffff, v2
	v_lshrrev_b32_e32 v81, 16, v4
	v_mul_u32_u24_e32 v82, 0x10001, v1
	v_and_b32_e32 v1, 0xffff, v3
	v_and_b32_e32 v3, 0xffff, v4
	v_mul_u32_u24_e32 v83, 0x10001, v2
	v_lshrrev_b32_e32 v74, 16, v9
	v_and_b32_e32 v9, 0xffff, v9
	v_mul_u32_u24_e32 v84, 0x10001, v1
	v_mul_u32_u24_e32 v85, 0x10001, v3
	ds_load_b128 v[1:4], v109 offset:192
	v_lshrrev_b32_e32 v75, 16, v10
	v_lshrrev_b32_e32 v76, 16, v11
	;; [unrolled: 1-line block ×3, first 2 shown]
	v_and_b32_e32 v10, 0xffff, v10
	v_and_b32_e32 v11, 0xffff, v11
	;; [unrolled: 1-line block ×3, first 2 shown]
	v_mul_u32_u24_e32 v79, 0x10001, v79
	v_mul_u32_u24_e32 v9, 0x10001, v9
	;; [unrolled: 1-line block ×12, first 2 shown]
	v_pk_fma_f16 v49, v14, v79, v49
	s_wait_dscnt 0x0
	v_lshrrev_b32_e32 v79, 16, v1
	v_and_b32_e32 v1, 0xffff, v1
	v_pk_fma_f16 v73, v14, v9, v73
	v_pk_fma_f16 v51, v14, v74, v51
	;; [unrolled: 1-line block ×15, first 2 shown]
	ds_load_b128 v[5:8], v109 offset:1216
	ds_load_2addr_b32 v[13:14], v0 offset0:128 offset1:160
	ds_load_b128 v[9:12], v109 offset:208
	v_lshrrev_b32_e32 v80, 16, v2
	v_lshrrev_b32_e32 v81, 16, v3
	v_and_b32_e32 v2, 0xffff, v2
	v_mul_u32_u24_e32 v83, 0x10001, v1
	v_and_b32_e32 v1, 0xffff, v3
	v_and_b32_e32 v3, 0xffff, v4
	v_lshrrev_b32_e32 v82, 16, v4
	v_mul_u32_u24_e32 v84, 0x10001, v2
	v_mul_u32_u24_e32 v79, 0x10001, v79
	v_mul_u32_u24_e32 v85, 0x10001, v1
	v_mul_u32_u24_e32 v86, 0x10001, v3
	ds_load_b128 v[1:4], v109 offset:1232
	v_mul_u32_u24_e32 v80, 0x10001, v80
	v_mul_u32_u24_e32 v81, 0x10001, v81
	v_mul_u32_u24_e32 v82, 0x10001, v82
	s_wait_dscnt 0x3
	v_lshrrev_b32_e32 v87, 16, v5
	v_and_b32_e32 v5, 0xffff, v5
	v_lshrrev_b32_e32 v88, 16, v6
	v_lshrrev_b32_e32 v89, 16, v7
	;; [unrolled: 1-line block ×3, first 2 shown]
	v_and_b32_e32 v6, 0xffff, v6
	v_and_b32_e32 v7, 0xffff, v7
	;; [unrolled: 1-line block ×3, first 2 shown]
	v_mul_u32_u24_e32 v5, 0x10001, v5
	v_mul_u32_u24_e32 v87, 0x10001, v87
	;; [unrolled: 1-line block ×8, first 2 shown]
	s_wait_dscnt 0x2
	v_pk_fma_f16 v73, v13, v83, v73
	v_pk_fma_f16 v51, v13, v79, v51
	;; [unrolled: 1-line block ×16, first 2 shown]
	s_wait_dscnt 0x0
	v_lshrrev_b32_e32 v78, 16, v1
	v_and_b32_e32 v1, 0xffff, v1
	v_lshrrev_b32_e32 v79, 16, v2
	v_lshrrev_b32_e32 v80, 16, v3
	v_and_b32_e32 v2, 0xffff, v2
	v_lshrrev_b32_e32 v81, 16, v4
	v_mul_u32_u24_e32 v82, 0x10001, v1
	v_and_b32_e32 v1, 0xffff, v3
	v_and_b32_e32 v3, 0xffff, v4
	v_mul_u32_u24_e32 v83, 0x10001, v2
	v_lshrrev_b32_e32 v74, 16, v9
	v_and_b32_e32 v9, 0xffff, v9
	v_mul_u32_u24_e32 v84, 0x10001, v1
	v_mul_u32_u24_e32 v85, 0x10001, v3
	ds_load_b128 v[1:4], v109 offset:224
	v_lshrrev_b32_e32 v75, 16, v10
	v_lshrrev_b32_e32 v76, 16, v11
	;; [unrolled: 1-line block ×3, first 2 shown]
	v_and_b32_e32 v10, 0xffff, v10
	v_and_b32_e32 v11, 0xffff, v11
	;; [unrolled: 1-line block ×3, first 2 shown]
	v_mul_u32_u24_e32 v9, 0x10001, v9
	v_mul_u32_u24_e32 v74, 0x10001, v74
	;; [unrolled: 1-line block ×12, first 2 shown]
	v_pk_fma_f16 v73, v14, v9, v73
	v_pk_fma_f16 v51, v14, v74, v51
	;; [unrolled: 1-line block ×16, first 2 shown]
	ds_load_b128 v[5:8], v109 offset:1248
	ds_load_2addr_b32 v[13:14], v0 offset0:192 offset1:224
	ds_load_b128 v[9:12], v109 offset:240
	s_wait_dscnt 0x3
	v_lshrrev_b32_e32 v0, 16, v1
	v_and_b32_e32 v1, 0xffff, v1
	v_lshrrev_b32_e32 v79, 16, v2
	v_and_b32_e32 v2, 0xffff, v2
	v_lshrrev_b32_e32 v80, 16, v3
	v_mul_u32_u24_e32 v83, 0x10001, v0
	v_mul_u32_u24_e32 v82, 0x10001, v1
	v_and_b32_e32 v1, 0xffff, v3
	v_and_b32_e32 v0, 0xffff, v4
	v_lshrrev_b32_e32 v81, 16, v4
	v_mul_u32_u24_e32 v4, 0x10001, v2
	v_mul_u32_u24_e32 v79, 0x10001, v79
	;; [unrolled: 1-line block ×4, first 2 shown]
	ds_load_b128 v[0:3], v109 offset:1264
	v_mul_u32_u24_e32 v80, 0x10001, v80
	v_mul_u32_u24_e32 v81, 0x10001, v81
	s_wait_dscnt 0x3
	v_lshrrev_b32_e32 v86, 16, v5
	v_and_b32_e32 v5, 0xffff, v5
	v_lshrrev_b32_e32 v87, 16, v6
	v_lshrrev_b32_e32 v89, 16, v8
	v_and_b32_e32 v6, 0xffff, v6
	v_and_b32_e32 v8, 0xffff, v8
	v_lshrrev_b32_e32 v88, 16, v7
	v_mul_u32_u24_e32 v5, 0x10001, v5
	v_and_b32_e32 v7, 0xffff, v7
	v_mul_u32_u24_e32 v6, 0x10001, v6
	v_mul_u32_u24_e32 v8, 0x10001, v8
	s_wait_dscnt 0x2
	v_pk_fma_f16 v54, v13, v4, v54
	s_wait_dscnt 0x1
	v_lshrrev_b32_e32 v4, 16, v9
	v_mul_u32_u24_e32 v86, 0x10001, v86
	v_mul_u32_u24_e32 v87, 0x10001, v87
	;; [unrolled: 1-line block ×5, first 2 shown]
	v_pk_fma_f16 v5, v13, v5, v74
	v_pk_fma_f16 v6, v13, v6, v75
	;; [unrolled: 1-line block ×3, first 2 shown]
	v_lshrrev_b32_e32 v74, 16, v10
	v_lshrrev_b32_e32 v75, 16, v11
	v_mul_u32_u24_e32 v77, 0x10001, v4
	v_and_b32_e32 v4, 0xffff, v12
	v_pk_fma_f16 v73, v13, v82, v73
	v_pk_fma_f16 v51, v13, v83, v51
	;; [unrolled: 1-line block ×12, first 2 shown]
	v_lshrrev_b32_e32 v76, 16, v12
	v_mul_u32_u24_e32 v12, 0x10001, v74
	v_mul_u32_u24_e32 v74, 0x10001, v75
	;; [unrolled: 1-line block ×3, first 2 shown]
	s_wait_dscnt 0x0
	v_lshrrev_b32_e32 v4, 16, v0
	v_lshrrev_b32_e32 v78, 16, v1
	;; [unrolled: 1-line block ×4, first 2 shown]
	v_and_b32_e32 v1, 0xffff, v1
	v_and_b32_e32 v2, 0xffff, v2
	;; [unrolled: 1-line block ×3, first 2 shown]
	v_mul_u32_u24_e32 v81, 0x10001, v4
	v_and_b32_e32 v0, 0xffff, v0
	v_mul_u32_u24_e32 v82, 0x10001, v1
	v_mul_u32_u24_e32 v83, 0x10001, v2
	;; [unrolled: 1-line block ×3, first 2 shown]
	ds_load_b128 v[1:4], v109 offset:256
	v_and_b32_e32 v9, 0xffff, v9
	v_and_b32_e32 v10, 0xffff, v10
	;; [unrolled: 1-line block ×3, first 2 shown]
	v_mul_u32_u24_e32 v0, 0x10001, v0
	v_mul_u32_u24_e32 v79, 0x10001, v79
	;; [unrolled: 1-line block ×8, first 2 shown]
	v_pk_fma_f16 v55, v14, v74, v55
	v_pk_fma_f16 v74, v14, v0, v5
	v_add_nc_u32_e32 v0, 0x800, v107
	v_pk_fma_f16 v50, v14, v79, v50
	v_pk_fma_f16 v73, v14, v9, v73
	;; [unrolled: 1-line block ×5, first 2 shown]
	s_wait_dscnt 0x0
	v_lshrrev_b32_e32 v79, 16, v1
	v_and_b32_e32 v1, 0xffff, v1
	v_pk_fma_f16 v72, v14, v11, v72
	v_pk_fma_f16 v53, v14, v75, v53
	;; [unrolled: 1-line block ×9, first 2 shown]
	ds_load_b128 v[5:8], v109 offset:1280
	ds_load_2addr_b32 v[13:14], v0 offset1:32
	ds_load_b128 v[9:12], v109 offset:272
	v_lshrrev_b32_e32 v80, 16, v2
	v_lshrrev_b32_e32 v81, 16, v3
	v_and_b32_e32 v2, 0xffff, v2
	v_mul_u32_u24_e32 v83, 0x10001, v1
	v_and_b32_e32 v1, 0xffff, v3
	v_and_b32_e32 v3, 0xffff, v4
	v_lshrrev_b32_e32 v82, 16, v4
	v_mul_u32_u24_e32 v84, 0x10001, v2
	v_mul_u32_u24_e32 v79, 0x10001, v79
	;; [unrolled: 1-line block ×4, first 2 shown]
	ds_load_b128 v[1:4], v109 offset:1296
	v_mul_u32_u24_e32 v80, 0x10001, v80
	v_mul_u32_u24_e32 v81, 0x10001, v81
	;; [unrolled: 1-line block ×3, first 2 shown]
	s_wait_dscnt 0x3
	v_lshrrev_b32_e32 v87, 16, v5
	v_and_b32_e32 v5, 0xffff, v5
	v_lshrrev_b32_e32 v88, 16, v6
	v_lshrrev_b32_e32 v89, 16, v7
	;; [unrolled: 1-line block ×3, first 2 shown]
	v_and_b32_e32 v6, 0xffff, v6
	v_and_b32_e32 v7, 0xffff, v7
	;; [unrolled: 1-line block ×3, first 2 shown]
	v_mul_u32_u24_e32 v5, 0x10001, v5
	v_mul_u32_u24_e32 v87, 0x10001, v87
	;; [unrolled: 1-line block ×8, first 2 shown]
	s_wait_dscnt 0x2
	v_pk_fma_f16 v73, v13, v83, v73
	v_pk_fma_f16 v51, v13, v79, v51
	;; [unrolled: 1-line block ×16, first 2 shown]
	s_wait_dscnt 0x0
	v_lshrrev_b32_e32 v78, 16, v1
	v_and_b32_e32 v1, 0xffff, v1
	v_lshrrev_b32_e32 v79, 16, v2
	v_lshrrev_b32_e32 v80, 16, v3
	v_and_b32_e32 v2, 0xffff, v2
	v_lshrrev_b32_e32 v81, 16, v4
	v_mul_u32_u24_e32 v82, 0x10001, v1
	v_and_b32_e32 v1, 0xffff, v3
	v_and_b32_e32 v3, 0xffff, v4
	v_mul_u32_u24_e32 v83, 0x10001, v2
	v_lshrrev_b32_e32 v74, 16, v9
	v_and_b32_e32 v9, 0xffff, v9
	v_mul_u32_u24_e32 v84, 0x10001, v1
	v_mul_u32_u24_e32 v85, 0x10001, v3
	ds_load_b128 v[1:4], v109 offset:288
	v_lshrrev_b32_e32 v75, 16, v10
	v_lshrrev_b32_e32 v76, 16, v11
	;; [unrolled: 1-line block ×3, first 2 shown]
	v_and_b32_e32 v10, 0xffff, v10
	v_and_b32_e32 v11, 0xffff, v11
	;; [unrolled: 1-line block ×3, first 2 shown]
	v_mul_u32_u24_e32 v79, 0x10001, v79
	v_mul_u32_u24_e32 v9, 0x10001, v9
	;; [unrolled: 1-line block ×12, first 2 shown]
	v_pk_fma_f16 v49, v14, v79, v49
	s_wait_dscnt 0x0
	v_lshrrev_b32_e32 v79, 16, v1
	v_and_b32_e32 v1, 0xffff, v1
	v_pk_fma_f16 v73, v14, v9, v73
	v_pk_fma_f16 v51, v14, v74, v51
	;; [unrolled: 1-line block ×15, first 2 shown]
	ds_load_b128 v[5:8], v109 offset:1312
	ds_load_2addr_b32 v[13:14], v0 offset0:64 offset1:96
	ds_load_b128 v[9:12], v109 offset:304
	v_lshrrev_b32_e32 v80, 16, v2
	v_lshrrev_b32_e32 v81, 16, v3
	v_and_b32_e32 v2, 0xffff, v2
	v_mul_u32_u24_e32 v83, 0x10001, v1
	v_and_b32_e32 v1, 0xffff, v3
	v_and_b32_e32 v3, 0xffff, v4
	v_lshrrev_b32_e32 v82, 16, v4
	v_mul_u32_u24_e32 v84, 0x10001, v2
	v_mul_u32_u24_e32 v79, 0x10001, v79
	;; [unrolled: 1-line block ×4, first 2 shown]
	ds_load_b128 v[1:4], v109 offset:1328
	v_mul_u32_u24_e32 v80, 0x10001, v80
	v_mul_u32_u24_e32 v81, 0x10001, v81
	v_mul_u32_u24_e32 v82, 0x10001, v82
	s_wait_dscnt 0x3
	v_lshrrev_b32_e32 v87, 16, v5
	v_and_b32_e32 v5, 0xffff, v5
	v_lshrrev_b32_e32 v88, 16, v6
	v_lshrrev_b32_e32 v89, 16, v7
	;; [unrolled: 1-line block ×3, first 2 shown]
	v_and_b32_e32 v6, 0xffff, v6
	v_and_b32_e32 v7, 0xffff, v7
	;; [unrolled: 1-line block ×3, first 2 shown]
	v_mul_u32_u24_e32 v5, 0x10001, v5
	v_mul_u32_u24_e32 v87, 0x10001, v87
	v_mul_u32_u24_e32 v6, 0x10001, v6
	v_mul_u32_u24_e32 v88, 0x10001, v88
	v_mul_u32_u24_e32 v7, 0x10001, v7
	v_mul_u32_u24_e32 v89, 0x10001, v89
	v_mul_u32_u24_e32 v8, 0x10001, v8
	v_mul_u32_u24_e32 v90, 0x10001, v90
	s_wait_dscnt 0x2
	v_pk_fma_f16 v73, v13, v83, v73
	v_pk_fma_f16 v51, v13, v79, v51
	;; [unrolled: 1-line block ×16, first 2 shown]
	s_wait_dscnt 0x0
	v_lshrrev_b32_e32 v78, 16, v1
	v_and_b32_e32 v1, 0xffff, v1
	v_lshrrev_b32_e32 v79, 16, v2
	v_lshrrev_b32_e32 v80, 16, v3
	v_and_b32_e32 v2, 0xffff, v2
	v_lshrrev_b32_e32 v81, 16, v4
	v_mul_u32_u24_e32 v82, 0x10001, v1
	v_and_b32_e32 v1, 0xffff, v3
	v_and_b32_e32 v3, 0xffff, v4
	v_mul_u32_u24_e32 v83, 0x10001, v2
	v_lshrrev_b32_e32 v74, 16, v9
	v_and_b32_e32 v9, 0xffff, v9
	v_mul_u32_u24_e32 v84, 0x10001, v1
	v_mul_u32_u24_e32 v85, 0x10001, v3
	ds_load_b128 v[1:4], v109 offset:320
	v_lshrrev_b32_e32 v75, 16, v10
	v_lshrrev_b32_e32 v76, 16, v11
	;; [unrolled: 1-line block ×3, first 2 shown]
	v_and_b32_e32 v10, 0xffff, v10
	v_and_b32_e32 v11, 0xffff, v11
	;; [unrolled: 1-line block ×3, first 2 shown]
	v_mul_u32_u24_e32 v79, 0x10001, v79
	v_mul_u32_u24_e32 v9, 0x10001, v9
	;; [unrolled: 1-line block ×12, first 2 shown]
	v_pk_fma_f16 v49, v14, v79, v49
	s_wait_dscnt 0x0
	v_lshrrev_b32_e32 v79, 16, v1
	v_and_b32_e32 v1, 0xffff, v1
	v_pk_fma_f16 v73, v14, v9, v73
	v_pk_fma_f16 v51, v14, v74, v51
	;; [unrolled: 1-line block ×15, first 2 shown]
	ds_load_b128 v[5:8], v109 offset:1344
	ds_load_2addr_b32 v[13:14], v0 offset0:128 offset1:160
	ds_load_b128 v[9:12], v109 offset:336
	v_lshrrev_b32_e32 v80, 16, v2
	v_lshrrev_b32_e32 v81, 16, v3
	v_and_b32_e32 v2, 0xffff, v2
	v_mul_u32_u24_e32 v83, 0x10001, v1
	v_and_b32_e32 v1, 0xffff, v3
	v_and_b32_e32 v3, 0xffff, v4
	v_lshrrev_b32_e32 v82, 16, v4
	v_mul_u32_u24_e32 v84, 0x10001, v2
	v_mul_u32_u24_e32 v79, 0x10001, v79
	;; [unrolled: 1-line block ×4, first 2 shown]
	ds_load_b128 v[1:4], v109 offset:1360
	v_mul_u32_u24_e32 v80, 0x10001, v80
	v_mul_u32_u24_e32 v81, 0x10001, v81
	;; [unrolled: 1-line block ×3, first 2 shown]
	s_wait_dscnt 0x3
	v_lshrrev_b32_e32 v87, 16, v5
	v_and_b32_e32 v5, 0xffff, v5
	v_lshrrev_b32_e32 v88, 16, v6
	v_lshrrev_b32_e32 v89, 16, v7
	;; [unrolled: 1-line block ×3, first 2 shown]
	v_and_b32_e32 v6, 0xffff, v6
	v_and_b32_e32 v7, 0xffff, v7
	;; [unrolled: 1-line block ×3, first 2 shown]
	v_mul_u32_u24_e32 v5, 0x10001, v5
	v_mul_u32_u24_e32 v87, 0x10001, v87
	;; [unrolled: 1-line block ×8, first 2 shown]
	s_wait_dscnt 0x2
	v_pk_fma_f16 v73, v13, v83, v73
	v_pk_fma_f16 v51, v13, v79, v51
	;; [unrolled: 1-line block ×16, first 2 shown]
	s_wait_dscnt 0x0
	v_lshrrev_b32_e32 v78, 16, v1
	v_and_b32_e32 v1, 0xffff, v1
	v_lshrrev_b32_e32 v79, 16, v2
	v_lshrrev_b32_e32 v80, 16, v3
	v_and_b32_e32 v2, 0xffff, v2
	v_lshrrev_b32_e32 v81, 16, v4
	v_mul_u32_u24_e32 v82, 0x10001, v1
	v_and_b32_e32 v1, 0xffff, v3
	v_and_b32_e32 v3, 0xffff, v4
	v_mul_u32_u24_e32 v83, 0x10001, v2
	v_lshrrev_b32_e32 v74, 16, v9
	v_and_b32_e32 v9, 0xffff, v9
	v_mul_u32_u24_e32 v84, 0x10001, v1
	v_mul_u32_u24_e32 v85, 0x10001, v3
	ds_load_b128 v[1:4], v109 offset:352
	v_lshrrev_b32_e32 v75, 16, v10
	v_lshrrev_b32_e32 v76, 16, v11
	;; [unrolled: 1-line block ×3, first 2 shown]
	v_and_b32_e32 v10, 0xffff, v10
	v_and_b32_e32 v11, 0xffff, v11
	;; [unrolled: 1-line block ×3, first 2 shown]
	v_mul_u32_u24_e32 v9, 0x10001, v9
	v_mul_u32_u24_e32 v74, 0x10001, v74
	v_mul_u32_u24_e32 v10, 0x10001, v10
	v_mul_u32_u24_e32 v75, 0x10001, v75
	v_mul_u32_u24_e32 v11, 0x10001, v11
	v_mul_u32_u24_e32 v76, 0x10001, v76
	v_mul_u32_u24_e32 v12, 0x10001, v12
	v_mul_u32_u24_e32 v77, 0x10001, v77
	v_mul_u32_u24_e32 v78, 0x10001, v78
	v_mul_u32_u24_e32 v79, 0x10001, v79
	v_mul_u32_u24_e32 v80, 0x10001, v80
	v_mul_u32_u24_e32 v81, 0x10001, v81
	v_pk_fma_f16 v73, v14, v9, v73
	v_pk_fma_f16 v51, v14, v74, v51
	;; [unrolled: 1-line block ×16, first 2 shown]
	ds_load_b128 v[5:8], v109 offset:1376
	ds_load_2addr_b32 v[13:14], v0 offset0:192 offset1:224
	ds_load_b128 v[9:12], v109 offset:368
	s_wait_dscnt 0x3
	v_lshrrev_b32_e32 v0, 16, v1
	v_and_b32_e32 v1, 0xffff, v1
	v_lshrrev_b32_e32 v79, 16, v2
	v_and_b32_e32 v2, 0xffff, v2
	v_lshrrev_b32_e32 v80, 16, v3
	v_mul_u32_u24_e32 v83, 0x10001, v0
	v_mul_u32_u24_e32 v82, 0x10001, v1
	v_and_b32_e32 v1, 0xffff, v3
	v_and_b32_e32 v0, 0xffff, v4
	v_lshrrev_b32_e32 v81, 16, v4
	v_mul_u32_u24_e32 v4, 0x10001, v2
	v_mul_u32_u24_e32 v79, 0x10001, v79
	;; [unrolled: 1-line block ×4, first 2 shown]
	ds_load_b128 v[0:3], v109 offset:1392
	v_mul_u32_u24_e32 v80, 0x10001, v80
	v_mul_u32_u24_e32 v81, 0x10001, v81
	s_wait_dscnt 0x3
	v_lshrrev_b32_e32 v86, 16, v5
	v_and_b32_e32 v5, 0xffff, v5
	v_lshrrev_b32_e32 v87, 16, v6
	v_lshrrev_b32_e32 v89, 16, v8
	v_and_b32_e32 v6, 0xffff, v6
	v_and_b32_e32 v8, 0xffff, v8
	v_lshrrev_b32_e32 v88, 16, v7
	v_mul_u32_u24_e32 v5, 0x10001, v5
	v_and_b32_e32 v7, 0xffff, v7
	v_mul_u32_u24_e32 v6, 0x10001, v6
	v_mul_u32_u24_e32 v8, 0x10001, v8
	s_wait_dscnt 0x2
	v_pk_fma_f16 v54, v13, v4, v54
	s_wait_dscnt 0x1
	v_lshrrev_b32_e32 v4, 16, v9
	v_mul_u32_u24_e32 v86, 0x10001, v86
	v_mul_u32_u24_e32 v87, 0x10001, v87
	;; [unrolled: 1-line block ×5, first 2 shown]
	v_pk_fma_f16 v5, v13, v5, v74
	v_pk_fma_f16 v6, v13, v6, v75
	;; [unrolled: 1-line block ×3, first 2 shown]
	v_lshrrev_b32_e32 v74, 16, v10
	v_lshrrev_b32_e32 v75, 16, v11
	v_mul_u32_u24_e32 v77, 0x10001, v4
	v_and_b32_e32 v4, 0xffff, v12
	v_pk_fma_f16 v73, v13, v82, v73
	v_pk_fma_f16 v51, v13, v83, v51
	;; [unrolled: 1-line block ×12, first 2 shown]
	v_lshrrev_b32_e32 v76, 16, v12
	v_mul_u32_u24_e32 v12, 0x10001, v74
	v_mul_u32_u24_e32 v74, 0x10001, v75
	;; [unrolled: 1-line block ×3, first 2 shown]
	s_wait_dscnt 0x0
	v_lshrrev_b32_e32 v4, 16, v0
	v_lshrrev_b32_e32 v78, 16, v1
	;; [unrolled: 1-line block ×4, first 2 shown]
	v_and_b32_e32 v1, 0xffff, v1
	v_and_b32_e32 v2, 0xffff, v2
	;; [unrolled: 1-line block ×3, first 2 shown]
	v_mul_u32_u24_e32 v81, 0x10001, v4
	v_and_b32_e32 v0, 0xffff, v0
	v_mul_u32_u24_e32 v82, 0x10001, v1
	v_mul_u32_u24_e32 v83, 0x10001, v2
	;; [unrolled: 1-line block ×3, first 2 shown]
	ds_load_b128 v[1:4], v109 offset:384
	v_and_b32_e32 v9, 0xffff, v9
	v_and_b32_e32 v10, 0xffff, v10
	;; [unrolled: 1-line block ×3, first 2 shown]
	v_mul_u32_u24_e32 v0, 0x10001, v0
	v_mul_u32_u24_e32 v79, 0x10001, v79
	;; [unrolled: 1-line block ×8, first 2 shown]
	v_pk_fma_f16 v55, v14, v74, v55
	v_pk_fma_f16 v74, v14, v0, v5
	v_add_nc_u32_e32 v0, 0xc00, v107
	v_pk_fma_f16 v50, v14, v79, v50
	v_pk_fma_f16 v73, v14, v9, v73
	;; [unrolled: 1-line block ×5, first 2 shown]
	s_wait_dscnt 0x0
	v_lshrrev_b32_e32 v79, 16, v1
	v_and_b32_e32 v1, 0xffff, v1
	v_pk_fma_f16 v72, v14, v11, v72
	v_pk_fma_f16 v53, v14, v75, v53
	;; [unrolled: 1-line block ×9, first 2 shown]
	ds_load_b128 v[5:8], v109 offset:1408
	ds_load_2addr_b32 v[13:14], v0 offset1:32
	ds_load_b128 v[9:12], v109 offset:400
	v_lshrrev_b32_e32 v80, 16, v2
	v_lshrrev_b32_e32 v81, 16, v3
	v_and_b32_e32 v2, 0xffff, v2
	v_mul_u32_u24_e32 v83, 0x10001, v1
	v_and_b32_e32 v1, 0xffff, v3
	v_and_b32_e32 v3, 0xffff, v4
	v_lshrrev_b32_e32 v82, 16, v4
	v_mul_u32_u24_e32 v84, 0x10001, v2
	v_mul_u32_u24_e32 v79, 0x10001, v79
	v_mul_u32_u24_e32 v85, 0x10001, v1
	v_mul_u32_u24_e32 v86, 0x10001, v3
	ds_load_b128 v[1:4], v109 offset:1424
	v_mul_u32_u24_e32 v80, 0x10001, v80
	v_mul_u32_u24_e32 v81, 0x10001, v81
	v_mul_u32_u24_e32 v82, 0x10001, v82
	s_wait_dscnt 0x3
	v_lshrrev_b32_e32 v87, 16, v5
	v_and_b32_e32 v5, 0xffff, v5
	v_lshrrev_b32_e32 v88, 16, v6
	v_lshrrev_b32_e32 v89, 16, v7
	;; [unrolled: 1-line block ×3, first 2 shown]
	v_and_b32_e32 v6, 0xffff, v6
	v_and_b32_e32 v7, 0xffff, v7
	v_and_b32_e32 v8, 0xffff, v8
	v_mul_u32_u24_e32 v5, 0x10001, v5
	v_mul_u32_u24_e32 v87, 0x10001, v87
	;; [unrolled: 1-line block ×8, first 2 shown]
	s_wait_dscnt 0x2
	v_pk_fma_f16 v73, v13, v83, v73
	v_pk_fma_f16 v51, v13, v79, v51
	v_pk_fma_f16 v54, v13, v84, v54
	v_pk_fma_f16 v52, v13, v80, v52
	v_pk_fma_f16 v72, v13, v85, v72
	v_pk_fma_f16 v55, v13, v81, v55
	v_pk_fma_f16 v53, v13, v86, v53
	v_pk_fma_f16 v15, v13, v82, v15
	v_pk_fma_f16 v5, v13, v5, v74
	v_pk_fma_f16 v32, v13, v87, v32
	v_pk_fma_f16 v6, v13, v6, v75
	v_pk_fma_f16 v49, v13, v88, v49
	v_pk_fma_f16 v7, v13, v7, v76
	v_pk_fma_f16 v50, v13, v89, v50
	v_pk_fma_f16 v8, v13, v8, v77
	v_pk_fma_f16 v13, v13, v90, v78
	s_wait_dscnt 0x0
	v_lshrrev_b32_e32 v78, 16, v1
	v_and_b32_e32 v1, 0xffff, v1
	v_lshrrev_b32_e32 v79, 16, v2
	v_lshrrev_b32_e32 v80, 16, v3
	v_and_b32_e32 v2, 0xffff, v2
	v_lshrrev_b32_e32 v81, 16, v4
	v_mul_u32_u24_e32 v82, 0x10001, v1
	v_and_b32_e32 v1, 0xffff, v3
	v_and_b32_e32 v3, 0xffff, v4
	v_mul_u32_u24_e32 v83, 0x10001, v2
	v_lshrrev_b32_e32 v74, 16, v9
	v_and_b32_e32 v9, 0xffff, v9
	v_mul_u32_u24_e32 v84, 0x10001, v1
	v_mul_u32_u24_e32 v85, 0x10001, v3
	ds_load_b128 v[1:4], v109 offset:416
	v_lshrrev_b32_e32 v75, 16, v10
	v_lshrrev_b32_e32 v76, 16, v11
	;; [unrolled: 1-line block ×3, first 2 shown]
	v_and_b32_e32 v10, 0xffff, v10
	v_and_b32_e32 v11, 0xffff, v11
	;; [unrolled: 1-line block ×3, first 2 shown]
	v_mul_u32_u24_e32 v79, 0x10001, v79
	v_mul_u32_u24_e32 v9, 0x10001, v9
	;; [unrolled: 1-line block ×12, first 2 shown]
	v_pk_fma_f16 v49, v14, v79, v49
	s_wait_dscnt 0x0
	v_lshrrev_b32_e32 v79, 16, v1
	v_and_b32_e32 v1, 0xffff, v1
	v_pk_fma_f16 v73, v14, v9, v73
	v_pk_fma_f16 v51, v14, v74, v51
	;; [unrolled: 1-line block ×15, first 2 shown]
	ds_load_b128 v[5:8], v109 offset:1440
	ds_load_2addr_b32 v[13:14], v0 offset0:64 offset1:96
	ds_load_b128 v[9:12], v109 offset:432
	v_lshrrev_b32_e32 v80, 16, v2
	v_lshrrev_b32_e32 v81, 16, v3
	v_and_b32_e32 v2, 0xffff, v2
	v_mul_u32_u24_e32 v83, 0x10001, v1
	v_and_b32_e32 v1, 0xffff, v3
	v_and_b32_e32 v3, 0xffff, v4
	v_lshrrev_b32_e32 v82, 16, v4
	v_mul_u32_u24_e32 v84, 0x10001, v2
	v_mul_u32_u24_e32 v79, 0x10001, v79
	v_mul_u32_u24_e32 v85, 0x10001, v1
	v_mul_u32_u24_e32 v86, 0x10001, v3
	ds_load_b128 v[1:4], v109 offset:1456
	v_mul_u32_u24_e32 v80, 0x10001, v80
	v_mul_u32_u24_e32 v81, 0x10001, v81
	;; [unrolled: 1-line block ×3, first 2 shown]
	s_wait_dscnt 0x3
	v_lshrrev_b32_e32 v87, 16, v5
	v_and_b32_e32 v5, 0xffff, v5
	v_lshrrev_b32_e32 v88, 16, v6
	v_lshrrev_b32_e32 v89, 16, v7
	;; [unrolled: 1-line block ×3, first 2 shown]
	v_and_b32_e32 v6, 0xffff, v6
	v_and_b32_e32 v7, 0xffff, v7
	;; [unrolled: 1-line block ×3, first 2 shown]
	v_mul_u32_u24_e32 v5, 0x10001, v5
	v_mul_u32_u24_e32 v87, 0x10001, v87
	;; [unrolled: 1-line block ×8, first 2 shown]
	s_wait_dscnt 0x2
	v_pk_fma_f16 v73, v13, v83, v73
	v_pk_fma_f16 v51, v13, v79, v51
	;; [unrolled: 1-line block ×16, first 2 shown]
	s_wait_dscnt 0x0
	v_lshrrev_b32_e32 v78, 16, v1
	v_and_b32_e32 v1, 0xffff, v1
	v_lshrrev_b32_e32 v79, 16, v2
	v_lshrrev_b32_e32 v80, 16, v3
	v_and_b32_e32 v2, 0xffff, v2
	v_lshrrev_b32_e32 v81, 16, v4
	v_mul_u32_u24_e32 v82, 0x10001, v1
	v_and_b32_e32 v1, 0xffff, v3
	v_and_b32_e32 v3, 0xffff, v4
	v_mul_u32_u24_e32 v83, 0x10001, v2
	v_lshrrev_b32_e32 v74, 16, v9
	v_and_b32_e32 v9, 0xffff, v9
	v_mul_u32_u24_e32 v84, 0x10001, v1
	v_mul_u32_u24_e32 v85, 0x10001, v3
	ds_load_b128 v[1:4], v109 offset:448
	v_lshrrev_b32_e32 v75, 16, v10
	v_lshrrev_b32_e32 v76, 16, v11
	;; [unrolled: 1-line block ×3, first 2 shown]
	v_and_b32_e32 v10, 0xffff, v10
	v_and_b32_e32 v11, 0xffff, v11
	;; [unrolled: 1-line block ×3, first 2 shown]
	v_mul_u32_u24_e32 v79, 0x10001, v79
	v_mul_u32_u24_e32 v9, 0x10001, v9
	;; [unrolled: 1-line block ×12, first 2 shown]
	v_pk_fma_f16 v49, v14, v79, v49
	s_wait_dscnt 0x0
	v_lshrrev_b32_e32 v79, 16, v1
	v_and_b32_e32 v1, 0xffff, v1
	v_pk_fma_f16 v73, v14, v9, v73
	v_pk_fma_f16 v51, v14, v74, v51
	;; [unrolled: 1-line block ×15, first 2 shown]
	ds_load_b128 v[5:8], v109 offset:1472
	ds_load_2addr_b32 v[13:14], v0 offset0:128 offset1:160
	ds_load_b128 v[9:12], v109 offset:464
	v_lshrrev_b32_e32 v80, 16, v2
	v_lshrrev_b32_e32 v81, 16, v3
	v_and_b32_e32 v2, 0xffff, v2
	v_mul_u32_u24_e32 v83, 0x10001, v1
	v_and_b32_e32 v1, 0xffff, v3
	v_and_b32_e32 v3, 0xffff, v4
	v_lshrrev_b32_e32 v82, 16, v4
	v_mul_u32_u24_e32 v84, 0x10001, v2
	v_mul_u32_u24_e32 v79, 0x10001, v79
	;; [unrolled: 1-line block ×4, first 2 shown]
	ds_load_b128 v[1:4], v109 offset:1488
	v_mul_u32_u24_e32 v80, 0x10001, v80
	v_mul_u32_u24_e32 v81, 0x10001, v81
	;; [unrolled: 1-line block ×3, first 2 shown]
	s_wait_dscnt 0x3
	v_lshrrev_b32_e32 v87, 16, v5
	v_and_b32_e32 v5, 0xffff, v5
	v_lshrrev_b32_e32 v88, 16, v6
	v_lshrrev_b32_e32 v89, 16, v7
	;; [unrolled: 1-line block ×3, first 2 shown]
	v_and_b32_e32 v6, 0xffff, v6
	v_and_b32_e32 v7, 0xffff, v7
	;; [unrolled: 1-line block ×3, first 2 shown]
	v_mul_u32_u24_e32 v5, 0x10001, v5
	v_mul_u32_u24_e32 v87, 0x10001, v87
	;; [unrolled: 1-line block ×8, first 2 shown]
	s_wait_dscnt 0x2
	v_pk_fma_f16 v73, v13, v83, v73
	v_pk_fma_f16 v51, v13, v79, v51
	;; [unrolled: 1-line block ×16, first 2 shown]
	s_wait_dscnt 0x0
	v_lshrrev_b32_e32 v78, 16, v1
	v_and_b32_e32 v1, 0xffff, v1
	v_lshrrev_b32_e32 v79, 16, v2
	v_lshrrev_b32_e32 v80, 16, v3
	v_and_b32_e32 v2, 0xffff, v2
	v_lshrrev_b32_e32 v81, 16, v4
	v_mul_u32_u24_e32 v82, 0x10001, v1
	v_and_b32_e32 v1, 0xffff, v3
	v_and_b32_e32 v3, 0xffff, v4
	v_mul_u32_u24_e32 v83, 0x10001, v2
	v_lshrrev_b32_e32 v74, 16, v9
	v_and_b32_e32 v9, 0xffff, v9
	v_mul_u32_u24_e32 v84, 0x10001, v1
	v_mul_u32_u24_e32 v85, 0x10001, v3
	ds_load_b128 v[1:4], v109 offset:480
	v_lshrrev_b32_e32 v75, 16, v10
	v_lshrrev_b32_e32 v76, 16, v11
	;; [unrolled: 1-line block ×3, first 2 shown]
	v_and_b32_e32 v10, 0xffff, v10
	v_and_b32_e32 v11, 0xffff, v11
	;; [unrolled: 1-line block ×3, first 2 shown]
	v_mul_u32_u24_e32 v9, 0x10001, v9
	v_mul_u32_u24_e32 v74, 0x10001, v74
	;; [unrolled: 1-line block ×12, first 2 shown]
	v_pk_fma_f16 v73, v14, v9, v73
	v_pk_fma_f16 v51, v14, v74, v51
	;; [unrolled: 1-line block ×16, first 2 shown]
	ds_load_b128 v[5:8], v109 offset:1504
	ds_load_2addr_b32 v[13:14], v0 offset0:192 offset1:224
	ds_load_b128 v[9:12], v109 offset:496
	s_wait_dscnt 0x3
	v_lshrrev_b32_e32 v0, 16, v1
	v_and_b32_e32 v1, 0xffff, v1
	v_lshrrev_b32_e32 v79, 16, v2
	v_and_b32_e32 v2, 0xffff, v2
	v_lshrrev_b32_e32 v80, 16, v3
	v_mul_u32_u24_e32 v83, 0x10001, v0
	v_mul_u32_u24_e32 v82, 0x10001, v1
	v_and_b32_e32 v1, 0xffff, v3
	v_and_b32_e32 v0, 0xffff, v4
	v_lshrrev_b32_e32 v81, 16, v4
	v_mul_u32_u24_e32 v4, 0x10001, v2
	v_mul_u32_u24_e32 v79, 0x10001, v79
	;; [unrolled: 1-line block ×4, first 2 shown]
	ds_load_b128 v[0:3], v109 offset:1520
	v_mul_u32_u24_e32 v80, 0x10001, v80
	v_mul_u32_u24_e32 v81, 0x10001, v81
	s_wait_dscnt 0x3
	v_lshrrev_b32_e32 v86, 16, v5
	v_and_b32_e32 v5, 0xffff, v5
	v_lshrrev_b32_e32 v87, 16, v6
	v_lshrrev_b32_e32 v89, 16, v8
	v_and_b32_e32 v6, 0xffff, v6
	v_and_b32_e32 v8, 0xffff, v8
	v_lshrrev_b32_e32 v88, 16, v7
	v_mul_u32_u24_e32 v5, 0x10001, v5
	v_and_b32_e32 v7, 0xffff, v7
	v_mul_u32_u24_e32 v6, 0x10001, v6
	v_mul_u32_u24_e32 v8, 0x10001, v8
	s_wait_dscnt 0x2
	v_pk_fma_f16 v54, v13, v4, v54
	s_wait_dscnt 0x1
	v_lshrrev_b32_e32 v4, 16, v9
	v_mul_u32_u24_e32 v86, 0x10001, v86
	v_mul_u32_u24_e32 v87, 0x10001, v87
	;; [unrolled: 1-line block ×5, first 2 shown]
	v_pk_fma_f16 v5, v13, v5, v74
	v_pk_fma_f16 v6, v13, v6, v75
	;; [unrolled: 1-line block ×3, first 2 shown]
	v_lshrrev_b32_e32 v74, 16, v10
	v_lshrrev_b32_e32 v75, 16, v11
	v_mul_u32_u24_e32 v77, 0x10001, v4
	v_and_b32_e32 v4, 0xffff, v12
	v_pk_fma_f16 v73, v13, v82, v73
	v_pk_fma_f16 v51, v13, v83, v51
	;; [unrolled: 1-line block ×12, first 2 shown]
	v_lshrrev_b32_e32 v76, 16, v12
	v_mul_u32_u24_e32 v12, 0x10001, v74
	v_mul_u32_u24_e32 v74, 0x10001, v75
	;; [unrolled: 1-line block ×3, first 2 shown]
	s_wait_dscnt 0x0
	v_lshrrev_b32_e32 v4, 16, v0
	v_lshrrev_b32_e32 v78, 16, v1
	;; [unrolled: 1-line block ×4, first 2 shown]
	v_and_b32_e32 v1, 0xffff, v1
	v_and_b32_e32 v2, 0xffff, v2
	;; [unrolled: 1-line block ×3, first 2 shown]
	v_mul_u32_u24_e32 v81, 0x10001, v4
	v_and_b32_e32 v0, 0xffff, v0
	v_mul_u32_u24_e32 v82, 0x10001, v1
	v_mul_u32_u24_e32 v83, 0x10001, v2
	;; [unrolled: 1-line block ×3, first 2 shown]
	ds_load_b128 v[1:4], v109 offset:512
	v_and_b32_e32 v9, 0xffff, v9
	v_and_b32_e32 v10, 0xffff, v10
	;; [unrolled: 1-line block ×3, first 2 shown]
	v_mul_u32_u24_e32 v0, 0x10001, v0
	v_mul_u32_u24_e32 v79, 0x10001, v79
	;; [unrolled: 1-line block ×8, first 2 shown]
	v_pk_fma_f16 v55, v14, v74, v55
	v_pk_fma_f16 v74, v14, v0, v5
	v_add_nc_u32_e32 v0, 0x1000, v107
	v_pk_fma_f16 v50, v14, v79, v50
	v_pk_fma_f16 v73, v14, v9, v73
	;; [unrolled: 1-line block ×5, first 2 shown]
	s_wait_dscnt 0x0
	v_lshrrev_b32_e32 v79, 16, v1
	v_and_b32_e32 v1, 0xffff, v1
	v_pk_fma_f16 v72, v14, v11, v72
	v_pk_fma_f16 v53, v14, v75, v53
	;; [unrolled: 1-line block ×9, first 2 shown]
	ds_load_b128 v[5:8], v109 offset:1536
	ds_load_2addr_b32 v[13:14], v0 offset1:32
	ds_load_b128 v[9:12], v109 offset:528
	v_lshrrev_b32_e32 v80, 16, v2
	v_lshrrev_b32_e32 v81, 16, v3
	v_and_b32_e32 v2, 0xffff, v2
	v_mul_u32_u24_e32 v83, 0x10001, v1
	v_and_b32_e32 v1, 0xffff, v3
	v_and_b32_e32 v3, 0xffff, v4
	v_lshrrev_b32_e32 v82, 16, v4
	v_mul_u32_u24_e32 v84, 0x10001, v2
	v_mul_u32_u24_e32 v79, 0x10001, v79
	;; [unrolled: 1-line block ×4, first 2 shown]
	ds_load_b128 v[1:4], v109 offset:1552
	v_mul_u32_u24_e32 v80, 0x10001, v80
	v_mul_u32_u24_e32 v81, 0x10001, v81
	;; [unrolled: 1-line block ×3, first 2 shown]
	s_wait_dscnt 0x3
	v_lshrrev_b32_e32 v87, 16, v5
	v_and_b32_e32 v5, 0xffff, v5
	v_lshrrev_b32_e32 v88, 16, v6
	v_lshrrev_b32_e32 v89, 16, v7
	;; [unrolled: 1-line block ×3, first 2 shown]
	v_and_b32_e32 v6, 0xffff, v6
	v_and_b32_e32 v7, 0xffff, v7
	v_and_b32_e32 v8, 0xffff, v8
	v_mul_u32_u24_e32 v5, 0x10001, v5
	v_mul_u32_u24_e32 v87, 0x10001, v87
	;; [unrolled: 1-line block ×8, first 2 shown]
	s_wait_dscnt 0x2
	v_pk_fma_f16 v73, v13, v83, v73
	v_pk_fma_f16 v51, v13, v79, v51
	v_pk_fma_f16 v54, v13, v84, v54
	v_pk_fma_f16 v52, v13, v80, v52
	v_pk_fma_f16 v72, v13, v85, v72
	v_pk_fma_f16 v55, v13, v81, v55
	v_pk_fma_f16 v53, v13, v86, v53
	v_pk_fma_f16 v15, v13, v82, v15
	v_pk_fma_f16 v5, v13, v5, v74
	v_pk_fma_f16 v32, v13, v87, v32
	v_pk_fma_f16 v6, v13, v6, v75
	v_pk_fma_f16 v49, v13, v88, v49
	v_pk_fma_f16 v7, v13, v7, v76
	v_pk_fma_f16 v50, v13, v89, v50
	v_pk_fma_f16 v8, v13, v8, v77
	v_pk_fma_f16 v13, v13, v90, v78
	s_wait_dscnt 0x0
	v_lshrrev_b32_e32 v78, 16, v1
	v_and_b32_e32 v1, 0xffff, v1
	v_lshrrev_b32_e32 v79, 16, v2
	v_lshrrev_b32_e32 v80, 16, v3
	v_and_b32_e32 v2, 0xffff, v2
	v_lshrrev_b32_e32 v81, 16, v4
	v_mul_u32_u24_e32 v82, 0x10001, v1
	v_and_b32_e32 v1, 0xffff, v3
	v_and_b32_e32 v3, 0xffff, v4
	v_mul_u32_u24_e32 v83, 0x10001, v2
	v_lshrrev_b32_e32 v74, 16, v9
	v_and_b32_e32 v9, 0xffff, v9
	v_mul_u32_u24_e32 v84, 0x10001, v1
	v_mul_u32_u24_e32 v85, 0x10001, v3
	ds_load_b128 v[1:4], v109 offset:544
	v_lshrrev_b32_e32 v75, 16, v10
	v_lshrrev_b32_e32 v76, 16, v11
	;; [unrolled: 1-line block ×3, first 2 shown]
	v_and_b32_e32 v10, 0xffff, v10
	v_and_b32_e32 v11, 0xffff, v11
	;; [unrolled: 1-line block ×3, first 2 shown]
	v_mul_u32_u24_e32 v79, 0x10001, v79
	v_mul_u32_u24_e32 v9, 0x10001, v9
	;; [unrolled: 1-line block ×12, first 2 shown]
	v_pk_fma_f16 v49, v14, v79, v49
	s_wait_dscnt 0x0
	v_lshrrev_b32_e32 v79, 16, v1
	v_and_b32_e32 v1, 0xffff, v1
	v_pk_fma_f16 v73, v14, v9, v73
	v_pk_fma_f16 v51, v14, v74, v51
	;; [unrolled: 1-line block ×15, first 2 shown]
	ds_load_b128 v[5:8], v109 offset:1568
	ds_load_2addr_b32 v[13:14], v0 offset0:64 offset1:96
	ds_load_b128 v[9:12], v109 offset:560
	v_lshrrev_b32_e32 v80, 16, v2
	v_lshrrev_b32_e32 v81, 16, v3
	v_and_b32_e32 v2, 0xffff, v2
	v_mul_u32_u24_e32 v83, 0x10001, v1
	v_and_b32_e32 v1, 0xffff, v3
	v_and_b32_e32 v3, 0xffff, v4
	v_lshrrev_b32_e32 v82, 16, v4
	v_mul_u32_u24_e32 v84, 0x10001, v2
	v_mul_u32_u24_e32 v79, 0x10001, v79
	;; [unrolled: 1-line block ×4, first 2 shown]
	ds_load_b128 v[1:4], v109 offset:1584
	v_mul_u32_u24_e32 v80, 0x10001, v80
	v_mul_u32_u24_e32 v81, 0x10001, v81
	;; [unrolled: 1-line block ×3, first 2 shown]
	s_wait_dscnt 0x3
	v_lshrrev_b32_e32 v87, 16, v5
	v_and_b32_e32 v5, 0xffff, v5
	v_lshrrev_b32_e32 v88, 16, v6
	v_lshrrev_b32_e32 v89, 16, v7
	;; [unrolled: 1-line block ×3, first 2 shown]
	v_and_b32_e32 v6, 0xffff, v6
	v_and_b32_e32 v7, 0xffff, v7
	;; [unrolled: 1-line block ×3, first 2 shown]
	v_mul_u32_u24_e32 v5, 0x10001, v5
	v_mul_u32_u24_e32 v87, 0x10001, v87
	;; [unrolled: 1-line block ×8, first 2 shown]
	s_wait_dscnt 0x2
	v_pk_fma_f16 v73, v13, v83, v73
	v_pk_fma_f16 v51, v13, v79, v51
	;; [unrolled: 1-line block ×16, first 2 shown]
	s_wait_dscnt 0x0
	v_lshrrev_b32_e32 v78, 16, v1
	v_and_b32_e32 v1, 0xffff, v1
	v_lshrrev_b32_e32 v79, 16, v2
	v_lshrrev_b32_e32 v80, 16, v3
	v_and_b32_e32 v2, 0xffff, v2
	v_lshrrev_b32_e32 v81, 16, v4
	v_mul_u32_u24_e32 v82, 0x10001, v1
	v_and_b32_e32 v1, 0xffff, v3
	v_and_b32_e32 v3, 0xffff, v4
	v_mul_u32_u24_e32 v83, 0x10001, v2
	v_lshrrev_b32_e32 v74, 16, v9
	v_and_b32_e32 v9, 0xffff, v9
	v_mul_u32_u24_e32 v84, 0x10001, v1
	v_mul_u32_u24_e32 v85, 0x10001, v3
	ds_load_b128 v[1:4], v109 offset:576
	v_lshrrev_b32_e32 v75, 16, v10
	v_lshrrev_b32_e32 v76, 16, v11
	;; [unrolled: 1-line block ×3, first 2 shown]
	v_and_b32_e32 v10, 0xffff, v10
	v_and_b32_e32 v11, 0xffff, v11
	;; [unrolled: 1-line block ×3, first 2 shown]
	v_mul_u32_u24_e32 v79, 0x10001, v79
	v_mul_u32_u24_e32 v9, 0x10001, v9
	;; [unrolled: 1-line block ×12, first 2 shown]
	v_pk_fma_f16 v49, v14, v79, v49
	s_wait_dscnt 0x0
	v_lshrrev_b32_e32 v79, 16, v1
	v_and_b32_e32 v1, 0xffff, v1
	v_pk_fma_f16 v73, v14, v9, v73
	v_pk_fma_f16 v51, v14, v74, v51
	;; [unrolled: 1-line block ×15, first 2 shown]
	ds_load_b128 v[5:8], v109 offset:1600
	ds_load_2addr_b32 v[13:14], v0 offset0:128 offset1:160
	ds_load_b128 v[9:12], v109 offset:592
	v_lshrrev_b32_e32 v80, 16, v2
	v_lshrrev_b32_e32 v81, 16, v3
	v_and_b32_e32 v2, 0xffff, v2
	v_mul_u32_u24_e32 v83, 0x10001, v1
	v_and_b32_e32 v1, 0xffff, v3
	v_and_b32_e32 v3, 0xffff, v4
	v_lshrrev_b32_e32 v82, 16, v4
	v_mul_u32_u24_e32 v84, 0x10001, v2
	v_mul_u32_u24_e32 v79, 0x10001, v79
	;; [unrolled: 1-line block ×4, first 2 shown]
	ds_load_b128 v[1:4], v109 offset:1616
	v_mul_u32_u24_e32 v80, 0x10001, v80
	v_mul_u32_u24_e32 v81, 0x10001, v81
	;; [unrolled: 1-line block ×3, first 2 shown]
	s_wait_dscnt 0x3
	v_lshrrev_b32_e32 v87, 16, v5
	v_and_b32_e32 v5, 0xffff, v5
	v_lshrrev_b32_e32 v88, 16, v6
	v_lshrrev_b32_e32 v89, 16, v7
	;; [unrolled: 1-line block ×3, first 2 shown]
	v_and_b32_e32 v6, 0xffff, v6
	v_and_b32_e32 v7, 0xffff, v7
	;; [unrolled: 1-line block ×3, first 2 shown]
	v_mul_u32_u24_e32 v5, 0x10001, v5
	v_mul_u32_u24_e32 v87, 0x10001, v87
	;; [unrolled: 1-line block ×8, first 2 shown]
	s_wait_dscnt 0x2
	v_pk_fma_f16 v73, v13, v83, v73
	v_pk_fma_f16 v51, v13, v79, v51
	;; [unrolled: 1-line block ×16, first 2 shown]
	s_wait_dscnt 0x0
	v_lshrrev_b32_e32 v78, 16, v1
	v_and_b32_e32 v1, 0xffff, v1
	v_lshrrev_b32_e32 v79, 16, v2
	v_lshrrev_b32_e32 v80, 16, v3
	v_and_b32_e32 v2, 0xffff, v2
	v_lshrrev_b32_e32 v81, 16, v4
	v_mul_u32_u24_e32 v82, 0x10001, v1
	v_and_b32_e32 v1, 0xffff, v3
	v_and_b32_e32 v3, 0xffff, v4
	v_mul_u32_u24_e32 v83, 0x10001, v2
	v_lshrrev_b32_e32 v74, 16, v9
	v_and_b32_e32 v9, 0xffff, v9
	v_mul_u32_u24_e32 v84, 0x10001, v1
	v_mul_u32_u24_e32 v85, 0x10001, v3
	ds_load_b128 v[1:4], v109 offset:608
	v_lshrrev_b32_e32 v75, 16, v10
	v_lshrrev_b32_e32 v76, 16, v11
	;; [unrolled: 1-line block ×3, first 2 shown]
	v_and_b32_e32 v10, 0xffff, v10
	v_and_b32_e32 v11, 0xffff, v11
	;; [unrolled: 1-line block ×3, first 2 shown]
	v_mul_u32_u24_e32 v9, 0x10001, v9
	v_mul_u32_u24_e32 v74, 0x10001, v74
	;; [unrolled: 1-line block ×12, first 2 shown]
	v_pk_fma_f16 v73, v14, v9, v73
	v_pk_fma_f16 v51, v14, v74, v51
	;; [unrolled: 1-line block ×16, first 2 shown]
	ds_load_b128 v[5:8], v109 offset:1632
	ds_load_2addr_b32 v[13:14], v0 offset0:192 offset1:224
	ds_load_b128 v[9:12], v109 offset:624
	s_wait_dscnt 0x3
	v_lshrrev_b32_e32 v0, 16, v1
	v_and_b32_e32 v1, 0xffff, v1
	v_lshrrev_b32_e32 v79, 16, v2
	v_and_b32_e32 v2, 0xffff, v2
	v_lshrrev_b32_e32 v80, 16, v3
	v_mul_u32_u24_e32 v83, 0x10001, v0
	v_mul_u32_u24_e32 v82, 0x10001, v1
	v_and_b32_e32 v1, 0xffff, v3
	v_and_b32_e32 v0, 0xffff, v4
	v_lshrrev_b32_e32 v81, 16, v4
	v_mul_u32_u24_e32 v4, 0x10001, v2
	v_mul_u32_u24_e32 v79, 0x10001, v79
	;; [unrolled: 1-line block ×4, first 2 shown]
	ds_load_b128 v[0:3], v109 offset:1648
	v_mul_u32_u24_e32 v80, 0x10001, v80
	v_mul_u32_u24_e32 v81, 0x10001, v81
	s_wait_dscnt 0x3
	v_lshrrev_b32_e32 v86, 16, v5
	v_and_b32_e32 v5, 0xffff, v5
	v_lshrrev_b32_e32 v87, 16, v6
	v_lshrrev_b32_e32 v89, 16, v8
	v_and_b32_e32 v6, 0xffff, v6
	v_and_b32_e32 v8, 0xffff, v8
	v_lshrrev_b32_e32 v88, 16, v7
	v_mul_u32_u24_e32 v5, 0x10001, v5
	v_and_b32_e32 v7, 0xffff, v7
	v_mul_u32_u24_e32 v6, 0x10001, v6
	v_mul_u32_u24_e32 v8, 0x10001, v8
	s_wait_dscnt 0x2
	v_pk_fma_f16 v54, v13, v4, v54
	s_wait_dscnt 0x1
	v_lshrrev_b32_e32 v4, 16, v9
	v_mul_u32_u24_e32 v86, 0x10001, v86
	v_mul_u32_u24_e32 v87, 0x10001, v87
	;; [unrolled: 1-line block ×5, first 2 shown]
	v_pk_fma_f16 v5, v13, v5, v74
	v_pk_fma_f16 v6, v13, v6, v75
	;; [unrolled: 1-line block ×3, first 2 shown]
	v_lshrrev_b32_e32 v74, 16, v10
	v_lshrrev_b32_e32 v75, 16, v11
	v_mul_u32_u24_e32 v77, 0x10001, v4
	v_and_b32_e32 v4, 0xffff, v12
	v_pk_fma_f16 v73, v13, v82, v73
	v_pk_fma_f16 v51, v13, v83, v51
	v_pk_fma_f16 v52, v13, v79, v52
	v_pk_fma_f16 v72, v13, v84, v72
	v_pk_fma_f16 v55, v13, v80, v55
	v_pk_fma_f16 v53, v13, v85, v53
	v_pk_fma_f16 v15, v13, v81, v15
	v_pk_fma_f16 v32, v13, v86, v32
	v_pk_fma_f16 v49, v13, v87, v49
	v_pk_fma_f16 v7, v13, v7, v76
	v_pk_fma_f16 v50, v13, v88, v50
	v_pk_fma_f16 v13, v13, v89, v78
	v_lshrrev_b32_e32 v76, 16, v12
	v_mul_u32_u24_e32 v12, 0x10001, v74
	v_mul_u32_u24_e32 v74, 0x10001, v75
	;; [unrolled: 1-line block ×3, first 2 shown]
	s_wait_dscnt 0x0
	v_lshrrev_b32_e32 v4, 16, v0
	v_lshrrev_b32_e32 v78, 16, v1
	;; [unrolled: 1-line block ×4, first 2 shown]
	v_and_b32_e32 v1, 0xffff, v1
	v_and_b32_e32 v2, 0xffff, v2
	;; [unrolled: 1-line block ×3, first 2 shown]
	v_mul_u32_u24_e32 v81, 0x10001, v4
	v_and_b32_e32 v0, 0xffff, v0
	v_mul_u32_u24_e32 v82, 0x10001, v1
	v_mul_u32_u24_e32 v83, 0x10001, v2
	;; [unrolled: 1-line block ×3, first 2 shown]
	ds_load_b128 v[1:4], v109 offset:640
	v_and_b32_e32 v9, 0xffff, v9
	v_and_b32_e32 v10, 0xffff, v10
	;; [unrolled: 1-line block ×3, first 2 shown]
	v_mul_u32_u24_e32 v0, 0x10001, v0
	v_mul_u32_u24_e32 v79, 0x10001, v79
	;; [unrolled: 1-line block ×8, first 2 shown]
	v_pk_fma_f16 v55, v14, v74, v55
	v_pk_fma_f16 v74, v14, v0, v5
	v_add_nc_u32_e32 v0, 0x1400, v107
	v_pk_fma_f16 v50, v14, v79, v50
	v_pk_fma_f16 v73, v14, v9, v73
	;; [unrolled: 1-line block ×5, first 2 shown]
	s_wait_dscnt 0x0
	v_lshrrev_b32_e32 v79, 16, v1
	v_and_b32_e32 v1, 0xffff, v1
	v_pk_fma_f16 v72, v14, v11, v72
	v_pk_fma_f16 v53, v14, v75, v53
	;; [unrolled: 1-line block ×9, first 2 shown]
	ds_load_b128 v[5:8], v109 offset:1664
	ds_load_2addr_b32 v[13:14], v0 offset1:32
	ds_load_b128 v[9:12], v109 offset:656
	v_lshrrev_b32_e32 v80, 16, v2
	v_lshrrev_b32_e32 v81, 16, v3
	v_and_b32_e32 v2, 0xffff, v2
	v_mul_u32_u24_e32 v83, 0x10001, v1
	v_and_b32_e32 v1, 0xffff, v3
	v_and_b32_e32 v3, 0xffff, v4
	v_lshrrev_b32_e32 v82, 16, v4
	v_mul_u32_u24_e32 v84, 0x10001, v2
	v_mul_u32_u24_e32 v79, 0x10001, v79
	;; [unrolled: 1-line block ×4, first 2 shown]
	ds_load_b128 v[1:4], v109 offset:1680
	v_mul_u32_u24_e32 v80, 0x10001, v80
	v_mul_u32_u24_e32 v81, 0x10001, v81
	;; [unrolled: 1-line block ×3, first 2 shown]
	s_wait_dscnt 0x3
	v_lshrrev_b32_e32 v87, 16, v5
	v_and_b32_e32 v5, 0xffff, v5
	v_lshrrev_b32_e32 v88, 16, v6
	v_lshrrev_b32_e32 v89, 16, v7
	;; [unrolled: 1-line block ×3, first 2 shown]
	v_and_b32_e32 v6, 0xffff, v6
	v_and_b32_e32 v7, 0xffff, v7
	v_and_b32_e32 v8, 0xffff, v8
	v_mul_u32_u24_e32 v5, 0x10001, v5
	v_mul_u32_u24_e32 v87, 0x10001, v87
	;; [unrolled: 1-line block ×8, first 2 shown]
	s_wait_dscnt 0x2
	v_pk_fma_f16 v73, v13, v83, v73
	v_pk_fma_f16 v51, v13, v79, v51
	;; [unrolled: 1-line block ×16, first 2 shown]
	s_wait_dscnt 0x0
	v_lshrrev_b32_e32 v78, 16, v1
	v_and_b32_e32 v1, 0xffff, v1
	v_lshrrev_b32_e32 v79, 16, v2
	v_lshrrev_b32_e32 v80, 16, v3
	v_and_b32_e32 v2, 0xffff, v2
	v_lshrrev_b32_e32 v81, 16, v4
	v_mul_u32_u24_e32 v82, 0x10001, v1
	v_and_b32_e32 v1, 0xffff, v3
	v_and_b32_e32 v3, 0xffff, v4
	v_mul_u32_u24_e32 v83, 0x10001, v2
	v_lshrrev_b32_e32 v74, 16, v9
	v_and_b32_e32 v9, 0xffff, v9
	v_mul_u32_u24_e32 v84, 0x10001, v1
	v_mul_u32_u24_e32 v85, 0x10001, v3
	ds_load_b128 v[1:4], v109 offset:672
	v_lshrrev_b32_e32 v75, 16, v10
	v_lshrrev_b32_e32 v76, 16, v11
	;; [unrolled: 1-line block ×3, first 2 shown]
	v_and_b32_e32 v10, 0xffff, v10
	v_and_b32_e32 v11, 0xffff, v11
	;; [unrolled: 1-line block ×3, first 2 shown]
	v_mul_u32_u24_e32 v79, 0x10001, v79
	v_mul_u32_u24_e32 v9, 0x10001, v9
	;; [unrolled: 1-line block ×12, first 2 shown]
	v_pk_fma_f16 v49, v14, v79, v49
	s_wait_dscnt 0x0
	v_lshrrev_b32_e32 v79, 16, v1
	v_and_b32_e32 v1, 0xffff, v1
	v_pk_fma_f16 v73, v14, v9, v73
	v_pk_fma_f16 v51, v14, v74, v51
	v_pk_fma_f16 v54, v14, v10, v54
	v_pk_fma_f16 v52, v14, v75, v52
	v_pk_fma_f16 v72, v14, v11, v72
	v_pk_fma_f16 v55, v14, v76, v55
	v_pk_fma_f16 v53, v14, v12, v53
	v_pk_fma_f16 v15, v14, v77, v15
	v_pk_fma_f16 v74, v14, v82, v5
	v_pk_fma_f16 v32, v14, v78, v32
	v_pk_fma_f16 v75, v14, v83, v6
	v_pk_fma_f16 v76, v14, v84, v7
	v_pk_fma_f16 v50, v14, v80, v50
	v_pk_fma_f16 v77, v14, v85, v8
	v_pk_fma_f16 v78, v14, v81, v13
	ds_load_b128 v[5:8], v109 offset:1696
	ds_load_2addr_b32 v[13:14], v0 offset0:64 offset1:96
	ds_load_b128 v[9:12], v109 offset:688
	v_lshrrev_b32_e32 v80, 16, v2
	v_lshrrev_b32_e32 v81, 16, v3
	v_and_b32_e32 v2, 0xffff, v2
	v_mul_u32_u24_e32 v83, 0x10001, v1
	v_and_b32_e32 v1, 0xffff, v3
	v_and_b32_e32 v3, 0xffff, v4
	v_lshrrev_b32_e32 v82, 16, v4
	v_mul_u32_u24_e32 v84, 0x10001, v2
	v_mul_u32_u24_e32 v79, 0x10001, v79
	;; [unrolled: 1-line block ×4, first 2 shown]
	ds_load_b128 v[1:4], v109 offset:1712
	v_mul_u32_u24_e32 v80, 0x10001, v80
	v_mul_u32_u24_e32 v81, 0x10001, v81
	v_mul_u32_u24_e32 v82, 0x10001, v82
	s_wait_dscnt 0x3
	v_lshrrev_b32_e32 v87, 16, v5
	v_and_b32_e32 v5, 0xffff, v5
	v_lshrrev_b32_e32 v88, 16, v6
	v_lshrrev_b32_e32 v89, 16, v7
	;; [unrolled: 1-line block ×3, first 2 shown]
	v_and_b32_e32 v6, 0xffff, v6
	v_and_b32_e32 v7, 0xffff, v7
	;; [unrolled: 1-line block ×3, first 2 shown]
	v_mul_u32_u24_e32 v5, 0x10001, v5
	v_mul_u32_u24_e32 v87, 0x10001, v87
	;; [unrolled: 1-line block ×8, first 2 shown]
	s_wait_dscnt 0x2
	v_pk_fma_f16 v73, v13, v83, v73
	v_pk_fma_f16 v51, v13, v79, v51
	;; [unrolled: 1-line block ×16, first 2 shown]
	s_wait_dscnt 0x0
	v_lshrrev_b32_e32 v78, 16, v1
	v_and_b32_e32 v1, 0xffff, v1
	v_lshrrev_b32_e32 v79, 16, v2
	v_lshrrev_b32_e32 v80, 16, v3
	v_and_b32_e32 v2, 0xffff, v2
	v_lshrrev_b32_e32 v81, 16, v4
	v_mul_u32_u24_e32 v82, 0x10001, v1
	v_and_b32_e32 v1, 0xffff, v3
	v_and_b32_e32 v3, 0xffff, v4
	v_mul_u32_u24_e32 v83, 0x10001, v2
	v_lshrrev_b32_e32 v74, 16, v9
	v_and_b32_e32 v9, 0xffff, v9
	v_mul_u32_u24_e32 v84, 0x10001, v1
	v_mul_u32_u24_e32 v85, 0x10001, v3
	ds_load_b128 v[1:4], v109 offset:704
	v_lshrrev_b32_e32 v75, 16, v10
	v_lshrrev_b32_e32 v76, 16, v11
	;; [unrolled: 1-line block ×3, first 2 shown]
	v_and_b32_e32 v10, 0xffff, v10
	v_and_b32_e32 v11, 0xffff, v11
	;; [unrolled: 1-line block ×3, first 2 shown]
	v_mul_u32_u24_e32 v79, 0x10001, v79
	v_mul_u32_u24_e32 v9, 0x10001, v9
	;; [unrolled: 1-line block ×12, first 2 shown]
	v_pk_fma_f16 v49, v14, v79, v49
	s_wait_dscnt 0x0
	v_lshrrev_b32_e32 v79, 16, v1
	v_and_b32_e32 v1, 0xffff, v1
	v_pk_fma_f16 v73, v14, v9, v73
	v_pk_fma_f16 v51, v14, v74, v51
	;; [unrolled: 1-line block ×15, first 2 shown]
	ds_load_b128 v[5:8], v109 offset:1728
	ds_load_2addr_b32 v[13:14], v0 offset0:128 offset1:160
	ds_load_b128 v[9:12], v109 offset:720
	v_lshrrev_b32_e32 v80, 16, v2
	v_lshrrev_b32_e32 v81, 16, v3
	v_and_b32_e32 v2, 0xffff, v2
	v_mul_u32_u24_e32 v83, 0x10001, v1
	v_and_b32_e32 v1, 0xffff, v3
	v_and_b32_e32 v3, 0xffff, v4
	v_lshrrev_b32_e32 v82, 16, v4
	v_mul_u32_u24_e32 v84, 0x10001, v2
	v_mul_u32_u24_e32 v79, 0x10001, v79
	;; [unrolled: 1-line block ×4, first 2 shown]
	ds_load_b128 v[1:4], v109 offset:1744
	v_mul_u32_u24_e32 v80, 0x10001, v80
	v_mul_u32_u24_e32 v81, 0x10001, v81
	;; [unrolled: 1-line block ×3, first 2 shown]
	s_wait_dscnt 0x3
	v_lshrrev_b32_e32 v87, 16, v5
	v_and_b32_e32 v5, 0xffff, v5
	v_lshrrev_b32_e32 v88, 16, v6
	v_lshrrev_b32_e32 v89, 16, v7
	;; [unrolled: 1-line block ×3, first 2 shown]
	v_and_b32_e32 v6, 0xffff, v6
	v_and_b32_e32 v7, 0xffff, v7
	;; [unrolled: 1-line block ×3, first 2 shown]
	v_mul_u32_u24_e32 v5, 0x10001, v5
	v_mul_u32_u24_e32 v87, 0x10001, v87
	;; [unrolled: 1-line block ×8, first 2 shown]
	s_wait_dscnt 0x2
	v_pk_fma_f16 v73, v13, v83, v73
	v_pk_fma_f16 v51, v13, v79, v51
	;; [unrolled: 1-line block ×16, first 2 shown]
	s_wait_dscnt 0x0
	v_lshrrev_b32_e32 v78, 16, v1
	v_and_b32_e32 v1, 0xffff, v1
	v_lshrrev_b32_e32 v79, 16, v2
	v_lshrrev_b32_e32 v80, 16, v3
	v_and_b32_e32 v2, 0xffff, v2
	v_lshrrev_b32_e32 v81, 16, v4
	v_mul_u32_u24_e32 v82, 0x10001, v1
	v_and_b32_e32 v1, 0xffff, v3
	v_and_b32_e32 v3, 0xffff, v4
	v_mul_u32_u24_e32 v83, 0x10001, v2
	v_lshrrev_b32_e32 v74, 16, v9
	v_and_b32_e32 v9, 0xffff, v9
	v_mul_u32_u24_e32 v84, 0x10001, v1
	v_mul_u32_u24_e32 v85, 0x10001, v3
	ds_load_b128 v[1:4], v109 offset:736
	v_lshrrev_b32_e32 v75, 16, v10
	v_lshrrev_b32_e32 v76, 16, v11
	v_lshrrev_b32_e32 v77, 16, v12
	v_and_b32_e32 v10, 0xffff, v10
	v_and_b32_e32 v11, 0xffff, v11
	;; [unrolled: 1-line block ×3, first 2 shown]
	v_mul_u32_u24_e32 v9, 0x10001, v9
	v_mul_u32_u24_e32 v74, 0x10001, v74
	;; [unrolled: 1-line block ×12, first 2 shown]
	v_pk_fma_f16 v73, v14, v9, v73
	v_pk_fma_f16 v51, v14, v74, v51
	;; [unrolled: 1-line block ×16, first 2 shown]
	ds_load_b128 v[5:8], v109 offset:1760
	ds_load_2addr_b32 v[13:14], v0 offset0:192 offset1:224
	ds_load_b128 v[9:12], v109 offset:752
	s_wait_dscnt 0x3
	v_lshrrev_b32_e32 v0, 16, v1
	v_and_b32_e32 v1, 0xffff, v1
	v_lshrrev_b32_e32 v79, 16, v2
	v_and_b32_e32 v2, 0xffff, v2
	v_lshrrev_b32_e32 v80, 16, v3
	v_mul_u32_u24_e32 v83, 0x10001, v0
	v_mul_u32_u24_e32 v82, 0x10001, v1
	v_and_b32_e32 v1, 0xffff, v3
	v_and_b32_e32 v0, 0xffff, v4
	v_lshrrev_b32_e32 v81, 16, v4
	v_mul_u32_u24_e32 v4, 0x10001, v2
	v_mul_u32_u24_e32 v79, 0x10001, v79
	v_mul_u32_u24_e32 v84, 0x10001, v1
	v_mul_u32_u24_e32 v85, 0x10001, v0
	ds_load_b128 v[0:3], v109 offset:1776
	v_mul_u32_u24_e32 v80, 0x10001, v80
	v_mul_u32_u24_e32 v81, 0x10001, v81
	s_wait_dscnt 0x3
	v_lshrrev_b32_e32 v86, 16, v5
	v_and_b32_e32 v5, 0xffff, v5
	v_lshrrev_b32_e32 v87, 16, v6
	v_lshrrev_b32_e32 v89, 16, v8
	v_and_b32_e32 v6, 0xffff, v6
	v_and_b32_e32 v8, 0xffff, v8
	v_lshrrev_b32_e32 v88, 16, v7
	v_mul_u32_u24_e32 v5, 0x10001, v5
	v_and_b32_e32 v7, 0xffff, v7
	v_mul_u32_u24_e32 v6, 0x10001, v6
	v_mul_u32_u24_e32 v8, 0x10001, v8
	s_wait_dscnt 0x2
	v_pk_fma_f16 v54, v13, v4, v54
	s_wait_dscnt 0x1
	v_lshrrev_b32_e32 v4, 16, v9
	v_mul_u32_u24_e32 v86, 0x10001, v86
	v_mul_u32_u24_e32 v87, 0x10001, v87
	;; [unrolled: 1-line block ×5, first 2 shown]
	v_pk_fma_f16 v5, v13, v5, v74
	v_pk_fma_f16 v6, v13, v6, v75
	;; [unrolled: 1-line block ×3, first 2 shown]
	v_lshrrev_b32_e32 v74, 16, v10
	v_lshrrev_b32_e32 v75, 16, v11
	v_mul_u32_u24_e32 v77, 0x10001, v4
	v_and_b32_e32 v4, 0xffff, v12
	v_pk_fma_f16 v73, v13, v82, v73
	v_pk_fma_f16 v51, v13, v83, v51
	;; [unrolled: 1-line block ×12, first 2 shown]
	v_lshrrev_b32_e32 v76, 16, v12
	v_mul_u32_u24_e32 v12, 0x10001, v74
	v_mul_u32_u24_e32 v74, 0x10001, v75
	;; [unrolled: 1-line block ×3, first 2 shown]
	s_wait_dscnt 0x0
	v_lshrrev_b32_e32 v4, 16, v0
	v_lshrrev_b32_e32 v78, 16, v1
	;; [unrolled: 1-line block ×4, first 2 shown]
	v_and_b32_e32 v1, 0xffff, v1
	v_and_b32_e32 v2, 0xffff, v2
	;; [unrolled: 1-line block ×3, first 2 shown]
	v_mul_u32_u24_e32 v81, 0x10001, v4
	v_and_b32_e32 v0, 0xffff, v0
	v_mul_u32_u24_e32 v82, 0x10001, v1
	v_mul_u32_u24_e32 v83, 0x10001, v2
	;; [unrolled: 1-line block ×3, first 2 shown]
	ds_load_b128 v[1:4], v109 offset:768
	v_and_b32_e32 v9, 0xffff, v9
	v_and_b32_e32 v10, 0xffff, v10
	;; [unrolled: 1-line block ×3, first 2 shown]
	v_mul_u32_u24_e32 v0, 0x10001, v0
	v_mul_u32_u24_e32 v79, 0x10001, v79
	;; [unrolled: 1-line block ×8, first 2 shown]
	v_pk_fma_f16 v55, v14, v74, v55
	v_pk_fma_f16 v74, v14, v0, v5
	v_add_nc_u32_e32 v0, 0x1800, v107
	v_pk_fma_f16 v50, v14, v79, v50
	v_pk_fma_f16 v73, v14, v9, v73
	;; [unrolled: 1-line block ×5, first 2 shown]
	s_wait_dscnt 0x0
	v_lshrrev_b32_e32 v79, 16, v1
	v_and_b32_e32 v1, 0xffff, v1
	v_pk_fma_f16 v72, v14, v11, v72
	v_pk_fma_f16 v53, v14, v75, v53
	;; [unrolled: 1-line block ×9, first 2 shown]
	ds_load_b128 v[5:8], v109 offset:1792
	ds_load_2addr_b32 v[13:14], v0 offset1:32
	ds_load_b128 v[9:12], v109 offset:784
	v_lshrrev_b32_e32 v80, 16, v2
	v_lshrrev_b32_e32 v81, 16, v3
	v_and_b32_e32 v2, 0xffff, v2
	v_mul_u32_u24_e32 v83, 0x10001, v1
	v_and_b32_e32 v1, 0xffff, v3
	v_and_b32_e32 v3, 0xffff, v4
	v_lshrrev_b32_e32 v82, 16, v4
	v_mul_u32_u24_e32 v84, 0x10001, v2
	v_mul_u32_u24_e32 v79, 0x10001, v79
	v_mul_u32_u24_e32 v85, 0x10001, v1
	v_mul_u32_u24_e32 v86, 0x10001, v3
	ds_load_b128 v[1:4], v109 offset:1808
	v_mul_u32_u24_e32 v80, 0x10001, v80
	v_mul_u32_u24_e32 v81, 0x10001, v81
	;; [unrolled: 1-line block ×3, first 2 shown]
	s_wait_dscnt 0x3
	v_lshrrev_b32_e32 v87, 16, v5
	v_and_b32_e32 v5, 0xffff, v5
	v_lshrrev_b32_e32 v88, 16, v6
	v_lshrrev_b32_e32 v89, 16, v7
	;; [unrolled: 1-line block ×3, first 2 shown]
	v_and_b32_e32 v6, 0xffff, v6
	v_and_b32_e32 v7, 0xffff, v7
	;; [unrolled: 1-line block ×3, first 2 shown]
	v_mul_u32_u24_e32 v5, 0x10001, v5
	v_mul_u32_u24_e32 v87, 0x10001, v87
	;; [unrolled: 1-line block ×8, first 2 shown]
	s_wait_dscnt 0x2
	v_pk_fma_f16 v73, v13, v83, v73
	v_pk_fma_f16 v51, v13, v79, v51
	;; [unrolled: 1-line block ×16, first 2 shown]
	s_wait_dscnt 0x0
	v_lshrrev_b32_e32 v78, 16, v1
	v_and_b32_e32 v1, 0xffff, v1
	v_lshrrev_b32_e32 v79, 16, v2
	v_lshrrev_b32_e32 v80, 16, v3
	v_and_b32_e32 v2, 0xffff, v2
	v_lshrrev_b32_e32 v81, 16, v4
	v_mul_u32_u24_e32 v82, 0x10001, v1
	v_and_b32_e32 v1, 0xffff, v3
	v_and_b32_e32 v3, 0xffff, v4
	v_mul_u32_u24_e32 v83, 0x10001, v2
	v_lshrrev_b32_e32 v74, 16, v9
	v_and_b32_e32 v9, 0xffff, v9
	v_mul_u32_u24_e32 v84, 0x10001, v1
	v_mul_u32_u24_e32 v85, 0x10001, v3
	ds_load_b128 v[1:4], v109 offset:800
	v_lshrrev_b32_e32 v75, 16, v10
	v_lshrrev_b32_e32 v76, 16, v11
	;; [unrolled: 1-line block ×3, first 2 shown]
	v_and_b32_e32 v10, 0xffff, v10
	v_and_b32_e32 v11, 0xffff, v11
	;; [unrolled: 1-line block ×3, first 2 shown]
	v_mul_u32_u24_e32 v79, 0x10001, v79
	v_mul_u32_u24_e32 v9, 0x10001, v9
	;; [unrolled: 1-line block ×12, first 2 shown]
	v_pk_fma_f16 v49, v14, v79, v49
	s_wait_dscnt 0x0
	v_lshrrev_b32_e32 v79, 16, v1
	v_and_b32_e32 v1, 0xffff, v1
	v_pk_fma_f16 v73, v14, v9, v73
	v_pk_fma_f16 v51, v14, v74, v51
	;; [unrolled: 1-line block ×15, first 2 shown]
	ds_load_b128 v[5:8], v109 offset:1824
	ds_load_2addr_b32 v[13:14], v0 offset0:64 offset1:96
	ds_load_b128 v[9:12], v109 offset:816
	v_lshrrev_b32_e32 v80, 16, v2
	v_lshrrev_b32_e32 v81, 16, v3
	v_and_b32_e32 v2, 0xffff, v2
	v_mul_u32_u24_e32 v83, 0x10001, v1
	v_and_b32_e32 v1, 0xffff, v3
	v_and_b32_e32 v3, 0xffff, v4
	v_lshrrev_b32_e32 v82, 16, v4
	v_mul_u32_u24_e32 v84, 0x10001, v2
	v_mul_u32_u24_e32 v79, 0x10001, v79
	;; [unrolled: 1-line block ×4, first 2 shown]
	ds_load_b128 v[1:4], v109 offset:1840
	v_mul_u32_u24_e32 v80, 0x10001, v80
	v_mul_u32_u24_e32 v81, 0x10001, v81
	;; [unrolled: 1-line block ×3, first 2 shown]
	s_wait_dscnt 0x3
	v_lshrrev_b32_e32 v87, 16, v5
	v_and_b32_e32 v5, 0xffff, v5
	v_lshrrev_b32_e32 v88, 16, v6
	v_lshrrev_b32_e32 v89, 16, v7
	v_lshrrev_b32_e32 v90, 16, v8
	v_and_b32_e32 v6, 0xffff, v6
	v_and_b32_e32 v7, 0xffff, v7
	;; [unrolled: 1-line block ×3, first 2 shown]
	v_mul_u32_u24_e32 v5, 0x10001, v5
	v_mul_u32_u24_e32 v87, 0x10001, v87
	;; [unrolled: 1-line block ×8, first 2 shown]
	s_wait_dscnt 0x2
	v_pk_fma_f16 v73, v13, v83, v73
	v_pk_fma_f16 v51, v13, v79, v51
	;; [unrolled: 1-line block ×16, first 2 shown]
	s_wait_dscnt 0x0
	v_lshrrev_b32_e32 v78, 16, v1
	v_and_b32_e32 v1, 0xffff, v1
	v_lshrrev_b32_e32 v79, 16, v2
	v_lshrrev_b32_e32 v80, 16, v3
	v_and_b32_e32 v2, 0xffff, v2
	v_lshrrev_b32_e32 v81, 16, v4
	v_mul_u32_u24_e32 v82, 0x10001, v1
	v_and_b32_e32 v1, 0xffff, v3
	v_and_b32_e32 v3, 0xffff, v4
	v_mul_u32_u24_e32 v83, 0x10001, v2
	v_lshrrev_b32_e32 v74, 16, v9
	v_and_b32_e32 v9, 0xffff, v9
	v_mul_u32_u24_e32 v84, 0x10001, v1
	v_mul_u32_u24_e32 v85, 0x10001, v3
	ds_load_b128 v[1:4], v109 offset:832
	v_lshrrev_b32_e32 v75, 16, v10
	v_lshrrev_b32_e32 v76, 16, v11
	;; [unrolled: 1-line block ×3, first 2 shown]
	v_and_b32_e32 v10, 0xffff, v10
	v_and_b32_e32 v11, 0xffff, v11
	v_and_b32_e32 v12, 0xffff, v12
	v_mul_u32_u24_e32 v79, 0x10001, v79
	v_mul_u32_u24_e32 v9, 0x10001, v9
	;; [unrolled: 1-line block ×12, first 2 shown]
	v_pk_fma_f16 v49, v14, v79, v49
	s_wait_dscnt 0x0
	v_lshrrev_b32_e32 v79, 16, v1
	v_and_b32_e32 v1, 0xffff, v1
	v_pk_fma_f16 v73, v14, v9, v73
	v_pk_fma_f16 v51, v14, v74, v51
	;; [unrolled: 1-line block ×15, first 2 shown]
	ds_load_b128 v[5:8], v109 offset:1856
	ds_load_2addr_b32 v[13:14], v0 offset0:128 offset1:160
	ds_load_b128 v[9:12], v109 offset:848
	v_lshrrev_b32_e32 v80, 16, v2
	v_lshrrev_b32_e32 v81, 16, v3
	v_and_b32_e32 v2, 0xffff, v2
	v_mul_u32_u24_e32 v83, 0x10001, v1
	v_and_b32_e32 v1, 0xffff, v3
	v_and_b32_e32 v3, 0xffff, v4
	v_lshrrev_b32_e32 v82, 16, v4
	v_mul_u32_u24_e32 v84, 0x10001, v2
	v_mul_u32_u24_e32 v79, 0x10001, v79
	;; [unrolled: 1-line block ×4, first 2 shown]
	ds_load_b128 v[1:4], v109 offset:1872
	v_mul_u32_u24_e32 v80, 0x10001, v80
	v_mul_u32_u24_e32 v81, 0x10001, v81
	;; [unrolled: 1-line block ×3, first 2 shown]
	s_wait_dscnt 0x3
	v_lshrrev_b32_e32 v87, 16, v5
	v_and_b32_e32 v5, 0xffff, v5
	v_lshrrev_b32_e32 v88, 16, v6
	v_lshrrev_b32_e32 v89, 16, v7
	;; [unrolled: 1-line block ×3, first 2 shown]
	v_and_b32_e32 v6, 0xffff, v6
	v_and_b32_e32 v7, 0xffff, v7
	v_and_b32_e32 v8, 0xffff, v8
	v_mul_u32_u24_e32 v5, 0x10001, v5
	v_mul_u32_u24_e32 v87, 0x10001, v87
	;; [unrolled: 1-line block ×8, first 2 shown]
	s_wait_dscnt 0x2
	v_pk_fma_f16 v73, v13, v83, v73
	v_pk_fma_f16 v51, v13, v79, v51
	v_pk_fma_f16 v54, v13, v84, v54
	v_pk_fma_f16 v52, v13, v80, v52
	v_pk_fma_f16 v72, v13, v85, v72
	v_pk_fma_f16 v55, v13, v81, v55
	v_pk_fma_f16 v53, v13, v86, v53
	v_pk_fma_f16 v15, v13, v82, v15
	v_pk_fma_f16 v5, v13, v5, v74
	v_pk_fma_f16 v32, v13, v87, v32
	v_pk_fma_f16 v6, v13, v6, v75
	v_pk_fma_f16 v49, v13, v88, v49
	v_pk_fma_f16 v7, v13, v7, v76
	v_pk_fma_f16 v50, v13, v89, v50
	v_pk_fma_f16 v8, v13, v8, v77
	v_pk_fma_f16 v13, v13, v90, v78
	s_wait_dscnt 0x0
	v_lshrrev_b32_e32 v78, 16, v1
	v_and_b32_e32 v1, 0xffff, v1
	v_lshrrev_b32_e32 v79, 16, v2
	v_lshrrev_b32_e32 v80, 16, v3
	v_and_b32_e32 v2, 0xffff, v2
	v_lshrrev_b32_e32 v81, 16, v4
	v_mul_u32_u24_e32 v82, 0x10001, v1
	v_and_b32_e32 v1, 0xffff, v3
	v_and_b32_e32 v3, 0xffff, v4
	v_mul_u32_u24_e32 v83, 0x10001, v2
	v_lshrrev_b32_e32 v74, 16, v9
	v_and_b32_e32 v9, 0xffff, v9
	v_mul_u32_u24_e32 v84, 0x10001, v1
	v_mul_u32_u24_e32 v85, 0x10001, v3
	ds_load_b128 v[1:4], v109 offset:864
	v_lshrrev_b32_e32 v75, 16, v10
	v_lshrrev_b32_e32 v76, 16, v11
	;; [unrolled: 1-line block ×3, first 2 shown]
	v_and_b32_e32 v10, 0xffff, v10
	v_and_b32_e32 v11, 0xffff, v11
	;; [unrolled: 1-line block ×3, first 2 shown]
	v_mul_u32_u24_e32 v9, 0x10001, v9
	v_mul_u32_u24_e32 v74, 0x10001, v74
	v_mul_u32_u24_e32 v10, 0x10001, v10
	v_mul_u32_u24_e32 v75, 0x10001, v75
	v_mul_u32_u24_e32 v11, 0x10001, v11
	v_mul_u32_u24_e32 v76, 0x10001, v76
	v_mul_u32_u24_e32 v12, 0x10001, v12
	v_mul_u32_u24_e32 v77, 0x10001, v77
	v_mul_u32_u24_e32 v78, 0x10001, v78
	v_mul_u32_u24_e32 v79, 0x10001, v79
	v_mul_u32_u24_e32 v80, 0x10001, v80
	v_mul_u32_u24_e32 v81, 0x10001, v81
	v_pk_fma_f16 v73, v14, v9, v73
	v_pk_fma_f16 v51, v14, v74, v51
	;; [unrolled: 1-line block ×16, first 2 shown]
	ds_load_b128 v[5:8], v109 offset:1888
	ds_load_2addr_b32 v[13:14], v0 offset0:192 offset1:224
	ds_load_b128 v[9:12], v109 offset:880
	s_wait_dscnt 0x3
	v_lshrrev_b32_e32 v0, 16, v1
	v_and_b32_e32 v1, 0xffff, v1
	v_lshrrev_b32_e32 v79, 16, v2
	v_and_b32_e32 v2, 0xffff, v2
	v_lshrrev_b32_e32 v80, 16, v3
	v_mul_u32_u24_e32 v83, 0x10001, v0
	v_mul_u32_u24_e32 v82, 0x10001, v1
	v_and_b32_e32 v1, 0xffff, v3
	v_and_b32_e32 v0, 0xffff, v4
	v_lshrrev_b32_e32 v81, 16, v4
	v_mul_u32_u24_e32 v4, 0x10001, v2
	v_mul_u32_u24_e32 v79, 0x10001, v79
	;; [unrolled: 1-line block ×4, first 2 shown]
	ds_load_b128 v[0:3], v109 offset:1904
	v_mul_u32_u24_e32 v80, 0x10001, v80
	v_mul_u32_u24_e32 v81, 0x10001, v81
	s_wait_dscnt 0x3
	v_lshrrev_b32_e32 v86, 16, v5
	v_and_b32_e32 v5, 0xffff, v5
	v_lshrrev_b32_e32 v87, 16, v6
	v_lshrrev_b32_e32 v89, 16, v8
	v_and_b32_e32 v6, 0xffff, v6
	v_and_b32_e32 v8, 0xffff, v8
	v_lshrrev_b32_e32 v88, 16, v7
	v_mul_u32_u24_e32 v5, 0x10001, v5
	v_and_b32_e32 v7, 0xffff, v7
	v_mul_u32_u24_e32 v6, 0x10001, v6
	v_mul_u32_u24_e32 v8, 0x10001, v8
	s_wait_dscnt 0x2
	v_pk_fma_f16 v54, v13, v4, v54
	s_wait_dscnt 0x1
	v_lshrrev_b32_e32 v4, 16, v9
	v_mul_u32_u24_e32 v86, 0x10001, v86
	v_mul_u32_u24_e32 v87, 0x10001, v87
	;; [unrolled: 1-line block ×5, first 2 shown]
	v_pk_fma_f16 v5, v13, v5, v74
	v_pk_fma_f16 v6, v13, v6, v75
	;; [unrolled: 1-line block ×3, first 2 shown]
	v_lshrrev_b32_e32 v74, 16, v10
	v_lshrrev_b32_e32 v75, 16, v11
	v_mul_u32_u24_e32 v77, 0x10001, v4
	v_and_b32_e32 v4, 0xffff, v12
	v_pk_fma_f16 v73, v13, v82, v73
	v_pk_fma_f16 v51, v13, v83, v51
	;; [unrolled: 1-line block ×12, first 2 shown]
	v_lshrrev_b32_e32 v76, 16, v12
	v_mul_u32_u24_e32 v12, 0x10001, v74
	v_mul_u32_u24_e32 v74, 0x10001, v75
	;; [unrolled: 1-line block ×3, first 2 shown]
	s_wait_dscnt 0x0
	v_lshrrev_b32_e32 v4, 16, v0
	v_lshrrev_b32_e32 v78, 16, v1
	;; [unrolled: 1-line block ×4, first 2 shown]
	v_and_b32_e32 v1, 0xffff, v1
	v_and_b32_e32 v2, 0xffff, v2
	;; [unrolled: 1-line block ×3, first 2 shown]
	v_mul_u32_u24_e32 v81, 0x10001, v4
	v_and_b32_e32 v0, 0xffff, v0
	v_mul_u32_u24_e32 v82, 0x10001, v1
	v_mul_u32_u24_e32 v83, 0x10001, v2
	;; [unrolled: 1-line block ×3, first 2 shown]
	ds_load_b128 v[1:4], v109 offset:896
	v_and_b32_e32 v9, 0xffff, v9
	v_and_b32_e32 v10, 0xffff, v10
	;; [unrolled: 1-line block ×3, first 2 shown]
	v_mul_u32_u24_e32 v0, 0x10001, v0
	v_mul_u32_u24_e32 v79, 0x10001, v79
	;; [unrolled: 1-line block ×8, first 2 shown]
	v_pk_fma_f16 v55, v14, v74, v55
	v_pk_fma_f16 v74, v14, v0, v5
	v_add_nc_u32_e32 v0, 0x1c00, v107
	v_pk_fma_f16 v50, v14, v79, v50
	v_pk_fma_f16 v73, v14, v9, v73
	;; [unrolled: 1-line block ×5, first 2 shown]
	s_wait_dscnt 0x0
	v_lshrrev_b32_e32 v79, 16, v1
	v_and_b32_e32 v1, 0xffff, v1
	v_pk_fma_f16 v72, v14, v11, v72
	v_pk_fma_f16 v53, v14, v75, v53
	;; [unrolled: 1-line block ×9, first 2 shown]
	ds_load_b128 v[5:8], v109 offset:1920
	ds_load_2addr_b32 v[13:14], v0 offset1:32
	ds_load_b128 v[9:12], v109 offset:912
	v_lshrrev_b32_e32 v80, 16, v2
	v_lshrrev_b32_e32 v81, 16, v3
	v_and_b32_e32 v2, 0xffff, v2
	v_mul_u32_u24_e32 v83, 0x10001, v1
	v_and_b32_e32 v1, 0xffff, v3
	v_and_b32_e32 v3, 0xffff, v4
	v_lshrrev_b32_e32 v82, 16, v4
	v_mul_u32_u24_e32 v84, 0x10001, v2
	v_mul_u32_u24_e32 v79, 0x10001, v79
	;; [unrolled: 1-line block ×4, first 2 shown]
	ds_load_b128 v[1:4], v109 offset:1936
	v_mul_u32_u24_e32 v80, 0x10001, v80
	v_mul_u32_u24_e32 v81, 0x10001, v81
	;; [unrolled: 1-line block ×3, first 2 shown]
	s_wait_dscnt 0x3
	v_lshrrev_b32_e32 v87, 16, v5
	v_and_b32_e32 v5, 0xffff, v5
	v_lshrrev_b32_e32 v88, 16, v6
	v_lshrrev_b32_e32 v89, 16, v7
	;; [unrolled: 1-line block ×3, first 2 shown]
	v_and_b32_e32 v6, 0xffff, v6
	v_and_b32_e32 v7, 0xffff, v7
	;; [unrolled: 1-line block ×3, first 2 shown]
	v_mul_u32_u24_e32 v5, 0x10001, v5
	v_mul_u32_u24_e32 v87, 0x10001, v87
	;; [unrolled: 1-line block ×8, first 2 shown]
	s_wait_dscnt 0x2
	v_pk_fma_f16 v73, v13, v83, v73
	v_pk_fma_f16 v51, v13, v79, v51
	;; [unrolled: 1-line block ×16, first 2 shown]
	s_wait_dscnt 0x0
	v_lshrrev_b32_e32 v78, 16, v1
	v_and_b32_e32 v1, 0xffff, v1
	v_lshrrev_b32_e32 v79, 16, v2
	v_lshrrev_b32_e32 v80, 16, v3
	v_and_b32_e32 v2, 0xffff, v2
	v_lshrrev_b32_e32 v81, 16, v4
	v_mul_u32_u24_e32 v82, 0x10001, v1
	v_and_b32_e32 v1, 0xffff, v3
	v_and_b32_e32 v3, 0xffff, v4
	v_mul_u32_u24_e32 v83, 0x10001, v2
	v_lshrrev_b32_e32 v74, 16, v9
	v_and_b32_e32 v9, 0xffff, v9
	v_mul_u32_u24_e32 v84, 0x10001, v1
	v_mul_u32_u24_e32 v85, 0x10001, v3
	ds_load_b128 v[1:4], v109 offset:928
	v_lshrrev_b32_e32 v75, 16, v10
	v_lshrrev_b32_e32 v76, 16, v11
	;; [unrolled: 1-line block ×3, first 2 shown]
	v_and_b32_e32 v10, 0xffff, v10
	v_and_b32_e32 v11, 0xffff, v11
	;; [unrolled: 1-line block ×3, first 2 shown]
	v_mul_u32_u24_e32 v79, 0x10001, v79
	v_mul_u32_u24_e32 v9, 0x10001, v9
	;; [unrolled: 1-line block ×12, first 2 shown]
	v_pk_fma_f16 v49, v14, v79, v49
	s_wait_dscnt 0x0
	v_lshrrev_b32_e32 v79, 16, v1
	v_and_b32_e32 v1, 0xffff, v1
	v_pk_fma_f16 v73, v14, v9, v73
	v_pk_fma_f16 v51, v14, v74, v51
	;; [unrolled: 1-line block ×15, first 2 shown]
	ds_load_b128 v[5:8], v109 offset:1952
	ds_load_2addr_b32 v[13:14], v0 offset0:64 offset1:96
	ds_load_b128 v[9:12], v109 offset:944
	v_lshrrev_b32_e32 v80, 16, v2
	v_lshrrev_b32_e32 v81, 16, v3
	v_and_b32_e32 v2, 0xffff, v2
	v_mul_u32_u24_e32 v83, 0x10001, v1
	v_and_b32_e32 v1, 0xffff, v3
	v_and_b32_e32 v3, 0xffff, v4
	v_lshrrev_b32_e32 v82, 16, v4
	v_mul_u32_u24_e32 v84, 0x10001, v2
	v_mul_u32_u24_e32 v79, 0x10001, v79
	;; [unrolled: 1-line block ×4, first 2 shown]
	ds_load_b128 v[1:4], v109 offset:1968
	v_mul_u32_u24_e32 v80, 0x10001, v80
	v_mul_u32_u24_e32 v81, 0x10001, v81
	;; [unrolled: 1-line block ×3, first 2 shown]
	s_wait_dscnt 0x3
	v_lshrrev_b32_e32 v87, 16, v5
	v_and_b32_e32 v5, 0xffff, v5
	v_lshrrev_b32_e32 v88, 16, v6
	v_lshrrev_b32_e32 v89, 16, v7
	;; [unrolled: 1-line block ×3, first 2 shown]
	v_and_b32_e32 v6, 0xffff, v6
	v_and_b32_e32 v7, 0xffff, v7
	v_and_b32_e32 v8, 0xffff, v8
	v_mul_u32_u24_e32 v5, 0x10001, v5
	v_mul_u32_u24_e32 v87, 0x10001, v87
	;; [unrolled: 1-line block ×8, first 2 shown]
	s_wait_dscnt 0x2
	v_pk_fma_f16 v73, v13, v83, v73
	v_pk_fma_f16 v51, v13, v79, v51
	;; [unrolled: 1-line block ×16, first 2 shown]
	s_wait_dscnt 0x0
	v_lshrrev_b32_e32 v78, 16, v1
	v_and_b32_e32 v1, 0xffff, v1
	v_lshrrev_b32_e32 v79, 16, v2
	v_lshrrev_b32_e32 v80, 16, v3
	v_and_b32_e32 v2, 0xffff, v2
	v_lshrrev_b32_e32 v81, 16, v4
	v_mul_u32_u24_e32 v82, 0x10001, v1
	v_and_b32_e32 v1, 0xffff, v3
	v_and_b32_e32 v3, 0xffff, v4
	v_mul_u32_u24_e32 v83, 0x10001, v2
	v_lshrrev_b32_e32 v74, 16, v9
	v_and_b32_e32 v9, 0xffff, v9
	v_mul_u32_u24_e32 v84, 0x10001, v1
	v_mul_u32_u24_e32 v85, 0x10001, v3
	ds_load_b128 v[1:4], v109 offset:960
	v_lshrrev_b32_e32 v75, 16, v10
	v_lshrrev_b32_e32 v76, 16, v11
	;; [unrolled: 1-line block ×3, first 2 shown]
	v_and_b32_e32 v10, 0xffff, v10
	v_and_b32_e32 v11, 0xffff, v11
	;; [unrolled: 1-line block ×3, first 2 shown]
	v_mul_u32_u24_e32 v79, 0x10001, v79
	v_mul_u32_u24_e32 v9, 0x10001, v9
	v_mul_u32_u24_e32 v74, 0x10001, v74
	v_mul_u32_u24_e32 v10, 0x10001, v10
	v_mul_u32_u24_e32 v75, 0x10001, v75
	v_mul_u32_u24_e32 v11, 0x10001, v11
	v_mul_u32_u24_e32 v76, 0x10001, v76
	v_mul_u32_u24_e32 v12, 0x10001, v12
	v_mul_u32_u24_e32 v77, 0x10001, v77
	v_mul_u32_u24_e32 v78, 0x10001, v78
	v_mul_u32_u24_e32 v80, 0x10001, v80
	v_mul_u32_u24_e32 v81, 0x10001, v81
	v_pk_fma_f16 v49, v14, v79, v49
	s_wait_dscnt 0x0
	v_lshrrev_b32_e32 v79, 16, v1
	v_and_b32_e32 v1, 0xffff, v1
	v_pk_fma_f16 v73, v14, v9, v73
	v_pk_fma_f16 v51, v14, v74, v51
	;; [unrolled: 1-line block ×15, first 2 shown]
	ds_load_b128 v[5:8], v109 offset:1984
	ds_load_2addr_b32 v[13:14], v0 offset0:128 offset1:160
	ds_load_b128 v[9:12], v109 offset:976
	v_lshrrev_b32_e32 v80, 16, v2
	v_lshrrev_b32_e32 v81, 16, v3
	v_and_b32_e32 v2, 0xffff, v2
	v_mul_u32_u24_e32 v83, 0x10001, v1
	v_and_b32_e32 v1, 0xffff, v3
	v_and_b32_e32 v3, 0xffff, v4
	v_lshrrev_b32_e32 v82, 16, v4
	v_mul_u32_u24_e32 v84, 0x10001, v2
	v_mul_u32_u24_e32 v79, 0x10001, v79
	;; [unrolled: 1-line block ×4, first 2 shown]
	ds_load_b128 v[1:4], v109 offset:2000
	v_mul_u32_u24_e32 v80, 0x10001, v80
	v_mul_u32_u24_e32 v81, 0x10001, v81
	;; [unrolled: 1-line block ×3, first 2 shown]
	s_wait_dscnt 0x3
	v_lshrrev_b32_e32 v87, 16, v5
	v_and_b32_e32 v5, 0xffff, v5
	v_lshrrev_b32_e32 v88, 16, v6
	v_lshrrev_b32_e32 v89, 16, v7
	;; [unrolled: 1-line block ×3, first 2 shown]
	v_and_b32_e32 v6, 0xffff, v6
	v_and_b32_e32 v7, 0xffff, v7
	;; [unrolled: 1-line block ×3, first 2 shown]
	v_mul_u32_u24_e32 v5, 0x10001, v5
	v_mul_u32_u24_e32 v87, 0x10001, v87
	;; [unrolled: 1-line block ×8, first 2 shown]
	s_wait_dscnt 0x2
	v_pk_fma_f16 v73, v13, v83, v73
	v_pk_fma_f16 v51, v13, v79, v51
	;; [unrolled: 1-line block ×16, first 2 shown]
	s_wait_dscnt 0x0
	v_lshrrev_b32_e32 v78, 16, v1
	v_and_b32_e32 v1, 0xffff, v1
	v_lshrrev_b32_e32 v79, 16, v2
	v_lshrrev_b32_e32 v80, 16, v3
	v_and_b32_e32 v2, 0xffff, v2
	v_lshrrev_b32_e32 v81, 16, v4
	v_mul_u32_u24_e32 v82, 0x10001, v1
	v_and_b32_e32 v1, 0xffff, v3
	v_and_b32_e32 v3, 0xffff, v4
	v_mul_u32_u24_e32 v83, 0x10001, v2
	v_lshrrev_b32_e32 v74, 16, v9
	v_and_b32_e32 v9, 0xffff, v9
	v_mul_u32_u24_e32 v84, 0x10001, v1
	v_mul_u32_u24_e32 v85, 0x10001, v3
	ds_load_b128 v[1:4], v109 offset:992
	v_lshrrev_b32_e32 v75, 16, v10
	v_lshrrev_b32_e32 v76, 16, v11
	;; [unrolled: 1-line block ×3, first 2 shown]
	v_and_b32_e32 v10, 0xffff, v10
	v_and_b32_e32 v11, 0xffff, v11
	;; [unrolled: 1-line block ×3, first 2 shown]
	v_mul_u32_u24_e32 v9, 0x10001, v9
	v_mul_u32_u24_e32 v74, 0x10001, v74
	;; [unrolled: 1-line block ×12, first 2 shown]
	v_pk_fma_f16 v73, v14, v9, v73
	v_pk_fma_f16 v51, v14, v74, v51
	;; [unrolled: 1-line block ×16, first 2 shown]
	ds_load_b128 v[5:8], v109 offset:2016
	ds_load_2addr_b32 v[13:14], v0 offset0:192 offset1:224
	ds_load_b128 v[9:12], v109 offset:1008
	s_wait_dscnt 0x3
	v_lshrrev_b32_e32 v0, 16, v1
	v_and_b32_e32 v1, 0xffff, v1
	v_lshrrev_b32_e32 v79, 16, v2
	v_and_b32_e32 v2, 0xffff, v2
	v_lshrrev_b32_e32 v80, 16, v3
	v_mul_u32_u24_e32 v83, 0x10001, v0
	v_mul_u32_u24_e32 v82, 0x10001, v1
	v_and_b32_e32 v1, 0xffff, v3
	v_and_b32_e32 v0, 0xffff, v4
	v_lshrrev_b32_e32 v81, 16, v4
	v_mul_u32_u24_e32 v4, 0x10001, v2
	v_mul_u32_u24_e32 v79, 0x10001, v79
	;; [unrolled: 1-line block ×4, first 2 shown]
	ds_load_b128 v[0:3], v109 offset:2032
	s_wait_loadcnt_dscnt 0x0
	s_barrier_signal -1
	s_barrier_wait -1
	global_inv scope:SCOPE_SE
	s_load_b32 s15, s[26:27], 0x4
	v_lshrrev_b32_e32 v86, 16, v5
	v_and_b32_e32 v5, 0xffff, v5
	v_lshrrev_b32_e32 v87, 16, v6
	v_lshrrev_b32_e32 v88, 16, v7
	;; [unrolled: 1-line block ×3, first 2 shown]
	v_and_b32_e32 v6, 0xffff, v6
	v_and_b32_e32 v7, 0xffff, v7
	;; [unrolled: 1-line block ×3, first 2 shown]
	v_mul_u32_u24_e32 v80, 0x10001, v80
	v_mul_u32_u24_e32 v81, 0x10001, v81
	;; [unrolled: 1-line block ×10, first 2 shown]
	v_pk_fma_f16 v73, v13, v82, v73
	v_pk_fma_f16 v51, v13, v83, v51
	;; [unrolled: 1-line block ×16, first 2 shown]
	v_lshrrev_b32_e32 v72, 16, v9
	v_and_b32_e32 v9, 0xffff, v9
	v_lshrrev_b32_e32 v74, 16, v10
	v_lshrrev_b32_e32 v75, 16, v11
	;; [unrolled: 1-line block ×3, first 2 shown]
	v_and_b32_e32 v10, 0xffff, v10
	v_and_b32_e32 v11, 0xffff, v11
	;; [unrolled: 1-line block ×3, first 2 shown]
	v_lshrrev_b32_e32 v77, 16, v0
	v_and_b32_e32 v0, 0xffff, v0
	v_lshrrev_b32_e32 v78, 16, v1
	v_and_b32_e32 v1, 0xffff, v1
	v_lshrrev_b32_e32 v79, 16, v2
	v_lshrrev_b32_e32 v80, 16, v3
	v_and_b32_e32 v2, 0xffff, v2
	v_and_b32_e32 v3, 0xffff, v3
	v_mul_u32_u24_e32 v9, 0x10001, v9
	v_mul_u32_u24_e32 v72, 0x10001, v72
	;; [unrolled: 1-line block ×16, first 2 shown]
	s_wait_kmcnt 0x0
	s_lshl_b32 s15, s15, 6
	v_pk_fma_f16 v142, v14, v9, v73
	v_pk_fma_f16 v141, v14, v72, v51
	;; [unrolled: 1-line block ×16, first 2 shown]
	s_wait_alu 0xfffe
	s_add_co_i32 s14, s15, s14
	s_wait_alu 0xfffe
	s_cmp_lt_i32 s14, s3
	s_cbranch_scc0 .LBB52_78
; %bb.74:                               ;   in Loop: Header=BB52_8 Depth=1
	v_dual_mov_b32 v204, v16 :: v_dual_mov_b32 v203, v17
	v_dual_mov_b32 v200, v18 :: v_dual_mov_b32 v199, v19
	;; [unrolled: 1-line block ×16, first 2 shown]
	s_branch .LBB52_8
.LBB52_75:
	v_dual_mov_b32 v33, 0 :: v_dual_mov_b32 v16, 0xfeffffff
	s_delay_alu instid0(VALU_DEP_1)
	v_dual_mov_b32 v34, v33 :: v_dual_mov_b32 v35, v33
	v_dual_mov_b32 v36, v33 :: v_dual_mov_b32 v37, v33
	;; [unrolled: 1-line block ×23, first 2 shown]
	v_lshlrev_b32_e32 v57, 1, v100
	s_cmp_gt_i32 s2, s14
	s_cbranch_scc0 .LBB52_79
.LBB52_76:
                                        ; implicit-def: $vgpr0
                                        ; implicit-def: $vgpr56
                                        ; implicit-def: $vgpr51
                                        ; implicit-def: $vgpr52
                                        ; implicit-def: $vgpr54
                                        ; implicit-def: $vgpr55
                                        ; implicit-def: $vgpr53
	s_branch .LBB52_80
.LBB52_77:
	v_mov_b32_e32 v105, v0
	s_branch .LBB52_240
.LBB52_78:
	s_clause 0x5
	scratch_load_b32 v202, off, off offset:32
	scratch_load_b32 v204, off, off offset:36
	;; [unrolled: 1-line block ×6, first 2 shown]
	v_or_b32_e32 v199, 13, v103
	v_mov_b32_e32 v200, v144
	v_or_b32_e32 v201, 12, v103
	v_or_b32_e32 v203, 11, v103
	;; [unrolled: 1-line block ×13, first 2 shown]
	v_lshrrev_b32_e32 v1, 3, v100
	v_lshlrev_b32_e32 v57, 1, v100
	s_cmp_gt_i32 s2, s14
	s_cbranch_scc1 .LBB52_76
.LBB52_79:
	v_mbcnt_lo_u32_b32 v0, -1, 0
	v_mov_b32_e32 v56, 32
	s_delay_alu instid0(VALU_DEP_2)
	v_xor_b32_e32 v51, 16, v0
	v_xor_b32_e32 v52, 8, v0
	;; [unrolled: 1-line block ×5, first 2 shown]
	s_cbranch_execnz .LBB52_77
.LBB52_80:
	v_lshl_add_u32 v59, v143, 2, v1
	s_ashr_i32 s15, s14, 31
	s_ashr_i32 s5, s4, 31
	s_mov_b32 s40, 0
	s_wait_alu 0xfffe
	s_mul_u64 s[30:31], s[14:15], s[4:5]
	v_mul_lo_u32 v0, s4, v59
	s_mov_b32 s41, s40
	s_mov_b32 s42, s40
	v_and_b32_e32 v3, 28, v107
	s_sub_co_i32 s9, s2, s14
	s_wait_alu 0xfffe
	s_lshl_b64 s[2:3], s[30:31], 2
	v_mov_b32_e32 v63, 0
	s_add_nc_u64 s[6:7], s[6:7], s[2:3]
	v_ashrrev_i32_e32 v1, 31, v0
	s_lshl_b32 s2, s4, 4
	s_delay_alu instid0(SALU_CYCLE_1) | instskip(SKIP_1) | instid1(VALU_DEP_3)
	v_dual_mov_b32 v5, s40 :: v_dual_add_nc_u32 v8, s2, v0
	v_mov_b32_e32 v6, s41
	v_lshlrev_b64_e32 v[1:2], 2, v[0:1]
	v_lshlrev_b32_e32 v58, 2, v3
	v_cmp_gt_i32_e64 s5, s9, v59
	s_mov_b64 s[26:27], src_private_base
	v_dual_mov_b32 v7, s42 :: v_dual_add_nc_u32 v60, 16, v59
	v_add_co_u32 v1, vcc_lo, s6, v1
	s_wait_alu 0xfffd
	v_add_co_ci_u32_e64 v2, null, s7, v2, vcc_lo
	s_clause 0x1
	scratch_store_b32 off, v63, off
	scratch_store_b96 off, v[5:7], off offset:4
	v_add_co_u32 v1, vcc_lo, v1, v58
	s_wait_alu 0xfffd
	v_add_co_ci_u32_e64 v2, null, 0, v2, vcc_lo
	v_ashrrev_i32_e32 v9, 31, v8
	s_wait_alu 0xf1ff
	v_cndmask_b32_e64 v1, 0, v1, s5
	v_cmp_gt_i32_e64 s4, s9, v60
	s_wait_alu 0xfffe
	v_cndmask_b32_e64 v2, s27, v2, s5
	v_mov_b32_e32 v157, 0
	v_lshlrev_b64_e32 v[9:10], 2, v[8:9]
	v_add_nc_u32_e32 v8, s2, v8
	v_dual_mov_b32 v32, 0 :: v_dual_add_nc_u32 v61, 32, v59
	flat_load_b128 v[1:4], v[1:2]
	s_clause 0x1
	scratch_store_b32 off, v63, off
	scratch_store_b96 off, v[5:7], off offset:4
	v_add_co_u32 v0, vcc_lo, s6, v9
	s_wait_alu 0xfffd
	v_add_co_ci_u32_e64 v9, null, s7, v10, vcc_lo
	v_cmp_gt_i32_e64 s3, s9, v61
	s_delay_alu instid0(VALU_DEP_3) | instskip(SKIP_1) | instid1(VALU_DEP_3)
	v_add_co_u32 v11, vcc_lo, v0, v58
	s_wait_alu 0xfffd
	v_add_co_ci_u32_e64 v9, null, 0, v9, vcc_lo
	v_mad_u32_u24 v0, 0x90, v59, v58
	v_dual_mov_b32 v153, 0 :: v_dual_add_nc_u32 v62, 48, v59
	s_wait_alu 0xf1ff
	s_delay_alu instid0(VALU_DEP_3)
	v_cndmask_b32_e64 v10, s27, v9, s4
	v_cndmask_b32_e64 v9, 0, v11, s4
	v_dual_mov_b32 v151, 0 :: v_dual_mov_b32 v148, 0
	v_dual_mov_b32 v149, 0 :: v_dual_mov_b32 v70, 0
	;; [unrolled: 1-line block ×12, first 2 shown]
	v_mov_b32_e32 v150, 0
	v_mov_b32_e32 v146, 0
	;; [unrolled: 1-line block ×3, first 2 shown]
	s_cmp_lg_u64 s[38:39], 0
	v_mov_b32_e32 v155, 0
	s_wait_loadcnt_dscnt 0x0
	ds_store_b128 v0, v[1:4]
	flat_load_b128 v[1:4], v[9:10]
	v_ashrrev_i32_e32 v9, 31, v8
	s_clause 0x1
	scratch_store_b32 off, v63, off
	scratch_store_b96 off, v[5:7], off offset:4
	v_lshlrev_b64_e32 v[9:10], 2, v[8:9]
	v_add_nc_u32_e32 v8, s2, v8
	v_cmp_gt_i32_e64 s2, s9, v62
	s_delay_alu instid0(VALU_DEP_3) | instskip(SKIP_1) | instid1(VALU_DEP_4)
	v_add_co_u32 v9, vcc_lo, s6, v9
	s_wait_alu 0xfffd
	v_add_co_ci_u32_e64 v10, null, s7, v10, vcc_lo
	s_delay_alu instid0(VALU_DEP_2) | instskip(SKIP_1) | instid1(VALU_DEP_2)
	v_add_co_u32 v9, vcc_lo, v9, v58
	s_wait_alu 0xfffd
	v_add_co_ci_u32_e64 v10, null, 0, v10, vcc_lo
	s_delay_alu instid0(VALU_DEP_2) | instskip(NEXT) | instid1(VALU_DEP_2)
	v_cndmask_b32_e64 v9, 0, v9, s3
	v_cndmask_b32_e64 v10, s27, v10, s3
	s_wait_loadcnt_dscnt 0x0
	ds_store_b128 v0, v[1:4] offset:2304
	flat_load_b128 v[1:4], v[9:10]
	v_ashrrev_i32_e32 v9, 31, v8
	s_clause 0x1
	scratch_store_b32 off, v63, off
	scratch_store_b96 off, v[5:7], off offset:4
	v_lshlrev_b64_e32 v[8:9], 2, v[8:9]
	s_delay_alu instid0(VALU_DEP_1) | instskip(SKIP_1) | instid1(VALU_DEP_2)
	v_add_co_u32 v8, vcc_lo, s6, v8
	s_wait_alu 0xfffd
	v_add_co_ci_u32_e64 v9, null, s7, v9, vcc_lo
	s_cselect_b32 s7, -1, 0
	v_add_co_u32 v8, vcc_lo, v8, v58
	s_wait_alu 0xfffd
	v_add_co_ci_u32_e64 v9, null, 0, v9, vcc_lo
	v_cmp_gt_i32_e64 s6, s9, v100
	s_wait_alu 0xf1ff
	v_cndmask_b32_e64 v8, 0, v8, s2
	s_delay_alu instid0(VALU_DEP_3)
	v_cndmask_b32_e64 v9, s27, v9, s2
	s_wait_loadcnt_dscnt 0x0
	ds_store_b128 v0, v[1:4] offset:4608
	flat_load_b128 v[1:4], v[8:9]
	s_wait_loadcnt_dscnt 0x0
	ds_store_b128 v0, v[1:4] offset:6912
	s_wait_storecnt_dscnt 0x0
	s_barrier_signal -1
	s_barrier_wait -1
	global_inv scope:SCOPE_SE
	ds_load_b128 v[0:3], v126
	ds_load_b128 v[4:7], v106 offset:17408
	ds_load_b128 v[8:11], v106 offset:17536
	;; [unrolled: 1-line block ×17, first 2 shown]
	s_wait_dscnt 0x10
	;;#ASMSTART
	v_dot2_f32_f16 v32, v0, v4, v32
	;;#ASMEND
	;;#ASMSTART
	v_dot2_f32_f16 v32, v1, v5, v32
	;;#ASMEND
	;;#ASMSTART
	v_dot2_f32_f16 v32, v2, v6, v32
	;;#ASMEND
	;;#ASMSTART
	v_dot2_f32_f16 v32, v3, v7, v32
	;;#ASMEND
	s_wait_dscnt 0xf
	;;#ASMSTART
	v_dot2_f32_f16 v157, v0, v8, v157
	;;#ASMEND
	;;#ASMSTART
	v_dot2_f32_f16 v157, v1, v9, v157
	;;#ASMEND
	;;#ASMSTART
	v_dot2_f32_f16 v157, v2, v10, v157
	;;#ASMEND
	;;#ASMSTART
	v_dot2_f32_f16 v157, v3, v11, v157
	;;#ASMEND
	;; [unrolled: 13-line block ×16, first 2 shown]
	;;#ASMSTART
	v_dot2_f32_f16 v164, v12, v4, v164
	;;#ASMEND
	;;#ASMSTART
	v_dot2_f32_f16 v164, v13, v5, v164
	;;#ASMEND
	;; [unrolled: 3-line block ×64, first 2 shown]
	ds_load_b128 v[4:7], v126 offset:16
	ds_load_b128 v[8:11], v106 offset:17424
	;; [unrolled: 1-line block ×18, first 2 shown]
	s_wait_dscnt 0x10
	;;#ASMSTART
	v_dot2_f32_f16 v32, v4, v8, v32
	;;#ASMEND
	;;#ASMSTART
	v_dot2_f32_f16 v32, v5, v9, v32
	;;#ASMEND
	;;#ASMSTART
	v_dot2_f32_f16 v32, v6, v10, v32
	;;#ASMEND
	;;#ASMSTART
	v_dot2_f32_f16 v32, v7, v11, v32
	;;#ASMEND
	s_wait_dscnt 0xf
	;;#ASMSTART
	v_dot2_f32_f16 v157, v4, v12, v157
	;;#ASMEND
	;;#ASMSTART
	v_dot2_f32_f16 v157, v5, v13, v157
	;;#ASMEND
	;;#ASMSTART
	v_dot2_f32_f16 v157, v6, v14, v157
	;;#ASMEND
	;;#ASMSTART
	v_dot2_f32_f16 v157, v7, v15, v157
	;;#ASMEND
	;; [unrolled: 13-line block ×16, first 2 shown]
	;;#ASMSTART
	v_dot2_f32_f16 v164, v0, v8, v164
	;;#ASMEND
	;;#ASMSTART
	v_dot2_f32_f16 v164, v1, v9, v164
	;;#ASMEND
	;; [unrolled: 3-line block ×64, first 2 shown]
	ds_load_b128 v[4:7], v126 offset:32
	ds_load_b128 v[8:11], v106 offset:17440
	;; [unrolled: 1-line block ×18, first 2 shown]
	s_wait_dscnt 0x10
	;;#ASMSTART
	v_dot2_f32_f16 v32, v4, v8, v32
	;;#ASMEND
	;;#ASMSTART
	v_dot2_f32_f16 v32, v5, v9, v32
	;;#ASMEND
	;;#ASMSTART
	v_dot2_f32_f16 v32, v6, v10, v32
	;;#ASMEND
	;;#ASMSTART
	v_dot2_f32_f16 v32, v7, v11, v32
	;;#ASMEND
	s_wait_dscnt 0xf
	;;#ASMSTART
	v_dot2_f32_f16 v157, v4, v12, v157
	;;#ASMEND
	;;#ASMSTART
	v_dot2_f32_f16 v157, v5, v13, v157
	;;#ASMEND
	;;#ASMSTART
	v_dot2_f32_f16 v157, v6, v14, v157
	;;#ASMEND
	;;#ASMSTART
	v_dot2_f32_f16 v157, v7, v15, v157
	;;#ASMEND
	;; [unrolled: 13-line block ×16, first 2 shown]
	;;#ASMSTART
	v_dot2_f32_f16 v164, v0, v8, v164
	;;#ASMEND
	;;#ASMSTART
	v_dot2_f32_f16 v164, v1, v9, v164
	;;#ASMEND
	;; [unrolled: 3-line block ×64, first 2 shown]
	ds_load_b128 v[4:7], v126 offset:48
	ds_load_b128 v[8:11], v106 offset:17456
	;; [unrolled: 1-line block ×18, first 2 shown]
	s_wait_dscnt 0x10
	;;#ASMSTART
	v_dot2_f32_f16 v32, v4, v8, v32
	;;#ASMEND
	;;#ASMSTART
	v_dot2_f32_f16 v32, v5, v9, v32
	;;#ASMEND
	;;#ASMSTART
	v_dot2_f32_f16 v32, v6, v10, v32
	;;#ASMEND
	;;#ASMSTART
	v_dot2_f32_f16 v32, v7, v11, v32
	;;#ASMEND
	s_wait_dscnt 0xf
	;;#ASMSTART
	v_dot2_f32_f16 v157, v4, v12, v157
	;;#ASMEND
	;;#ASMSTART
	v_dot2_f32_f16 v157, v5, v13, v157
	;;#ASMEND
	;;#ASMSTART
	v_dot2_f32_f16 v157, v6, v14, v157
	;;#ASMEND
	;;#ASMSTART
	v_dot2_f32_f16 v157, v7, v15, v157
	;;#ASMEND
	;; [unrolled: 13-line block ×16, first 2 shown]
	;;#ASMSTART
	v_dot2_f32_f16 v164, v0, v8, v164
	;;#ASMEND
	;;#ASMSTART
	v_dot2_f32_f16 v164, v1, v9, v164
	;;#ASMEND
	;; [unrolled: 3-line block ×64, first 2 shown]
	ds_load_b128 v[4:7], v126 offset:64
	ds_load_b128 v[8:11], v106 offset:17472
	;; [unrolled: 1-line block ×18, first 2 shown]
	s_wait_dscnt 0x10
	;;#ASMSTART
	v_dot2_f32_f16 v32, v4, v8, v32
	;;#ASMEND
	;;#ASMSTART
	v_dot2_f32_f16 v32, v5, v9, v32
	;;#ASMEND
	;;#ASMSTART
	v_dot2_f32_f16 v32, v6, v10, v32
	;;#ASMEND
	;;#ASMSTART
	v_dot2_f32_f16 v32, v7, v11, v32
	;;#ASMEND
	s_wait_dscnt 0xf
	;;#ASMSTART
	v_dot2_f32_f16 v157, v4, v12, v157
	;;#ASMEND
	;;#ASMSTART
	v_dot2_f32_f16 v157, v5, v13, v157
	;;#ASMEND
	;;#ASMSTART
	v_dot2_f32_f16 v157, v6, v14, v157
	;;#ASMEND
	;;#ASMSTART
	v_dot2_f32_f16 v157, v7, v15, v157
	;;#ASMEND
	;; [unrolled: 13-line block ×16, first 2 shown]
	;;#ASMSTART
	v_dot2_f32_f16 v164, v0, v8, v164
	;;#ASMEND
	;;#ASMSTART
	v_dot2_f32_f16 v164, v1, v9, v164
	;;#ASMEND
	;; [unrolled: 3-line block ×64, first 2 shown]
	ds_load_b128 v[49:52], v126 offset:80
	ds_load_b128 v[53:56], v106 offset:17488
	;; [unrolled: 1-line block ×18, first 2 shown]
	s_wait_dscnt 0x10
	;;#ASMSTART
	v_dot2_f32_f16 v32, v49, v53, v32
	;;#ASMEND
	;;#ASMSTART
	v_dot2_f32_f16 v32, v50, v54, v32
	;;#ASMEND
	;;#ASMSTART
	v_dot2_f32_f16 v32, v51, v55, v32
	;;#ASMEND
	;;#ASMSTART
	v_dot2_f32_f16 v32, v52, v56, v32
	;;#ASMEND
	s_wait_dscnt 0xf
	;;#ASMSTART
	v_dot2_f32_f16 v157, v49, v72, v157
	;;#ASMEND
	;;#ASMSTART
	v_dot2_f32_f16 v157, v50, v73, v157
	;;#ASMEND
	;;#ASMSTART
	v_dot2_f32_f16 v157, v51, v74, v157
	;;#ASMEND
	;;#ASMSTART
	v_dot2_f32_f16 v157, v52, v75, v157
	;;#ASMEND
	;; [unrolled: 13-line block ×16, first 2 shown]
	;;#ASMSTART
	v_dot2_f32_f16 v164, v76, v53, v164
	;;#ASMEND
	;;#ASMSTART
	v_dot2_f32_f16 v164, v77, v54, v164
	;;#ASMEND
	;; [unrolled: 3-line block ×64, first 2 shown]
	ds_load_b128 v[51:54], v126 offset:96
	ds_load_b128 v[72:75], v106 offset:17504
	;; [unrolled: 1-line block ×18, first 2 shown]
	s_wait_dscnt 0x10
	;;#ASMSTART
	v_dot2_f32_f16 v32, v51, v72, v32
	;;#ASMEND
	;;#ASMSTART
	v_dot2_f32_f16 v32, v52, v73, v32
	;;#ASMEND
	;;#ASMSTART
	v_dot2_f32_f16 v32, v53, v74, v32
	;;#ASMEND
	;;#ASMSTART
	v_dot2_f32_f16 v32, v54, v75, v32
	;;#ASMEND
	s_wait_dscnt 0xf
	;;#ASMSTART
	v_dot2_f32_f16 v157, v51, v76, v157
	;;#ASMEND
	;;#ASMSTART
	v_dot2_f32_f16 v157, v52, v77, v157
	;;#ASMEND
	;;#ASMSTART
	v_dot2_f32_f16 v157, v53, v78, v157
	;;#ASMEND
	;;#ASMSTART
	v_dot2_f32_f16 v157, v54, v79, v157
	;;#ASMEND
	;; [unrolled: 13-line block ×16, first 2 shown]
	;;#ASMSTART
	v_dot2_f32_f16 v164, v80, v72, v164
	;;#ASMEND
	;;#ASMSTART
	v_dot2_f32_f16 v164, v81, v73, v164
	;;#ASMEND
	;; [unrolled: 3-line block ×62, first 2 shown]
	v_mad_co_u64_u32 v[49:50], null, v123, s28, s[14:15]
	;;#ASMSTART
	v_dot2_f32_f16 v63, v82, v197, v63
	;;#ASMEND
	;;#ASMSTART
	v_dot2_f32_f16 v63, v83, v198, v63
	;;#ASMEND
	ds_load_b128 v[50:53], v126 offset:112
	ds_load_b128 v[72:75], v106 offset:17520
	;; [unrolled: 1-line block ×18, first 2 shown]
	s_wait_dscnt 0x10
	;;#ASMSTART
	v_dot2_f32_f16 v32, v50, v72, v32
	;;#ASMEND
	;;#ASMSTART
	v_dot2_f32_f16 v32, v51, v73, v32
	;;#ASMEND
	;;#ASMSTART
	v_dot2_f32_f16 v32, v52, v74, v32
	;;#ASMEND
	;;#ASMSTART
	v_dot2_f32_f16 v32, v53, v75, v32
	;;#ASMEND
	s_wait_dscnt 0xf
	;;#ASMSTART
	v_dot2_f32_f16 v157, v50, v76, v157
	;;#ASMEND
	;;#ASMSTART
	v_dot2_f32_f16 v157, v51, v77, v157
	;;#ASMEND
	;;#ASMSTART
	v_dot2_f32_f16 v157, v52, v78, v157
	;;#ASMEND
	;;#ASMSTART
	v_dot2_f32_f16 v157, v53, v79, v157
	;;#ASMEND
	;; [unrolled: 13-line block ×16, first 2 shown]
	;;#ASMSTART
	v_dot2_f32_f16 v164, v80, v72, v164
	;;#ASMEND
	;;#ASMSTART
	v_dot2_f32_f16 v164, v81, v73, v164
	;;#ASMEND
	;; [unrolled: 3-line block ×55, first 2 shown]
	v_dual_mov_b32 v0, v16 :: v_dual_mov_b32 v9, v25
	;;#ASMSTART
	v_dot2_f32_f16 v144, v83, v190, v144
	;;#ASMEND
	;;#ASMSTART
	v_dot2_f32_f16 v71, v80, v191, v71
	;;#ASMEND
	v_dual_mov_b32 v166, 0 :: v_dual_mov_b32 v7, v23
	v_dual_mov_b32 v1, v17 :: v_dual_mov_b32 v2, v18
	v_mov_b32_e32 v11, v27
	v_dual_mov_b32 v3, v19 :: v_dual_mov_b32 v4, v20
	v_mov_b32_e32 v13, v29
	v_dual_mov_b32 v5, v21 :: v_dual_mov_b32 v6, v22
	v_dual_mov_b32 v15, v31 :: v_dual_mov_b32 v8, v24
	v_mov_b32_e32 v10, v26
	v_mov_b32_e32 v12, v28
	;; [unrolled: 1-line block ×3, first 2 shown]
	s_wait_alu 0xfffe
	v_cndmask_b32_e64 v165, 0, 1, s7
	;;#ASMSTART
	v_dot2_f32_f16 v71, v81, v192, v71
	;;#ASMEND
	;;#ASMSTART
	v_dot2_f32_f16 v71, v82, v193, v71
	;;#ASMEND
	;; [unrolled: 3-line block ×7, first 2 shown]
	s_and_saveexec_b32 s11, s6
	s_cbranch_execz .LBB52_84
; %bb.81:
	s_and_not1_b32 vcc_lo, exec_lo, s7
	s_wait_alu 0xfffe
	s_cbranch_vccnz .LBB52_83
; %bb.82:
	v_add_nc_u32_e32 v0, v49, v100
	s_delay_alu instid0(VALU_DEP_1) | instskip(NEXT) | instid1(VALU_DEP_1)
	v_ashrrev_i32_e32 v1, 31, v0
	v_lshlrev_b64_e32 v[0:1], 1, v[0:1]
	s_delay_alu instid0(VALU_DEP_1) | instskip(SKIP_1) | instid1(VALU_DEP_2)
	v_add_co_u32 v0, vcc_lo, s38, v0
	s_wait_alu 0xfffd
	v_add_co_ci_u32_e64 v1, null, s39, v1, vcc_lo
	global_load_u16 v0, v[0:1], off
	s_wait_loadcnt 0x0
	v_cvt_f32_f16_e32 v0, v0
	s_delay_alu instid0(VALU_DEP_1)
	v_mul_f32_e32 v166, v108, v0
.LBB52_83:
	s_delay_alu instid0(VALU_DEP_1) | instskip(SKIP_1) | instid1(VALU_DEP_2)
	v_add_f32_e32 v32, v32, v166
	v_max_num_f32_e32 v1, v16, v16
	v_add_f32_e32 v0, 0x40051340, v32
	s_delay_alu instid0(VALU_DEP_1)
	v_max_num_f32_e32 v50, v1, v0
	v_dual_mov_b32 v0, v16 :: v_dual_mov_b32 v5, v21
	v_dual_mov_b32 v1, v17 :: v_dual_mov_b32 v2, v18
	;; [unrolled: 1-line block ×4, first 2 shown]
	v_mov_b32_e32 v11, v27
	v_dual_mov_b32 v7, v23 :: v_dual_mov_b32 v8, v24
	v_dual_mov_b32 v13, v29 :: v_dual_mov_b32 v10, v26
	;; [unrolled: 1-line block ×3, first 2 shown]
	v_mov_b32_e32 v14, v30
	v_mov_b32_e32 v0, v50
.LBB52_84:
	s_wait_alu 0xfffe
	s_or_b32 exec_lo, exec_lo, s11
	v_add_nc_u32_e32 v123, 32, v100
	s_delay_alu instid0(VALU_DEP_1)
	v_cmp_gt_i32_e64 s7, s9, v123
	s_and_saveexec_b32 s11, s7
	s_cbranch_execz .LBB52_89
; %bb.85:
	v_cmp_ne_u32_e32 vcc_lo, 1, v165
	s_cbranch_vccnz .LBB52_87
; %bb.86:
	v_ashrrev_i32_e32 v50, 31, v49
	v_add_co_u32 v49, vcc_lo, v49, v100
	s_wait_alu 0xfffd
	s_delay_alu instid0(VALU_DEP_2) | instskip(NEXT) | instid1(VALU_DEP_1)
	v_add_co_ci_u32_e64 v50, null, 0, v50, vcc_lo
	v_lshlrev_b64_e32 v[49:50], 1, v[49:50]
	s_delay_alu instid0(VALU_DEP_1) | instskip(SKIP_1) | instid1(VALU_DEP_2)
	v_add_co_u32 v49, vcc_lo, s38, v49
	s_wait_alu 0xfffd
	v_add_co_ci_u32_e64 v50, null, s39, v50, vcc_lo
	global_load_u16 v49, v[49:50], off offset:64
	s_wait_loadcnt 0x0
	v_cvt_f32_f16_e32 v49, v49
	s_delay_alu instid0(VALU_DEP_1)
	v_mul_f32_e32 v49, v108, v49
	s_branch .LBB52_88
.LBB52_87:
	v_mov_b32_e32 v49, 0
.LBB52_88:
	s_delay_alu instid0(VALU_DEP_1) | instskip(SKIP_1) | instid1(VALU_DEP_2)
	v_add_f32_e32 v164, v164, v49
	v_max_num_f32_e32 v0, v0, v0
	v_add_f32_e32 v49, 0x40051340, v164
	s_delay_alu instid0(VALU_DEP_1)
	v_max_num_f32_e32 v0, v0, v49
.LBB52_89:
	s_wait_alu 0xfffe
	s_or_b32 exec_lo, exec_lo, s11
	v_xor_b32_e32 v51, 16, v105
	v_xor_b32_e32 v52, 8, v105
	;; [unrolled: 1-line block ×5, first 2 shown]
	v_cmp_gt_i32_e32 vcc_lo, 32, v51
	v_mul_hi_u32 v56, s20, v125
	s_wait_alu 0xfffd
	v_cndmask_b32_e32 v49, v105, v51, vcc_lo
	v_cmp_gt_i32_e32 vcc_lo, 32, v52
	s_delay_alu instid0(VALU_DEP_2)
	v_lshlrev_b32_e32 v126, 2, v49
	s_wait_alu 0xfffd
	v_cndmask_b32_e32 v50, v105, v52, vcc_lo
	v_cmp_gt_i32_e32 vcc_lo, 32, v54
	ds_bpermute_b32 v49, v126, v0
	v_max_num_f32_e32 v0, v0, v0
	v_lshlrev_b32_e32 v166, 2, v50
	s_wait_alu 0xfffd
	v_cndmask_b32_e32 v50, v105, v54, vcc_lo
	v_cmp_gt_i32_e32 vcc_lo, 32, v55
	s_wait_alu 0xfffd
	s_delay_alu instid0(VALU_DEP_2) | instskip(SKIP_1) | instid1(VALU_DEP_2)
	v_dual_cndmask_b32 v50, v105, v55 :: v_dual_lshlrev_b32 v167, 2, v50
	v_cmp_gt_i32_e32 vcc_lo, 32, v53
	v_lshlrev_b32_e32 v168, 2, v50
	s_wait_alu 0xfffd
	v_cndmask_b32_e32 v50, v105, v53, vcc_lo
	s_wait_dscnt 0x0
	v_max_num_f32_e32 v49, v49, v49
	s_delay_alu instid0(VALU_DEP_1) | instskip(SKIP_3) | instid1(VALU_DEP_1)
	v_dual_max_num_f32 v0, v0, v49 :: v_dual_lshlrev_b32 v169, 2, v50
	ds_bpermute_b32 v49, v166, v0
	s_wait_dscnt 0x0
	v_max_num_f32_e32 v49, v49, v49
	v_max_num_f32_e32 v0, v0, v49
	ds_bpermute_b32 v49, v167, v0
	s_wait_dscnt 0x0
	v_max_num_f32_e32 v49, v49, v49
	s_delay_alu instid0(VALU_DEP_1) | instskip(SKIP_3) | instid1(VALU_DEP_1)
	v_max_num_f32_e32 v0, v0, v49
	ds_bpermute_b32 v49, v168, v0
	s_wait_dscnt 0x0
	v_max_num_f32_e32 v49, v49, v49
	v_dual_max_num_f32 v0, v0, v49 :: v_dual_add_nc_u32 v49, v125, v56
	v_mov_b32_e32 v56, 32
	ds_bpermute_b32 v50, v169, v0
	v_lshrrev_b32_e32 v49, s21, v49
	s_delay_alu instid0(VALU_DEP_1) | instskip(NEXT) | instid1(VALU_DEP_1)
	v_mul_lo_u32 v49, v49, s22
	v_sub_nc_u32_e32 v49, v125, v49
	s_wait_dscnt 0x0
	v_max_num_f32_e32 v72, v50, v50
	s_delay_alu instid0(VALU_DEP_2) | instskip(NEXT) | instid1(VALU_DEP_2)
	v_mad_co_u64_u32 v[49:50], null, v49, s28, s[14:15]
	v_max_num_f32_e32 v0, v0, v72
	s_and_saveexec_b32 s11, s6
	s_cbranch_execz .LBB52_94
; %bb.90:
	v_cmp_ne_u32_e32 vcc_lo, 1, v165
	s_cbranch_vccnz .LBB52_92
; %bb.91:
	s_delay_alu instid0(VALU_DEP_3) | instskip(NEXT) | instid1(VALU_DEP_1)
	v_add_nc_u32_e32 v72, v49, v100
	v_ashrrev_i32_e32 v73, 31, v72
	s_delay_alu instid0(VALU_DEP_1) | instskip(NEXT) | instid1(VALU_DEP_1)
	v_lshlrev_b64_e32 v[72:73], 1, v[72:73]
	v_add_co_u32 v72, vcc_lo, s38, v72
	s_wait_alu 0xfffd
	s_delay_alu instid0(VALU_DEP_2) | instskip(SKIP_3) | instid1(VALU_DEP_1)
	v_add_co_ci_u32_e64 v73, null, s39, v73, vcc_lo
	global_load_u16 v50, v[72:73], off
	s_wait_loadcnt 0x0
	v_cvt_f32_f16_e32 v50, v50
	v_mul_f32_e32 v50, v108, v50
	s_branch .LBB52_93
.LBB52_92:
	v_mov_b32_e32 v50, 0
.LBB52_93:
	s_delay_alu instid0(VALU_DEP_1) | instskip(SKIP_1) | instid1(VALU_DEP_2)
	v_add_f32_e32 v157, v157, v50
	v_max_num_f32_e32 v1, v1, v1
	v_add_f32_e32 v50, 0x40051340, v157
	s_delay_alu instid0(VALU_DEP_1)
	v_max_num_f32_e32 v1, v1, v50
.LBB52_94:
	s_wait_alu 0xfffe
	s_or_b32 exec_lo, exec_lo, s11
	s_and_saveexec_b32 s11, s7
	s_cbranch_execz .LBB52_99
; %bb.95:
	v_cmp_ne_u32_e32 vcc_lo, 1, v165
	s_cbranch_vccnz .LBB52_97
; %bb.96:
	v_ashrrev_i32_e32 v50, 31, v49
	v_add_co_u32 v49, vcc_lo, v49, v100
	s_wait_alu 0xfffd
	s_delay_alu instid0(VALU_DEP_2) | instskip(NEXT) | instid1(VALU_DEP_1)
	v_add_co_ci_u32_e64 v50, null, 0, v50, vcc_lo
	v_lshlrev_b64_e32 v[49:50], 1, v[49:50]
	s_delay_alu instid0(VALU_DEP_1) | instskip(SKIP_1) | instid1(VALU_DEP_2)
	v_add_co_u32 v49, vcc_lo, s38, v49
	s_wait_alu 0xfffd
	v_add_co_ci_u32_e64 v50, null, s39, v50, vcc_lo
	global_load_u16 v49, v[49:50], off offset:64
	s_wait_loadcnt 0x0
	v_cvt_f32_f16_e32 v49, v49
	s_delay_alu instid0(VALU_DEP_1)
	v_mul_f32_e32 v49, v108, v49
	s_branch .LBB52_98
.LBB52_97:
	v_mov_b32_e32 v49, 0
.LBB52_98:
	s_delay_alu instid0(VALU_DEP_1) | instskip(SKIP_1) | instid1(VALU_DEP_2)
	v_add_f32_e32 v163, v163, v49
	v_max_num_f32_e32 v1, v1, v1
	v_add_f32_e32 v49, 0x40051340, v163
	s_delay_alu instid0(VALU_DEP_1)
	v_max_num_f32_e32 v1, v1, v49
.LBB52_99:
	s_wait_alu 0xfffe
	s_or_b32 exec_lo, exec_lo, s11
	ds_bpermute_b32 v49, v126, v1
	v_max_num_f32_e32 v1, v1, v1
	v_mul_hi_u32 v50, s20, v124
	s_wait_dscnt 0x0
	v_max_num_f32_e32 v49, v49, v49
	s_delay_alu instid0(VALU_DEP_1) | instskip(SKIP_3) | instid1(VALU_DEP_1)
	v_max_num_f32_e32 v1, v1, v49
	ds_bpermute_b32 v49, v166, v1
	s_wait_dscnt 0x0
	v_max_num_f32_e32 v49, v49, v49
	v_max_num_f32_e32 v1, v1, v49
	ds_bpermute_b32 v49, v167, v1
	s_wait_dscnt 0x0
	v_max_num_f32_e32 v49, v49, v49
	s_delay_alu instid0(VALU_DEP_1) | instskip(SKIP_3) | instid1(VALU_DEP_1)
	v_max_num_f32_e32 v1, v1, v49
	ds_bpermute_b32 v49, v168, v1
	s_wait_dscnt 0x0
	v_max_num_f32_e32 v49, v49, v49
	v_max_num_f32_e32 v1, v1, v49
	v_add_nc_u32_e32 v49, v124, v50
	ds_bpermute_b32 v50, v169, v1
	v_lshrrev_b32_e32 v49, s21, v49
	s_delay_alu instid0(VALU_DEP_1) | instskip(NEXT) | instid1(VALU_DEP_1)
	v_mul_lo_u32 v49, v49, s22
	v_sub_nc_u32_e32 v49, v124, v49
	s_wait_dscnt 0x0
	v_max_num_f32_e32 v72, v50, v50
	s_delay_alu instid0(VALU_DEP_2) | instskip(NEXT) | instid1(VALU_DEP_2)
	v_mad_co_u64_u32 v[49:50], null, v49, s28, s[14:15]
	v_max_num_f32_e32 v1, v1, v72
	s_and_saveexec_b32 s11, s6
	s_cbranch_execz .LBB52_104
; %bb.100:
	v_cmp_ne_u32_e32 vcc_lo, 1, v165
	s_cbranch_vccnz .LBB52_102
; %bb.101:
	s_delay_alu instid0(VALU_DEP_3) | instskip(NEXT) | instid1(VALU_DEP_1)
	v_add_nc_u32_e32 v72, v49, v100
	v_ashrrev_i32_e32 v73, 31, v72
	s_delay_alu instid0(VALU_DEP_1) | instskip(NEXT) | instid1(VALU_DEP_1)
	v_lshlrev_b64_e32 v[72:73], 1, v[72:73]
	v_add_co_u32 v72, vcc_lo, s38, v72
	s_wait_alu 0xfffd
	s_delay_alu instid0(VALU_DEP_2) | instskip(SKIP_3) | instid1(VALU_DEP_1)
	v_add_co_ci_u32_e64 v73, null, s39, v73, vcc_lo
	global_load_u16 v50, v[72:73], off
	s_wait_loadcnt 0x0
	v_cvt_f32_f16_e32 v50, v50
	v_mul_f32_e32 v50, v108, v50
	s_branch .LBB52_103
.LBB52_102:
	v_mov_b32_e32 v50, 0
.LBB52_103:
	s_delay_alu instid0(VALU_DEP_1) | instskip(SKIP_1) | instid1(VALU_DEP_2)
	v_add_f32_e32 v155, v155, v50
	v_max_num_f32_e32 v2, v2, v2
	v_add_f32_e32 v50, 0x40051340, v155
	s_delay_alu instid0(VALU_DEP_1)
	v_max_num_f32_e32 v2, v2, v50
.LBB52_104:
	s_wait_alu 0xfffe
	s_or_b32 exec_lo, exec_lo, s11
	s_and_saveexec_b32 s11, s7
	s_cbranch_execz .LBB52_109
; %bb.105:
	v_cmp_ne_u32_e32 vcc_lo, 1, v165
	s_cbranch_vccnz .LBB52_107
; %bb.106:
	v_ashrrev_i32_e32 v50, 31, v49
	v_add_co_u32 v49, vcc_lo, v49, v100
	s_wait_alu 0xfffd
	s_delay_alu instid0(VALU_DEP_2) | instskip(NEXT) | instid1(VALU_DEP_1)
	v_add_co_ci_u32_e64 v50, null, 0, v50, vcc_lo
	v_lshlrev_b64_e32 v[49:50], 1, v[49:50]
	s_delay_alu instid0(VALU_DEP_1) | instskip(SKIP_1) | instid1(VALU_DEP_2)
	v_add_co_u32 v49, vcc_lo, s38, v49
	s_wait_alu 0xfffd
	v_add_co_ci_u32_e64 v50, null, s39, v50, vcc_lo
	global_load_u16 v49, v[49:50], off offset:64
	s_wait_loadcnt 0x0
	v_cvt_f32_f16_e32 v49, v49
	s_delay_alu instid0(VALU_DEP_1)
	v_mul_f32_e32 v49, v108, v49
	s_branch .LBB52_108
.LBB52_107:
	v_mov_b32_e32 v49, 0
.LBB52_108:
	s_delay_alu instid0(VALU_DEP_1) | instskip(SKIP_1) | instid1(VALU_DEP_2)
	v_add_f32_e32 v162, v162, v49
	v_max_num_f32_e32 v2, v2, v2
	v_add_f32_e32 v49, 0x40051340, v162
	s_delay_alu instid0(VALU_DEP_1)
	v_max_num_f32_e32 v2, v2, v49
.LBB52_109:
	s_wait_alu 0xfffe
	s_or_b32 exec_lo, exec_lo, s11
	ds_bpermute_b32 v49, v126, v2
	v_mul_hi_u32 v50, s20, v122
	s_wait_dscnt 0x0
	v_dual_max_num_f32 v2, v2, v2 :: v_dual_max_num_f32 v49, v49, v49
	s_delay_alu instid0(VALU_DEP_1) | instskip(SKIP_3) | instid1(VALU_DEP_1)
	v_max_num_f32_e32 v2, v2, v49
	ds_bpermute_b32 v49, v166, v2
	s_wait_dscnt 0x0
	v_max_num_f32_e32 v49, v49, v49
	v_max_num_f32_e32 v2, v2, v49
	ds_bpermute_b32 v49, v167, v2
	s_wait_dscnt 0x0
	v_max_num_f32_e32 v49, v49, v49
	s_delay_alu instid0(VALU_DEP_1) | instskip(SKIP_3) | instid1(VALU_DEP_1)
	v_max_num_f32_e32 v2, v2, v49
	ds_bpermute_b32 v49, v168, v2
	s_wait_dscnt 0x0
	v_max_num_f32_e32 v49, v49, v49
	v_max_num_f32_e32 v2, v2, v49
	v_add_nc_u32_e32 v49, v122, v50
	ds_bpermute_b32 v50, v169, v2
	v_lshrrev_b32_e32 v49, s21, v49
	s_delay_alu instid0(VALU_DEP_1) | instskip(NEXT) | instid1(VALU_DEP_1)
	v_mul_lo_u32 v49, v49, s22
	v_sub_nc_u32_e32 v49, v122, v49
	s_wait_dscnt 0x0
	v_max_num_f32_e32 v72, v50, v50
	s_delay_alu instid0(VALU_DEP_2) | instskip(NEXT) | instid1(VALU_DEP_2)
	v_mad_co_u64_u32 v[49:50], null, v49, s28, s[14:15]
	v_max_num_f32_e32 v2, v2, v72
	s_and_saveexec_b32 s11, s6
	s_cbranch_execz .LBB52_114
; %bb.110:
	v_cmp_ne_u32_e32 vcc_lo, 1, v165
	s_cbranch_vccnz .LBB52_112
; %bb.111:
	s_delay_alu instid0(VALU_DEP_3) | instskip(NEXT) | instid1(VALU_DEP_1)
	v_add_nc_u32_e32 v72, v49, v100
	v_ashrrev_i32_e32 v73, 31, v72
	s_delay_alu instid0(VALU_DEP_1) | instskip(NEXT) | instid1(VALU_DEP_1)
	v_lshlrev_b64_e32 v[72:73], 1, v[72:73]
	v_add_co_u32 v72, vcc_lo, s38, v72
	s_wait_alu 0xfffd
	s_delay_alu instid0(VALU_DEP_2) | instskip(SKIP_3) | instid1(VALU_DEP_1)
	v_add_co_ci_u32_e64 v73, null, s39, v73, vcc_lo
	global_load_u16 v50, v[72:73], off
	s_wait_loadcnt 0x0
	v_cvt_f32_f16_e32 v50, v50
	v_mul_f32_e32 v50, v108, v50
	s_branch .LBB52_113
.LBB52_112:
	v_mov_b32_e32 v50, 0
.LBB52_113:
	s_delay_alu instid0(VALU_DEP_1) | instskip(NEXT) | instid1(VALU_DEP_1)
	v_add_f32_e32 v153, v153, v50
	v_dual_max_num_f32 v3, v3, v3 :: v_dual_add_f32 v50, 0x40051340, v153
	s_delay_alu instid0(VALU_DEP_1)
	v_max_num_f32_e32 v3, v3, v50
.LBB52_114:
	s_wait_alu 0xfffe
	s_or_b32 exec_lo, exec_lo, s11
	s_and_saveexec_b32 s11, s7
	s_cbranch_execz .LBB52_119
; %bb.115:
	v_cmp_ne_u32_e32 vcc_lo, 1, v165
	s_cbranch_vccnz .LBB52_117
; %bb.116:
	v_ashrrev_i32_e32 v50, 31, v49
	v_add_co_u32 v49, vcc_lo, v49, v100
	s_wait_alu 0xfffd
	s_delay_alu instid0(VALU_DEP_2) | instskip(NEXT) | instid1(VALU_DEP_1)
	v_add_co_ci_u32_e64 v50, null, 0, v50, vcc_lo
	v_lshlrev_b64_e32 v[49:50], 1, v[49:50]
	s_delay_alu instid0(VALU_DEP_1) | instskip(SKIP_1) | instid1(VALU_DEP_2)
	v_add_co_u32 v49, vcc_lo, s38, v49
	s_wait_alu 0xfffd
	v_add_co_ci_u32_e64 v50, null, s39, v50, vcc_lo
	global_load_u16 v49, v[49:50], off offset:64
	s_wait_loadcnt 0x0
	v_cvt_f32_f16_e32 v49, v49
	s_delay_alu instid0(VALU_DEP_1)
	v_mul_f32_e32 v49, v108, v49
	s_branch .LBB52_118
.LBB52_117:
	v_mov_b32_e32 v49, 0
.LBB52_118:
	s_delay_alu instid0(VALU_DEP_1) | instskip(SKIP_1) | instid1(VALU_DEP_2)
	v_add_f32_e32 v161, v161, v49
	v_max_num_f32_e32 v3, v3, v3
	v_add_f32_e32 v49, 0x40051340, v161
	s_delay_alu instid0(VALU_DEP_1)
	v_max_num_f32_e32 v3, v3, v49
.LBB52_119:
	s_wait_alu 0xfffe
	s_or_b32 exec_lo, exec_lo, s11
	ds_bpermute_b32 v49, v126, v3
	v_max_num_f32_e32 v3, v3, v3
	v_mul_hi_u32 v50, s20, v255
	s_wait_dscnt 0x0
	v_max_num_f32_e32 v49, v49, v49
	s_delay_alu instid0(VALU_DEP_1) | instskip(SKIP_3) | instid1(VALU_DEP_1)
	v_max_num_f32_e32 v3, v3, v49
	ds_bpermute_b32 v49, v166, v3
	s_wait_dscnt 0x0
	v_max_num_f32_e32 v49, v49, v49
	v_max_num_f32_e32 v3, v3, v49
	ds_bpermute_b32 v49, v167, v3
	s_wait_dscnt 0x0
	v_max_num_f32_e32 v49, v49, v49
	s_delay_alu instid0(VALU_DEP_1) | instskip(SKIP_3) | instid1(VALU_DEP_1)
	v_max_num_f32_e32 v3, v3, v49
	ds_bpermute_b32 v49, v168, v3
	s_wait_dscnt 0x0
	v_max_num_f32_e32 v49, v49, v49
	v_max_num_f32_e32 v3, v3, v49
	v_add_nc_u32_e32 v49, v255, v50
	ds_bpermute_b32 v50, v169, v3
	v_lshrrev_b32_e32 v49, s21, v49
	s_delay_alu instid0(VALU_DEP_1) | instskip(NEXT) | instid1(VALU_DEP_1)
	v_mul_lo_u32 v49, v49, s22
	v_sub_nc_u32_e32 v49, v255, v49
	s_wait_dscnt 0x0
	v_max_num_f32_e32 v72, v50, v50
	s_delay_alu instid0(VALU_DEP_2) | instskip(NEXT) | instid1(VALU_DEP_2)
	v_mad_co_u64_u32 v[49:50], null, v49, s28, s[14:15]
	v_max_num_f32_e32 v3, v3, v72
	s_and_saveexec_b32 s11, s6
	s_cbranch_execz .LBB52_124
; %bb.120:
	v_cmp_ne_u32_e32 vcc_lo, 1, v165
	s_cbranch_vccnz .LBB52_122
; %bb.121:
	s_delay_alu instid0(VALU_DEP_3) | instskip(NEXT) | instid1(VALU_DEP_1)
	v_add_nc_u32_e32 v72, v49, v100
	v_ashrrev_i32_e32 v73, 31, v72
	s_delay_alu instid0(VALU_DEP_1) | instskip(NEXT) | instid1(VALU_DEP_1)
	v_lshlrev_b64_e32 v[72:73], 1, v[72:73]
	v_add_co_u32 v72, vcc_lo, s38, v72
	s_wait_alu 0xfffd
	s_delay_alu instid0(VALU_DEP_2) | instskip(SKIP_3) | instid1(VALU_DEP_1)
	v_add_co_ci_u32_e64 v73, null, s39, v73, vcc_lo
	global_load_u16 v50, v[72:73], off
	s_wait_loadcnt 0x0
	v_cvt_f32_f16_e32 v50, v50
	v_mul_f32_e32 v50, v108, v50
	s_branch .LBB52_123
.LBB52_122:
	v_mov_b32_e32 v50, 0
.LBB52_123:
	s_delay_alu instid0(VALU_DEP_1) | instskip(NEXT) | instid1(VALU_DEP_1)
	v_dual_add_f32 v151, v151, v50 :: v_dual_max_num_f32 v4, v4, v4
	v_add_f32_e32 v50, 0x40051340, v151
	s_delay_alu instid0(VALU_DEP_1)
	v_max_num_f32_e32 v4, v4, v50
.LBB52_124:
	s_wait_alu 0xfffe
	s_or_b32 exec_lo, exec_lo, s11
	s_and_saveexec_b32 s11, s7
	s_cbranch_execz .LBB52_129
; %bb.125:
	v_cmp_ne_u32_e32 vcc_lo, 1, v165
	s_cbranch_vccnz .LBB52_127
; %bb.126:
	v_ashrrev_i32_e32 v50, 31, v49
	v_add_co_u32 v49, vcc_lo, v49, v100
	s_wait_alu 0xfffd
	s_delay_alu instid0(VALU_DEP_2) | instskip(NEXT) | instid1(VALU_DEP_1)
	v_add_co_ci_u32_e64 v50, null, 0, v50, vcc_lo
	v_lshlrev_b64_e32 v[49:50], 1, v[49:50]
	s_delay_alu instid0(VALU_DEP_1) | instskip(SKIP_1) | instid1(VALU_DEP_2)
	v_add_co_u32 v49, vcc_lo, s38, v49
	s_wait_alu 0xfffd
	v_add_co_ci_u32_e64 v50, null, s39, v50, vcc_lo
	global_load_u16 v49, v[49:50], off offset:64
	s_wait_loadcnt 0x0
	v_cvt_f32_f16_e32 v49, v49
	s_delay_alu instid0(VALU_DEP_1)
	v_mul_f32_e32 v49, v108, v49
	s_branch .LBB52_128
.LBB52_127:
	v_mov_b32_e32 v49, 0
.LBB52_128:
	s_delay_alu instid0(VALU_DEP_1) | instskip(SKIP_1) | instid1(VALU_DEP_2)
	v_add_f32_e32 v160, v160, v49
	v_max_num_f32_e32 v4, v4, v4
	v_add_f32_e32 v49, 0x40051340, v160
	s_delay_alu instid0(VALU_DEP_1)
	v_max_num_f32_e32 v4, v4, v49
.LBB52_129:
	s_wait_alu 0xfffe
	s_or_b32 exec_lo, exec_lo, s11
	ds_bpermute_b32 v49, v126, v4
	v_mul_hi_u32 v50, s20, v97
	s_wait_dscnt 0x0
	v_dual_max_num_f32 v4, v4, v4 :: v_dual_max_num_f32 v49, v49, v49
	s_delay_alu instid0(VALU_DEP_1) | instskip(SKIP_3) | instid1(VALU_DEP_1)
	v_max_num_f32_e32 v4, v4, v49
	ds_bpermute_b32 v49, v166, v4
	s_wait_dscnt 0x0
	v_max_num_f32_e32 v49, v49, v49
	v_max_num_f32_e32 v4, v4, v49
	ds_bpermute_b32 v49, v167, v4
	s_wait_dscnt 0x0
	v_max_num_f32_e32 v49, v49, v49
	s_delay_alu instid0(VALU_DEP_1) | instskip(SKIP_3) | instid1(VALU_DEP_1)
	v_max_num_f32_e32 v4, v4, v49
	ds_bpermute_b32 v49, v168, v4
	s_wait_dscnt 0x0
	v_max_num_f32_e32 v49, v49, v49
	v_dual_max_num_f32 v4, v4, v49 :: v_dual_add_nc_u32 v49, v97, v50
	ds_bpermute_b32 v50, v169, v4
	v_lshrrev_b32_e32 v49, s21, v49
	s_delay_alu instid0(VALU_DEP_1) | instskip(NEXT) | instid1(VALU_DEP_1)
	v_mul_lo_u32 v49, v49, s22
	v_sub_nc_u32_e32 v49, v97, v49
	s_wait_dscnt 0x0
	v_max_num_f32_e32 v72, v50, v50
	s_delay_alu instid0(VALU_DEP_2) | instskip(NEXT) | instid1(VALU_DEP_2)
	v_mad_co_u64_u32 v[49:50], null, v49, s28, s[14:15]
	v_max_num_f32_e32 v4, v4, v72
	s_and_saveexec_b32 s11, s6
	s_cbranch_execz .LBB52_134
; %bb.130:
	v_cmp_ne_u32_e32 vcc_lo, 1, v165
	s_cbranch_vccnz .LBB52_132
; %bb.131:
	s_delay_alu instid0(VALU_DEP_3) | instskip(NEXT) | instid1(VALU_DEP_1)
	v_add_nc_u32_e32 v72, v49, v100
	v_ashrrev_i32_e32 v73, 31, v72
	s_delay_alu instid0(VALU_DEP_1) | instskip(NEXT) | instid1(VALU_DEP_1)
	v_lshlrev_b64_e32 v[72:73], 1, v[72:73]
	v_add_co_u32 v72, vcc_lo, s38, v72
	s_wait_alu 0xfffd
	s_delay_alu instid0(VALU_DEP_2) | instskip(SKIP_3) | instid1(VALU_DEP_1)
	v_add_co_ci_u32_e64 v73, null, s39, v73, vcc_lo
	global_load_u16 v50, v[72:73], off
	s_wait_loadcnt 0x0
	v_cvt_f32_f16_e32 v50, v50
	v_mul_f32_e32 v50, v108, v50
	s_branch .LBB52_133
.LBB52_132:
	v_mov_b32_e32 v50, 0
.LBB52_133:
	s_delay_alu instid0(VALU_DEP_1) | instskip(SKIP_1) | instid1(VALU_DEP_2)
	v_add_f32_e32 v149, v149, v50
	v_max_num_f32_e32 v5, v5, v5
	v_add_f32_e32 v50, 0x40051340, v149
	s_delay_alu instid0(VALU_DEP_1)
	v_max_num_f32_e32 v5, v5, v50
.LBB52_134:
	s_wait_alu 0xfffe
	s_or_b32 exec_lo, exec_lo, s11
	s_and_saveexec_b32 s11, s7
	s_cbranch_execz .LBB52_139
; %bb.135:
	v_cmp_ne_u32_e32 vcc_lo, 1, v165
	s_cbranch_vccnz .LBB52_137
; %bb.136:
	v_ashrrev_i32_e32 v50, 31, v49
	v_add_co_u32 v49, vcc_lo, v49, v100
	s_wait_alu 0xfffd
	s_delay_alu instid0(VALU_DEP_2) | instskip(NEXT) | instid1(VALU_DEP_1)
	v_add_co_ci_u32_e64 v50, null, 0, v50, vcc_lo
	v_lshlrev_b64_e32 v[49:50], 1, v[49:50]
	s_delay_alu instid0(VALU_DEP_1) | instskip(SKIP_1) | instid1(VALU_DEP_2)
	v_add_co_u32 v49, vcc_lo, s38, v49
	s_wait_alu 0xfffd
	v_add_co_ci_u32_e64 v50, null, s39, v50, vcc_lo
	global_load_u16 v49, v[49:50], off offset:64
	s_wait_loadcnt 0x0
	v_cvt_f32_f16_e32 v49, v49
	s_delay_alu instid0(VALU_DEP_1)
	v_mul_f32_e32 v49, v108, v49
	s_branch .LBB52_138
.LBB52_137:
	v_mov_b32_e32 v49, 0
.LBB52_138:
	s_delay_alu instid0(VALU_DEP_1) | instskip(SKIP_1) | instid1(VALU_DEP_2)
	v_add_f32_e32 v159, v159, v49
	v_max_num_f32_e32 v5, v5, v5
	v_add_f32_e32 v49, 0x40051340, v159
	s_delay_alu instid0(VALU_DEP_1)
	v_max_num_f32_e32 v5, v5, v49
.LBB52_139:
	s_wait_alu 0xfffe
	s_or_b32 exec_lo, exec_lo, s11
	ds_bpermute_b32 v49, v126, v5
	v_max_num_f32_e32 v5, v5, v5
	v_mul_hi_u32 v50, s20, v254
	s_wait_dscnt 0x0
	v_max_num_f32_e32 v49, v49, v49
	s_delay_alu instid0(VALU_DEP_1) | instskip(SKIP_3) | instid1(VALU_DEP_1)
	v_max_num_f32_e32 v5, v5, v49
	ds_bpermute_b32 v49, v166, v5
	s_wait_dscnt 0x0
	v_max_num_f32_e32 v49, v49, v49
	v_max_num_f32_e32 v5, v5, v49
	ds_bpermute_b32 v49, v167, v5
	s_wait_dscnt 0x0
	v_max_num_f32_e32 v49, v49, v49
	s_delay_alu instid0(VALU_DEP_1) | instskip(SKIP_3) | instid1(VALU_DEP_1)
	v_max_num_f32_e32 v5, v5, v49
	ds_bpermute_b32 v49, v168, v5
	s_wait_dscnt 0x0
	v_max_num_f32_e32 v49, v49, v49
	v_max_num_f32_e32 v5, v5, v49
	v_add_nc_u32_e32 v49, v254, v50
	ds_bpermute_b32 v50, v169, v5
	v_lshrrev_b32_e32 v49, s21, v49
	s_delay_alu instid0(VALU_DEP_1) | instskip(NEXT) | instid1(VALU_DEP_1)
	v_mul_lo_u32 v49, v49, s22
	v_sub_nc_u32_e32 v49, v254, v49
	s_wait_dscnt 0x0
	v_max_num_f32_e32 v72, v50, v50
	s_delay_alu instid0(VALU_DEP_2) | instskip(NEXT) | instid1(VALU_DEP_2)
	v_mad_co_u64_u32 v[49:50], null, v49, s28, s[14:15]
	v_max_num_f32_e32 v5, v5, v72
	s_and_saveexec_b32 s11, s6
	s_cbranch_execz .LBB52_144
; %bb.140:
	v_cmp_ne_u32_e32 vcc_lo, 1, v165
	s_cbranch_vccnz .LBB52_142
; %bb.141:
	s_delay_alu instid0(VALU_DEP_3) | instskip(NEXT) | instid1(VALU_DEP_1)
	v_add_nc_u32_e32 v72, v49, v100
	v_ashrrev_i32_e32 v73, 31, v72
	s_delay_alu instid0(VALU_DEP_1) | instskip(NEXT) | instid1(VALU_DEP_1)
	v_lshlrev_b64_e32 v[72:73], 1, v[72:73]
	v_add_co_u32 v72, vcc_lo, s38, v72
	s_wait_alu 0xfffd
	s_delay_alu instid0(VALU_DEP_2) | instskip(SKIP_3) | instid1(VALU_DEP_1)
	v_add_co_ci_u32_e64 v73, null, s39, v73, vcc_lo
	global_load_u16 v50, v[72:73], off
	s_wait_loadcnt 0x0
	v_cvt_f32_f16_e32 v50, v50
	v_mul_f32_e32 v50, v108, v50
	s_branch .LBB52_143
.LBB52_142:
	v_mov_b32_e32 v50, 0
.LBB52_143:
	s_delay_alu instid0(VALU_DEP_1) | instskip(SKIP_1) | instid1(VALU_DEP_2)
	v_add_f32_e32 v148, v148, v50
	v_max_num_f32_e32 v6, v6, v6
	v_add_f32_e32 v50, 0x40051340, v148
	s_delay_alu instid0(VALU_DEP_1)
	v_max_num_f32_e32 v6, v6, v50
.LBB52_144:
	s_wait_alu 0xfffe
	s_or_b32 exec_lo, exec_lo, s11
	s_and_saveexec_b32 s11, s7
	s_cbranch_execz .LBB52_149
; %bb.145:
	v_cmp_ne_u32_e32 vcc_lo, 1, v165
	s_cbranch_vccnz .LBB52_147
; %bb.146:
	v_ashrrev_i32_e32 v50, 31, v49
	v_add_co_u32 v49, vcc_lo, v49, v100
	s_wait_alu 0xfffd
	s_delay_alu instid0(VALU_DEP_2) | instskip(NEXT) | instid1(VALU_DEP_1)
	v_add_co_ci_u32_e64 v50, null, 0, v50, vcc_lo
	v_lshlrev_b64_e32 v[49:50], 1, v[49:50]
	s_delay_alu instid0(VALU_DEP_1) | instskip(SKIP_1) | instid1(VALU_DEP_2)
	v_add_co_u32 v49, vcc_lo, s38, v49
	s_wait_alu 0xfffd
	v_add_co_ci_u32_e64 v50, null, s39, v50, vcc_lo
	global_load_u16 v49, v[49:50], off offset:64
	s_wait_loadcnt 0x0
	v_cvt_f32_f16_e32 v49, v49
	s_delay_alu instid0(VALU_DEP_1)
	v_mul_f32_e32 v49, v108, v49
	s_branch .LBB52_148
.LBB52_147:
	v_mov_b32_e32 v49, 0
.LBB52_148:
	s_delay_alu instid0(VALU_DEP_1) | instskip(SKIP_1) | instid1(VALU_DEP_2)
	v_add_f32_e32 v158, v158, v49
	v_max_num_f32_e32 v6, v6, v6
	v_add_f32_e32 v49, 0x40051340, v158
	s_delay_alu instid0(VALU_DEP_1)
	v_max_num_f32_e32 v6, v6, v49
.LBB52_149:
	s_wait_alu 0xfffe
	s_or_b32 exec_lo, exec_lo, s11
	ds_bpermute_b32 v49, v126, v6
	v_or_b32_e32 v72, 7, v104
	v_max_num_f32_e32 v6, v6, v6
	s_delay_alu instid0(VALU_DEP_2) | instskip(SKIP_2) | instid1(VALU_DEP_1)
	v_mul_hi_u32 v50, s20, v72
	s_wait_dscnt 0x0
	v_max_num_f32_e32 v49, v49, v49
	v_max_num_f32_e32 v6, v6, v49
	ds_bpermute_b32 v49, v166, v6
	s_wait_dscnt 0x0
	v_max_num_f32_e32 v49, v49, v49
	s_delay_alu instid0(VALU_DEP_1) | instskip(SKIP_3) | instid1(VALU_DEP_1)
	v_max_num_f32_e32 v6, v6, v49
	ds_bpermute_b32 v49, v167, v6
	s_wait_dscnt 0x0
	v_max_num_f32_e32 v49, v49, v49
	v_max_num_f32_e32 v6, v6, v49
	ds_bpermute_b32 v49, v168, v6
	s_wait_dscnt 0x0
	v_max_num_f32_e32 v49, v49, v49
	s_delay_alu instid0(VALU_DEP_1) | instskip(SKIP_2) | instid1(VALU_DEP_1)
	v_dual_max_num_f32 v6, v6, v49 :: v_dual_add_nc_u32 v49, v72, v50
	ds_bpermute_b32 v50, v169, v6
	v_lshrrev_b32_e32 v49, s21, v49
	v_mul_lo_u32 v49, v49, s22
	s_delay_alu instid0(VALU_DEP_1) | instskip(SKIP_2) | instid1(VALU_DEP_2)
	v_sub_nc_u32_e32 v49, v72, v49
	s_wait_dscnt 0x0
	v_max_num_f32_e32 v72, v50, v50
	v_mad_co_u64_u32 v[49:50], null, v49, s28, s[14:15]
	s_delay_alu instid0(VALU_DEP_2)
	v_max_num_f32_e32 v6, v6, v72
	s_and_saveexec_b32 s11, s6
	s_cbranch_execz .LBB52_154
; %bb.150:
	v_cmp_ne_u32_e32 vcc_lo, 1, v165
	s_cbranch_vccnz .LBB52_152
; %bb.151:
	s_delay_alu instid0(VALU_DEP_3) | instskip(NEXT) | instid1(VALU_DEP_1)
	v_add_nc_u32_e32 v72, v49, v100
	v_ashrrev_i32_e32 v73, 31, v72
	s_delay_alu instid0(VALU_DEP_1) | instskip(NEXT) | instid1(VALU_DEP_1)
	v_lshlrev_b64_e32 v[72:73], 1, v[72:73]
	v_add_co_u32 v72, vcc_lo, s38, v72
	s_wait_alu 0xfffd
	s_delay_alu instid0(VALU_DEP_2) | instskip(SKIP_3) | instid1(VALU_DEP_1)
	v_add_co_ci_u32_e64 v73, null, s39, v73, vcc_lo
	global_load_u16 v50, v[72:73], off
	s_wait_loadcnt 0x0
	v_cvt_f32_f16_e32 v50, v50
	v_mul_f32_e32 v50, v108, v50
	s_branch .LBB52_153
.LBB52_152:
	v_mov_b32_e32 v50, 0
.LBB52_153:
	s_delay_alu instid0(VALU_DEP_1) | instskip(NEXT) | instid1(VALU_DEP_1)
	v_add_f32_e32 v145, v145, v50
	v_dual_max_num_f32 v7, v7, v7 :: v_dual_add_f32 v50, 0x40051340, v145
	s_delay_alu instid0(VALU_DEP_1)
	v_max_num_f32_e32 v7, v7, v50
.LBB52_154:
	s_wait_alu 0xfffe
	s_or_b32 exec_lo, exec_lo, s11
	s_and_saveexec_b32 s11, s7
	s_cbranch_execz .LBB52_159
; %bb.155:
	v_cmp_ne_u32_e32 vcc_lo, 1, v165
	s_cbranch_vccnz .LBB52_157
; %bb.156:
	v_ashrrev_i32_e32 v50, 31, v49
	v_add_co_u32 v49, vcc_lo, v49, v100
	s_wait_alu 0xfffd
	s_delay_alu instid0(VALU_DEP_2) | instskip(NEXT) | instid1(VALU_DEP_1)
	v_add_co_ci_u32_e64 v50, null, 0, v50, vcc_lo
	v_lshlrev_b64_e32 v[49:50], 1, v[49:50]
	s_delay_alu instid0(VALU_DEP_1) | instskip(SKIP_1) | instid1(VALU_DEP_2)
	v_add_co_u32 v49, vcc_lo, s38, v49
	s_wait_alu 0xfffd
	v_add_co_ci_u32_e64 v50, null, s39, v50, vcc_lo
	global_load_u16 v49, v[49:50], off offset:64
	s_wait_loadcnt 0x0
	v_cvt_f32_f16_e32 v49, v49
	s_delay_alu instid0(VALU_DEP_1)
	v_mul_f32_e32 v49, v108, v49
	s_branch .LBB52_158
.LBB52_157:
	v_mov_b32_e32 v49, 0
.LBB52_158:
	s_delay_alu instid0(VALU_DEP_1) | instskip(NEXT) | instid1(VALU_DEP_1)
	v_dual_add_f32 v156, v156, v49 :: v_dual_max_num_f32 v7, v7, v7
	v_add_f32_e32 v49, 0x40051340, v156
	s_delay_alu instid0(VALU_DEP_1)
	v_max_num_f32_e32 v7, v7, v49
.LBB52_159:
	s_wait_alu 0xfffe
	s_or_b32 exec_lo, exec_lo, s11
	ds_bpermute_b32 v49, v126, v7
	v_max_num_f32_e32 v7, v7, v7
	v_or_b32_e32 v72, 8, v104
	s_delay_alu instid0(VALU_DEP_1) | instskip(SKIP_2) | instid1(VALU_DEP_1)
	v_mul_hi_u32 v50, s20, v72
	s_wait_dscnt 0x0
	v_max_num_f32_e32 v49, v49, v49
	v_max_num_f32_e32 v7, v7, v49
	ds_bpermute_b32 v49, v166, v7
	s_wait_dscnt 0x0
	v_max_num_f32_e32 v49, v49, v49
	s_delay_alu instid0(VALU_DEP_1) | instskip(SKIP_3) | instid1(VALU_DEP_1)
	v_max_num_f32_e32 v7, v7, v49
	ds_bpermute_b32 v49, v167, v7
	s_wait_dscnt 0x0
	v_max_num_f32_e32 v49, v49, v49
	v_max_num_f32_e32 v7, v7, v49
	ds_bpermute_b32 v49, v168, v7
	s_wait_dscnt 0x0
	v_max_num_f32_e32 v49, v49, v49
	s_delay_alu instid0(VALU_DEP_1) | instskip(SKIP_3) | instid1(VALU_DEP_1)
	v_max_num_f32_e32 v7, v7, v49
	v_add_nc_u32_e32 v49, v72, v50
	ds_bpermute_b32 v50, v169, v7
	v_lshrrev_b32_e32 v49, s21, v49
	v_mul_lo_u32 v49, v49, s22
	s_delay_alu instid0(VALU_DEP_1) | instskip(SKIP_2) | instid1(VALU_DEP_2)
	v_sub_nc_u32_e32 v49, v72, v49
	s_wait_dscnt 0x0
	v_max_num_f32_e32 v72, v50, v50
	v_mad_co_u64_u32 v[49:50], null, v49, s28, s[14:15]
	s_delay_alu instid0(VALU_DEP_2)
	v_max_num_f32_e32 v7, v7, v72
	s_and_saveexec_b32 s11, s6
	s_cbranch_execz .LBB52_164
; %bb.160:
	v_cmp_ne_u32_e32 vcc_lo, 1, v165
	s_cbranch_vccnz .LBB52_162
; %bb.161:
	s_delay_alu instid0(VALU_DEP_3) | instskip(NEXT) | instid1(VALU_DEP_1)
	v_add_nc_u32_e32 v72, v49, v100
	v_ashrrev_i32_e32 v73, 31, v72
	s_delay_alu instid0(VALU_DEP_1) | instskip(NEXT) | instid1(VALU_DEP_1)
	v_lshlrev_b64_e32 v[72:73], 1, v[72:73]
	v_add_co_u32 v72, vcc_lo, s38, v72
	s_wait_alu 0xfffd
	s_delay_alu instid0(VALU_DEP_2) | instskip(SKIP_3) | instid1(VALU_DEP_1)
	v_add_co_ci_u32_e64 v73, null, s39, v73, vcc_lo
	global_load_u16 v50, v[72:73], off
	s_wait_loadcnt 0x0
	v_cvt_f32_f16_e32 v50, v50
	v_mul_f32_e32 v50, v108, v50
	s_branch .LBB52_163
.LBB52_162:
	v_mov_b32_e32 v50, 0
.LBB52_163:
	s_delay_alu instid0(VALU_DEP_1) | instskip(NEXT) | instid1(VALU_DEP_1)
	v_dual_add_f32 v143, v143, v50 :: v_dual_max_num_f32 v8, v8, v8
	v_add_f32_e32 v50, 0x40051340, v143
	s_delay_alu instid0(VALU_DEP_1)
	v_max_num_f32_e32 v8, v8, v50
.LBB52_164:
	s_wait_alu 0xfffe
	s_or_b32 exec_lo, exec_lo, s11
	s_and_saveexec_b32 s11, s7
	s_cbranch_execz .LBB52_169
; %bb.165:
	v_cmp_ne_u32_e32 vcc_lo, 1, v165
	s_cbranch_vccnz .LBB52_167
; %bb.166:
	v_ashrrev_i32_e32 v50, 31, v49
	v_add_co_u32 v49, vcc_lo, v49, v100
	s_wait_alu 0xfffd
	s_delay_alu instid0(VALU_DEP_2) | instskip(NEXT) | instid1(VALU_DEP_1)
	v_add_co_ci_u32_e64 v50, null, 0, v50, vcc_lo
	v_lshlrev_b64_e32 v[49:50], 1, v[49:50]
	s_delay_alu instid0(VALU_DEP_1) | instskip(SKIP_1) | instid1(VALU_DEP_2)
	v_add_co_u32 v49, vcc_lo, s38, v49
	s_wait_alu 0xfffd
	v_add_co_ci_u32_e64 v50, null, s39, v50, vcc_lo
	global_load_u16 v49, v[49:50], off offset:64
	s_wait_loadcnt 0x0
	v_cvt_f32_f16_e32 v49, v49
	s_delay_alu instid0(VALU_DEP_1)
	v_mul_f32_e32 v49, v108, v49
	s_branch .LBB52_168
.LBB52_167:
	v_mov_b32_e32 v49, 0
.LBB52_168:
	s_delay_alu instid0(VALU_DEP_1) | instskip(NEXT) | instid1(VALU_DEP_1)
	v_add_f32_e32 v154, v154, v49
	v_dual_max_num_f32 v8, v8, v8 :: v_dual_add_f32 v49, 0x40051340, v154
	s_delay_alu instid0(VALU_DEP_1)
	v_max_num_f32_e32 v8, v8, v49
.LBB52_169:
	s_wait_alu 0xfffe
	s_or_b32 exec_lo, exec_lo, s11
	ds_bpermute_b32 v49, v126, v8
	v_or_b32_e32 v72, 9, v104
	v_max_num_f32_e32 v8, v8, v8
	s_delay_alu instid0(VALU_DEP_2) | instskip(SKIP_2) | instid1(VALU_DEP_1)
	v_mul_hi_u32 v50, s20, v72
	s_wait_dscnt 0x0
	v_max_num_f32_e32 v49, v49, v49
	v_max_num_f32_e32 v8, v8, v49
	ds_bpermute_b32 v49, v166, v8
	s_wait_dscnt 0x0
	v_max_num_f32_e32 v49, v49, v49
	s_delay_alu instid0(VALU_DEP_1) | instskip(SKIP_3) | instid1(VALU_DEP_1)
	v_max_num_f32_e32 v8, v8, v49
	ds_bpermute_b32 v49, v167, v8
	s_wait_dscnt 0x0
	v_max_num_f32_e32 v49, v49, v49
	v_max_num_f32_e32 v8, v8, v49
	ds_bpermute_b32 v49, v168, v8
	s_wait_dscnt 0x0
	v_max_num_f32_e32 v49, v49, v49
	s_delay_alu instid0(VALU_DEP_1) | instskip(SKIP_3) | instid1(VALU_DEP_1)
	v_max_num_f32_e32 v8, v8, v49
	v_add_nc_u32_e32 v49, v72, v50
	ds_bpermute_b32 v50, v169, v8
	v_lshrrev_b32_e32 v49, s21, v49
	v_mul_lo_u32 v49, v49, s22
	s_delay_alu instid0(VALU_DEP_1) | instskip(SKIP_2) | instid1(VALU_DEP_2)
	v_sub_nc_u32_e32 v49, v72, v49
	s_wait_dscnt 0x0
	v_max_num_f32_e32 v72, v50, v50
	v_mad_co_u64_u32 v[49:50], null, v49, s28, s[14:15]
	s_delay_alu instid0(VALU_DEP_2)
	v_max_num_f32_e32 v8, v8, v72
	s_and_saveexec_b32 s11, s6
	s_cbranch_execz .LBB52_174
; %bb.170:
	v_cmp_ne_u32_e32 vcc_lo, 1, v165
	s_cbranch_vccnz .LBB52_172
; %bb.171:
	s_delay_alu instid0(VALU_DEP_3) | instskip(NEXT) | instid1(VALU_DEP_1)
	v_add_nc_u32_e32 v72, v49, v100
	v_ashrrev_i32_e32 v73, 31, v72
	s_delay_alu instid0(VALU_DEP_1) | instskip(NEXT) | instid1(VALU_DEP_1)
	v_lshlrev_b64_e32 v[72:73], 1, v[72:73]
	v_add_co_u32 v72, vcc_lo, s38, v72
	s_wait_alu 0xfffd
	s_delay_alu instid0(VALU_DEP_2) | instskip(SKIP_3) | instid1(VALU_DEP_1)
	v_add_co_ci_u32_e64 v73, null, s39, v73, vcc_lo
	global_load_u16 v50, v[72:73], off
	s_wait_loadcnt 0x0
	v_cvt_f32_f16_e32 v50, v50
	v_mul_f32_e32 v50, v108, v50
	s_branch .LBB52_173
.LBB52_172:
	v_mov_b32_e32 v50, 0
.LBB52_173:
	s_delay_alu instid0(VALU_DEP_1) | instskip(NEXT) | instid1(VALU_DEP_1)
	v_dual_add_f32 v70, v70, v50 :: v_dual_max_num_f32 v9, v9, v9
	v_add_f32_e32 v50, 0x40051340, v70
	s_delay_alu instid0(VALU_DEP_1)
	v_max_num_f32_e32 v9, v9, v50
.LBB52_174:
	s_wait_alu 0xfffe
	s_or_b32 exec_lo, exec_lo, s11
	s_and_saveexec_b32 s11, s7
	s_cbranch_execz .LBB52_179
; %bb.175:
	v_cmp_ne_u32_e32 vcc_lo, 1, v165
	s_cbranch_vccnz .LBB52_177
; %bb.176:
	v_ashrrev_i32_e32 v50, 31, v49
	v_add_co_u32 v49, vcc_lo, v49, v100
	s_wait_alu 0xfffd
	s_delay_alu instid0(VALU_DEP_2) | instskip(NEXT) | instid1(VALU_DEP_1)
	v_add_co_ci_u32_e64 v50, null, 0, v50, vcc_lo
	v_lshlrev_b64_e32 v[49:50], 1, v[49:50]
	s_delay_alu instid0(VALU_DEP_1) | instskip(SKIP_1) | instid1(VALU_DEP_2)
	v_add_co_u32 v49, vcc_lo, s38, v49
	s_wait_alu 0xfffd
	v_add_co_ci_u32_e64 v50, null, s39, v50, vcc_lo
	global_load_u16 v49, v[49:50], off offset:64
	s_wait_loadcnt 0x0
	v_cvt_f32_f16_e32 v49, v49
	s_delay_alu instid0(VALU_DEP_1)
	v_mul_f32_e32 v49, v108, v49
	s_branch .LBB52_178
.LBB52_177:
	v_mov_b32_e32 v49, 0
.LBB52_178:
	s_delay_alu instid0(VALU_DEP_1) | instskip(SKIP_1) | instid1(VALU_DEP_2)
	v_add_f32_e32 v152, v152, v49
	v_max_num_f32_e32 v9, v9, v9
	v_add_f32_e32 v49, 0x40051340, v152
	s_delay_alu instid0(VALU_DEP_1)
	v_max_num_f32_e32 v9, v9, v49
.LBB52_179:
	s_wait_alu 0xfffe
	s_or_b32 exec_lo, exec_lo, s11
	ds_bpermute_b32 v49, v126, v9
	v_max_num_f32_e32 v9, v9, v9
	v_or_b32_e32 v72, 10, v104
	s_delay_alu instid0(VALU_DEP_1) | instskip(SKIP_2) | instid1(VALU_DEP_1)
	v_mul_hi_u32 v50, s20, v72
	s_wait_dscnt 0x0
	v_max_num_f32_e32 v49, v49, v49
	v_max_num_f32_e32 v9, v9, v49
	ds_bpermute_b32 v49, v166, v9
	s_wait_dscnt 0x0
	v_max_num_f32_e32 v49, v49, v49
	s_delay_alu instid0(VALU_DEP_1) | instskip(SKIP_3) | instid1(VALU_DEP_1)
	v_max_num_f32_e32 v9, v9, v49
	ds_bpermute_b32 v49, v167, v9
	s_wait_dscnt 0x0
	v_max_num_f32_e32 v49, v49, v49
	v_max_num_f32_e32 v9, v9, v49
	ds_bpermute_b32 v49, v168, v9
	s_wait_dscnt 0x0
	v_max_num_f32_e32 v49, v49, v49
	s_delay_alu instid0(VALU_DEP_1) | instskip(SKIP_3) | instid1(VALU_DEP_1)
	v_max_num_f32_e32 v9, v9, v49
	v_add_nc_u32_e32 v49, v72, v50
	ds_bpermute_b32 v50, v169, v9
	v_lshrrev_b32_e32 v49, s21, v49
	v_mul_lo_u32 v49, v49, s22
	s_delay_alu instid0(VALU_DEP_1) | instskip(SKIP_2) | instid1(VALU_DEP_2)
	v_sub_nc_u32_e32 v49, v72, v49
	s_wait_dscnt 0x0
	v_max_num_f32_e32 v72, v50, v50
	v_mad_co_u64_u32 v[49:50], null, v49, s28, s[14:15]
	s_delay_alu instid0(VALU_DEP_2)
	v_max_num_f32_e32 v9, v9, v72
	s_and_saveexec_b32 s11, s6
	s_cbranch_execz .LBB52_184
; %bb.180:
	v_cmp_ne_u32_e32 vcc_lo, 1, v165
	s_cbranch_vccnz .LBB52_182
; %bb.181:
	s_delay_alu instid0(VALU_DEP_3) | instskip(NEXT) | instid1(VALU_DEP_1)
	v_add_nc_u32_e32 v72, v49, v100
	v_ashrrev_i32_e32 v73, 31, v72
	s_delay_alu instid0(VALU_DEP_1) | instskip(NEXT) | instid1(VALU_DEP_1)
	v_lshlrev_b64_e32 v[72:73], 1, v[72:73]
	v_add_co_u32 v72, vcc_lo, s38, v72
	s_wait_alu 0xfffd
	s_delay_alu instid0(VALU_DEP_2) | instskip(SKIP_3) | instid1(VALU_DEP_1)
	v_add_co_ci_u32_e64 v73, null, s39, v73, vcc_lo
	global_load_u16 v50, v[72:73], off
	s_wait_loadcnt 0x0
	v_cvt_f32_f16_e32 v50, v50
	v_mul_f32_e32 v50, v108, v50
	s_branch .LBB52_183
.LBB52_182:
	v_mov_b32_e32 v50, 0
.LBB52_183:
	s_delay_alu instid0(VALU_DEP_1) | instskip(SKIP_1) | instid1(VALU_DEP_2)
	v_add_f32_e32 v69, v69, v50
	v_max_num_f32_e32 v10, v10, v10
	v_add_f32_e32 v50, 0x40051340, v69
	s_delay_alu instid0(VALU_DEP_1)
	v_max_num_f32_e32 v10, v10, v50
.LBB52_184:
	s_wait_alu 0xfffe
	s_or_b32 exec_lo, exec_lo, s11
	s_and_saveexec_b32 s11, s7
	s_cbranch_execz .LBB52_189
; %bb.185:
	v_cmp_ne_u32_e32 vcc_lo, 1, v165
	s_cbranch_vccnz .LBB52_187
; %bb.186:
	v_ashrrev_i32_e32 v50, 31, v49
	v_add_co_u32 v49, vcc_lo, v49, v100
	s_wait_alu 0xfffd
	s_delay_alu instid0(VALU_DEP_2) | instskip(NEXT) | instid1(VALU_DEP_1)
	v_add_co_ci_u32_e64 v50, null, 0, v50, vcc_lo
	v_lshlrev_b64_e32 v[49:50], 1, v[49:50]
	s_delay_alu instid0(VALU_DEP_1) | instskip(SKIP_1) | instid1(VALU_DEP_2)
	v_add_co_u32 v49, vcc_lo, s38, v49
	s_wait_alu 0xfffd
	v_add_co_ci_u32_e64 v50, null, s39, v50, vcc_lo
	global_load_u16 v49, v[49:50], off offset:64
	s_wait_loadcnt 0x0
	v_cvt_f32_f16_e32 v49, v49
	s_delay_alu instid0(VALU_DEP_1)
	v_mul_f32_e32 v49, v108, v49
	s_branch .LBB52_188
.LBB52_187:
	v_mov_b32_e32 v49, 0
.LBB52_188:
	s_delay_alu instid0(VALU_DEP_1) | instskip(SKIP_1) | instid1(VALU_DEP_2)
	v_add_f32_e32 v150, v150, v49
	v_max_num_f32_e32 v10, v10, v10
	v_add_f32_e32 v49, 0x40051340, v150
	s_delay_alu instid0(VALU_DEP_1)
	v_max_num_f32_e32 v10, v10, v49
.LBB52_189:
	s_wait_alu 0xfffe
	s_or_b32 exec_lo, exec_lo, s11
	ds_bpermute_b32 v49, v126, v10
	v_or_b32_e32 v72, 11, v104
	v_max_num_f32_e32 v10, v10, v10
	s_delay_alu instid0(VALU_DEP_2) | instskip(SKIP_2) | instid1(VALU_DEP_1)
	v_mul_hi_u32 v50, s20, v72
	s_wait_dscnt 0x0
	v_max_num_f32_e32 v49, v49, v49
	v_max_num_f32_e32 v10, v10, v49
	ds_bpermute_b32 v49, v166, v10
	s_wait_dscnt 0x0
	v_max_num_f32_e32 v49, v49, v49
	s_delay_alu instid0(VALU_DEP_1) | instskip(SKIP_3) | instid1(VALU_DEP_1)
	v_max_num_f32_e32 v10, v10, v49
	ds_bpermute_b32 v49, v167, v10
	s_wait_dscnt 0x0
	v_max_num_f32_e32 v49, v49, v49
	v_max_num_f32_e32 v10, v10, v49
	ds_bpermute_b32 v49, v168, v10
	s_wait_dscnt 0x0
	v_max_num_f32_e32 v49, v49, v49
	s_delay_alu instid0(VALU_DEP_1) | instskip(SKIP_2) | instid1(VALU_DEP_1)
	v_dual_max_num_f32 v10, v10, v49 :: v_dual_add_nc_u32 v49, v72, v50
	ds_bpermute_b32 v50, v169, v10
	v_lshrrev_b32_e32 v49, s21, v49
	v_mul_lo_u32 v49, v49, s22
	s_delay_alu instid0(VALU_DEP_1) | instskip(SKIP_2) | instid1(VALU_DEP_2)
	v_sub_nc_u32_e32 v49, v72, v49
	s_wait_dscnt 0x0
	v_max_num_f32_e32 v72, v50, v50
	v_mad_co_u64_u32 v[49:50], null, v49, s28, s[14:15]
	s_delay_alu instid0(VALU_DEP_2)
	v_max_num_f32_e32 v10, v10, v72
	s_and_saveexec_b32 s11, s6
	s_cbranch_execz .LBB52_194
; %bb.190:
	v_cmp_ne_u32_e32 vcc_lo, 1, v165
	s_cbranch_vccnz .LBB52_192
; %bb.191:
	s_delay_alu instid0(VALU_DEP_3) | instskip(NEXT) | instid1(VALU_DEP_1)
	v_add_nc_u32_e32 v72, v49, v100
	v_ashrrev_i32_e32 v73, 31, v72
	s_delay_alu instid0(VALU_DEP_1) | instskip(NEXT) | instid1(VALU_DEP_1)
	v_lshlrev_b64_e32 v[72:73], 1, v[72:73]
	v_add_co_u32 v72, vcc_lo, s38, v72
	s_wait_alu 0xfffd
	s_delay_alu instid0(VALU_DEP_2) | instskip(SKIP_3) | instid1(VALU_DEP_1)
	v_add_co_ci_u32_e64 v73, null, s39, v73, vcc_lo
	global_load_u16 v50, v[72:73], off
	s_wait_loadcnt 0x0
	v_cvt_f32_f16_e32 v50, v50
	v_mul_f32_e32 v50, v108, v50
	s_branch .LBB52_193
.LBB52_192:
	v_mov_b32_e32 v50, 0
.LBB52_193:
	s_delay_alu instid0(VALU_DEP_1) | instskip(NEXT) | instid1(VALU_DEP_1)
	v_dual_add_f32 v68, v68, v50 :: v_dual_max_num_f32 v11, v11, v11
	v_add_f32_e32 v50, 0x40051340, v68
	s_delay_alu instid0(VALU_DEP_1)
	v_max_num_f32_e32 v11, v11, v50
.LBB52_194:
	s_wait_alu 0xfffe
	s_or_b32 exec_lo, exec_lo, s11
	s_and_saveexec_b32 s11, s7
	s_cbranch_execz .LBB52_199
; %bb.195:
	v_cmp_ne_u32_e32 vcc_lo, 1, v165
	s_cbranch_vccnz .LBB52_197
; %bb.196:
	v_ashrrev_i32_e32 v50, 31, v49
	v_add_co_u32 v49, vcc_lo, v49, v100
	s_wait_alu 0xfffd
	s_delay_alu instid0(VALU_DEP_2) | instskip(NEXT) | instid1(VALU_DEP_1)
	v_add_co_ci_u32_e64 v50, null, 0, v50, vcc_lo
	v_lshlrev_b64_e32 v[49:50], 1, v[49:50]
	s_delay_alu instid0(VALU_DEP_1) | instskip(SKIP_1) | instid1(VALU_DEP_2)
	v_add_co_u32 v49, vcc_lo, s38, v49
	s_wait_alu 0xfffd
	v_add_co_ci_u32_e64 v50, null, s39, v50, vcc_lo
	global_load_u16 v49, v[49:50], off offset:64
	s_wait_loadcnt 0x0
	v_cvt_f32_f16_e32 v49, v49
	s_delay_alu instid0(VALU_DEP_1)
	v_mul_f32_e32 v49, v108, v49
	s_branch .LBB52_198
.LBB52_197:
	v_mov_b32_e32 v49, 0
.LBB52_198:
	s_delay_alu instid0(VALU_DEP_1) | instskip(SKIP_1) | instid1(VALU_DEP_2)
	v_add_f32_e32 v147, v147, v49
	v_max_num_f32_e32 v11, v11, v11
	v_add_f32_e32 v49, 0x40051340, v147
	s_delay_alu instid0(VALU_DEP_1)
	v_max_num_f32_e32 v11, v11, v49
.LBB52_199:
	s_wait_alu 0xfffe
	s_or_b32 exec_lo, exec_lo, s11
	ds_bpermute_b32 v49, v126, v11
	v_max_num_f32_e32 v11, v11, v11
	v_or_b32_e32 v72, 12, v104
	s_delay_alu instid0(VALU_DEP_1) | instskip(SKIP_2) | instid1(VALU_DEP_1)
	v_mul_hi_u32 v50, s20, v72
	s_wait_dscnt 0x0
	v_max_num_f32_e32 v49, v49, v49
	v_max_num_f32_e32 v11, v11, v49
	ds_bpermute_b32 v49, v166, v11
	s_wait_dscnt 0x0
	v_max_num_f32_e32 v49, v49, v49
	s_delay_alu instid0(VALU_DEP_1) | instskip(SKIP_3) | instid1(VALU_DEP_1)
	v_max_num_f32_e32 v11, v11, v49
	ds_bpermute_b32 v49, v167, v11
	s_wait_dscnt 0x0
	v_max_num_f32_e32 v49, v49, v49
	v_max_num_f32_e32 v11, v11, v49
	ds_bpermute_b32 v49, v168, v11
	s_wait_dscnt 0x0
	v_max_num_f32_e32 v49, v49, v49
	s_delay_alu instid0(VALU_DEP_1) | instskip(SKIP_3) | instid1(VALU_DEP_1)
	v_max_num_f32_e32 v11, v11, v49
	v_add_nc_u32_e32 v49, v72, v50
	ds_bpermute_b32 v50, v169, v11
	v_lshrrev_b32_e32 v49, s21, v49
	v_mul_lo_u32 v49, v49, s22
	s_delay_alu instid0(VALU_DEP_1) | instskip(SKIP_2) | instid1(VALU_DEP_2)
	v_sub_nc_u32_e32 v49, v72, v49
	s_wait_dscnt 0x0
	v_max_num_f32_e32 v72, v50, v50
	v_mad_co_u64_u32 v[49:50], null, v49, s28, s[14:15]
	s_delay_alu instid0(VALU_DEP_2)
	v_max_num_f32_e32 v11, v11, v72
	s_and_saveexec_b32 s11, s6
	s_cbranch_execz .LBB52_204
; %bb.200:
	v_cmp_ne_u32_e32 vcc_lo, 1, v165
	s_cbranch_vccnz .LBB52_202
; %bb.201:
	s_delay_alu instid0(VALU_DEP_3) | instskip(NEXT) | instid1(VALU_DEP_1)
	v_add_nc_u32_e32 v72, v49, v100
	v_ashrrev_i32_e32 v73, 31, v72
	s_delay_alu instid0(VALU_DEP_1) | instskip(NEXT) | instid1(VALU_DEP_1)
	v_lshlrev_b64_e32 v[72:73], 1, v[72:73]
	v_add_co_u32 v72, vcc_lo, s38, v72
	s_wait_alu 0xfffd
	s_delay_alu instid0(VALU_DEP_2) | instskip(SKIP_3) | instid1(VALU_DEP_1)
	v_add_co_ci_u32_e64 v73, null, s39, v73, vcc_lo
	global_load_u16 v50, v[72:73], off
	s_wait_loadcnt 0x0
	v_cvt_f32_f16_e32 v50, v50
	v_mul_f32_e32 v50, v108, v50
	s_branch .LBB52_203
.LBB52_202:
	v_mov_b32_e32 v50, 0
.LBB52_203:
	s_delay_alu instid0(VALU_DEP_1) | instskip(NEXT) | instid1(VALU_DEP_1)
	v_dual_add_f32 v67, v67, v50 :: v_dual_max_num_f32 v12, v12, v12
	v_add_f32_e32 v50, 0x40051340, v67
	s_delay_alu instid0(VALU_DEP_1)
	v_max_num_f32_e32 v12, v12, v50
.LBB52_204:
	s_wait_alu 0xfffe
	s_or_b32 exec_lo, exec_lo, s11
	s_and_saveexec_b32 s11, s7
	s_cbranch_execz .LBB52_209
; %bb.205:
	v_cmp_ne_u32_e32 vcc_lo, 1, v165
	s_cbranch_vccnz .LBB52_207
; %bb.206:
	v_ashrrev_i32_e32 v50, 31, v49
	v_add_co_u32 v49, vcc_lo, v49, v100
	s_wait_alu 0xfffd
	s_delay_alu instid0(VALU_DEP_2) | instskip(NEXT) | instid1(VALU_DEP_1)
	v_add_co_ci_u32_e64 v50, null, 0, v50, vcc_lo
	v_lshlrev_b64_e32 v[49:50], 1, v[49:50]
	s_delay_alu instid0(VALU_DEP_1) | instskip(SKIP_1) | instid1(VALU_DEP_2)
	v_add_co_u32 v49, vcc_lo, s38, v49
	s_wait_alu 0xfffd
	v_add_co_ci_u32_e64 v50, null, s39, v50, vcc_lo
	global_load_u16 v49, v[49:50], off offset:64
	s_wait_loadcnt 0x0
	v_cvt_f32_f16_e32 v49, v49
	s_delay_alu instid0(VALU_DEP_1)
	v_mul_f32_e32 v49, v108, v49
	s_branch .LBB52_208
.LBB52_207:
	v_mov_b32_e32 v49, 0
.LBB52_208:
	s_delay_alu instid0(VALU_DEP_1) | instskip(NEXT) | instid1(VALU_DEP_1)
	v_add_f32_e32 v146, v146, v49
	v_dual_max_num_f32 v12, v12, v12 :: v_dual_add_f32 v49, 0x40051340, v146
	s_delay_alu instid0(VALU_DEP_1)
	v_max_num_f32_e32 v12, v12, v49
.LBB52_209:
	s_wait_alu 0xfffe
	s_or_b32 exec_lo, exec_lo, s11
	ds_bpermute_b32 v49, v126, v12
	v_or_b32_e32 v72, 13, v104
	v_max_num_f32_e32 v12, v12, v12
	s_delay_alu instid0(VALU_DEP_2) | instskip(SKIP_2) | instid1(VALU_DEP_1)
	v_mul_hi_u32 v50, s20, v72
	s_wait_dscnt 0x0
	v_max_num_f32_e32 v49, v49, v49
	v_max_num_f32_e32 v12, v12, v49
	ds_bpermute_b32 v49, v166, v12
	s_wait_dscnt 0x0
	v_max_num_f32_e32 v49, v49, v49
	s_delay_alu instid0(VALU_DEP_1) | instskip(SKIP_3) | instid1(VALU_DEP_1)
	v_max_num_f32_e32 v12, v12, v49
	ds_bpermute_b32 v49, v167, v12
	s_wait_dscnt 0x0
	v_max_num_f32_e32 v49, v49, v49
	v_max_num_f32_e32 v12, v12, v49
	ds_bpermute_b32 v49, v168, v12
	s_wait_dscnt 0x0
	v_max_num_f32_e32 v49, v49, v49
	s_delay_alu instid0(VALU_DEP_1) | instskip(SKIP_3) | instid1(VALU_DEP_1)
	v_max_num_f32_e32 v12, v12, v49
	v_add_nc_u32_e32 v49, v72, v50
	ds_bpermute_b32 v50, v169, v12
	v_lshrrev_b32_e32 v49, s21, v49
	v_mul_lo_u32 v49, v49, s22
	s_delay_alu instid0(VALU_DEP_1) | instskip(SKIP_2) | instid1(VALU_DEP_2)
	v_sub_nc_u32_e32 v49, v72, v49
	s_wait_dscnt 0x0
	v_max_num_f32_e32 v72, v50, v50
	v_mad_co_u64_u32 v[49:50], null, v49, s28, s[14:15]
	s_delay_alu instid0(VALU_DEP_2)
	v_max_num_f32_e32 v12, v12, v72
	s_and_saveexec_b32 s11, s6
	s_cbranch_execz .LBB52_214
; %bb.210:
	v_cmp_ne_u32_e32 vcc_lo, 1, v165
	s_cbranch_vccnz .LBB52_212
; %bb.211:
	s_delay_alu instid0(VALU_DEP_3) | instskip(NEXT) | instid1(VALU_DEP_1)
	v_add_nc_u32_e32 v72, v49, v100
	v_ashrrev_i32_e32 v73, 31, v72
	s_delay_alu instid0(VALU_DEP_1) | instskip(NEXT) | instid1(VALU_DEP_1)
	v_lshlrev_b64_e32 v[72:73], 1, v[72:73]
	v_add_co_u32 v72, vcc_lo, s38, v72
	s_wait_alu 0xfffd
	s_delay_alu instid0(VALU_DEP_2) | instskip(SKIP_3) | instid1(VALU_DEP_1)
	v_add_co_ci_u32_e64 v73, null, s39, v73, vcc_lo
	global_load_u16 v50, v[72:73], off
	s_wait_loadcnt 0x0
	v_cvt_f32_f16_e32 v50, v50
	v_mul_f32_e32 v50, v108, v50
	s_branch .LBB52_213
.LBB52_212:
	v_mov_b32_e32 v50, 0
.LBB52_213:
	s_delay_alu instid0(VALU_DEP_1) | instskip(NEXT) | instid1(VALU_DEP_1)
	v_dual_add_f32 v66, v66, v50 :: v_dual_max_num_f32 v13, v13, v13
	v_add_f32_e32 v50, 0x40051340, v66
	s_delay_alu instid0(VALU_DEP_1)
	v_max_num_f32_e32 v13, v13, v50
.LBB52_214:
	s_wait_alu 0xfffe
	s_or_b32 exec_lo, exec_lo, s11
	s_and_saveexec_b32 s11, s7
	s_cbranch_execz .LBB52_219
; %bb.215:
	v_cmp_ne_u32_e32 vcc_lo, 1, v165
	s_cbranch_vccnz .LBB52_217
; %bb.216:
	v_ashrrev_i32_e32 v50, 31, v49
	v_add_co_u32 v49, vcc_lo, v49, v100
	s_wait_alu 0xfffd
	s_delay_alu instid0(VALU_DEP_2) | instskip(NEXT) | instid1(VALU_DEP_1)
	v_add_co_ci_u32_e64 v50, null, 0, v50, vcc_lo
	v_lshlrev_b64_e32 v[49:50], 1, v[49:50]
	s_delay_alu instid0(VALU_DEP_1) | instskip(SKIP_1) | instid1(VALU_DEP_2)
	v_add_co_u32 v49, vcc_lo, s38, v49
	s_wait_alu 0xfffd
	v_add_co_ci_u32_e64 v50, null, s39, v50, vcc_lo
	global_load_u16 v49, v[49:50], off offset:64
	s_wait_loadcnt 0x0
	v_cvt_f32_f16_e32 v49, v49
	s_delay_alu instid0(VALU_DEP_1)
	v_mul_f32_e32 v49, v108, v49
	s_branch .LBB52_218
.LBB52_217:
	v_mov_b32_e32 v49, 0
.LBB52_218:
	s_delay_alu instid0(VALU_DEP_1) | instskip(SKIP_1) | instid1(VALU_DEP_2)
	v_add_f32_e32 v144, v144, v49
	v_max_num_f32_e32 v13, v13, v13
	v_add_f32_e32 v49, 0x40051340, v144
	s_delay_alu instid0(VALU_DEP_1)
	v_max_num_f32_e32 v13, v13, v49
.LBB52_219:
	s_wait_alu 0xfffe
	s_or_b32 exec_lo, exec_lo, s11
	ds_bpermute_b32 v49, v126, v13
	v_max_num_f32_e32 v13, v13, v13
	v_or_b32_e32 v72, 14, v104
	s_delay_alu instid0(VALU_DEP_1) | instskip(SKIP_2) | instid1(VALU_DEP_1)
	v_mul_hi_u32 v50, s20, v72
	s_wait_dscnt 0x0
	v_max_num_f32_e32 v49, v49, v49
	v_max_num_f32_e32 v13, v13, v49
	ds_bpermute_b32 v49, v166, v13
	s_wait_dscnt 0x0
	v_max_num_f32_e32 v49, v49, v49
	s_delay_alu instid0(VALU_DEP_1) | instskip(SKIP_3) | instid1(VALU_DEP_1)
	v_max_num_f32_e32 v13, v13, v49
	ds_bpermute_b32 v49, v167, v13
	s_wait_dscnt 0x0
	v_max_num_f32_e32 v49, v49, v49
	v_max_num_f32_e32 v13, v13, v49
	ds_bpermute_b32 v49, v168, v13
	s_wait_dscnt 0x0
	v_max_num_f32_e32 v49, v49, v49
	s_delay_alu instid0(VALU_DEP_1) | instskip(SKIP_3) | instid1(VALU_DEP_1)
	v_max_num_f32_e32 v13, v13, v49
	v_add_nc_u32_e32 v49, v72, v50
	ds_bpermute_b32 v50, v169, v13
	v_lshrrev_b32_e32 v49, s21, v49
	v_mul_lo_u32 v49, v49, s22
	s_delay_alu instid0(VALU_DEP_1) | instskip(SKIP_2) | instid1(VALU_DEP_2)
	v_sub_nc_u32_e32 v49, v72, v49
	s_wait_dscnt 0x0
	v_max_num_f32_e32 v72, v50, v50
	v_mad_co_u64_u32 v[49:50], null, v49, s28, s[14:15]
	s_delay_alu instid0(VALU_DEP_2)
	v_max_num_f32_e32 v13, v13, v72
	s_and_saveexec_b32 s11, s6
	s_cbranch_execz .LBB52_224
; %bb.220:
	v_cmp_ne_u32_e32 vcc_lo, 1, v165
	s_cbranch_vccnz .LBB52_222
; %bb.221:
	s_delay_alu instid0(VALU_DEP_3) | instskip(NEXT) | instid1(VALU_DEP_1)
	v_add_nc_u32_e32 v72, v49, v100
	v_ashrrev_i32_e32 v73, 31, v72
	s_delay_alu instid0(VALU_DEP_1) | instskip(NEXT) | instid1(VALU_DEP_1)
	v_lshlrev_b64_e32 v[72:73], 1, v[72:73]
	v_add_co_u32 v72, vcc_lo, s38, v72
	s_wait_alu 0xfffd
	s_delay_alu instid0(VALU_DEP_2) | instskip(SKIP_3) | instid1(VALU_DEP_1)
	v_add_co_ci_u32_e64 v73, null, s39, v73, vcc_lo
	global_load_u16 v50, v[72:73], off
	s_wait_loadcnt 0x0
	v_cvt_f32_f16_e32 v50, v50
	v_mul_f32_e32 v50, v108, v50
	s_branch .LBB52_223
.LBB52_222:
	v_mov_b32_e32 v50, 0
.LBB52_223:
	s_delay_alu instid0(VALU_DEP_1) | instskip(SKIP_1) | instid1(VALU_DEP_2)
	v_add_f32_e32 v65, v65, v50
	v_max_num_f32_e32 v14, v14, v14
	v_add_f32_e32 v50, 0x40051340, v65
	s_delay_alu instid0(VALU_DEP_1)
	v_max_num_f32_e32 v14, v14, v50
.LBB52_224:
	s_wait_alu 0xfffe
	s_or_b32 exec_lo, exec_lo, s11
	s_and_saveexec_b32 s11, s7
	s_cbranch_execz .LBB52_229
; %bb.225:
	v_cmp_ne_u32_e32 vcc_lo, 1, v165
	s_cbranch_vccnz .LBB52_227
; %bb.226:
	v_ashrrev_i32_e32 v50, 31, v49
	v_add_co_u32 v49, vcc_lo, v49, v100
	s_wait_alu 0xfffd
	s_delay_alu instid0(VALU_DEP_2) | instskip(NEXT) | instid1(VALU_DEP_1)
	v_add_co_ci_u32_e64 v50, null, 0, v50, vcc_lo
	v_lshlrev_b64_e32 v[49:50], 1, v[49:50]
	s_delay_alu instid0(VALU_DEP_1) | instskip(SKIP_1) | instid1(VALU_DEP_2)
	v_add_co_u32 v49, vcc_lo, s38, v49
	s_wait_alu 0xfffd
	v_add_co_ci_u32_e64 v50, null, s39, v50, vcc_lo
	global_load_u16 v49, v[49:50], off offset:64
	s_wait_loadcnt 0x0
	v_cvt_f32_f16_e32 v49, v49
	s_delay_alu instid0(VALU_DEP_1)
	v_mul_f32_e32 v49, v108, v49
	s_branch .LBB52_228
.LBB52_227:
	v_mov_b32_e32 v49, 0
.LBB52_228:
	s_delay_alu instid0(VALU_DEP_1) | instskip(NEXT) | instid1(VALU_DEP_1)
	v_dual_add_f32 v71, v71, v49 :: v_dual_max_num_f32 v14, v14, v14
	v_add_f32_e32 v49, 0x40051340, v71
	s_delay_alu instid0(VALU_DEP_1)
	v_max_num_f32_e32 v14, v14, v49
.LBB52_229:
	s_wait_alu 0xfffe
	s_or_b32 exec_lo, exec_lo, s11
	ds_bpermute_b32 v49, v126, v14
	v_mul_hi_u32 v50, s20, v219
	s_wait_dscnt 0x0
	v_dual_max_num_f32 v14, v14, v14 :: v_dual_max_num_f32 v49, v49, v49
	s_delay_alu instid0(VALU_DEP_1) | instskip(SKIP_3) | instid1(VALU_DEP_1)
	v_max_num_f32_e32 v14, v14, v49
	ds_bpermute_b32 v49, v166, v14
	s_wait_dscnt 0x0
	v_max_num_f32_e32 v49, v49, v49
	v_max_num_f32_e32 v14, v14, v49
	ds_bpermute_b32 v49, v167, v14
	s_wait_dscnt 0x0
	v_max_num_f32_e32 v49, v49, v49
	s_delay_alu instid0(VALU_DEP_1) | instskip(SKIP_3) | instid1(VALU_DEP_1)
	v_max_num_f32_e32 v14, v14, v49
	ds_bpermute_b32 v49, v168, v14
	s_wait_dscnt 0x0
	v_max_num_f32_e32 v49, v49, v49
	v_dual_max_num_f32 v14, v14, v49 :: v_dual_add_nc_u32 v49, v219, v50
	ds_bpermute_b32 v50, v169, v14
	v_lshrrev_b32_e32 v49, s21, v49
	s_delay_alu instid0(VALU_DEP_1) | instskip(NEXT) | instid1(VALU_DEP_1)
	v_mul_lo_u32 v49, v49, s22
	v_sub_nc_u32_e32 v49, v219, v49
	s_wait_dscnt 0x0
	v_max_num_f32_e32 v72, v50, v50
	s_delay_alu instid0(VALU_DEP_2) | instskip(NEXT) | instid1(VALU_DEP_2)
	v_mad_co_u64_u32 v[49:50], null, v49, s28, s[14:15]
	v_max_num_f32_e32 v14, v14, v72
	s_and_saveexec_b32 s11, s6
	s_cbranch_execz .LBB52_234
; %bb.230:
	v_cmp_ne_u32_e32 vcc_lo, 1, v165
	s_cbranch_vccnz .LBB52_232
; %bb.231:
	s_delay_alu instid0(VALU_DEP_3) | instskip(NEXT) | instid1(VALU_DEP_1)
	v_add_nc_u32_e32 v72, v49, v100
	v_ashrrev_i32_e32 v73, 31, v72
	s_delay_alu instid0(VALU_DEP_1) | instskip(NEXT) | instid1(VALU_DEP_1)
	v_lshlrev_b64_e32 v[72:73], 1, v[72:73]
	v_add_co_u32 v72, vcc_lo, s38, v72
	s_wait_alu 0xfffd
	s_delay_alu instid0(VALU_DEP_2) | instskip(SKIP_3) | instid1(VALU_DEP_1)
	v_add_co_ci_u32_e64 v73, null, s39, v73, vcc_lo
	global_load_u16 v50, v[72:73], off
	s_wait_loadcnt 0x0
	v_cvt_f32_f16_e32 v50, v50
	v_mul_f32_e32 v50, v108, v50
	s_branch .LBB52_233
.LBB52_232:
	v_mov_b32_e32 v50, 0
.LBB52_233:
	s_delay_alu instid0(VALU_DEP_1) | instskip(NEXT) | instid1(VALU_DEP_1)
	v_dual_add_f32 v64, v64, v50 :: v_dual_max_num_f32 v15, v15, v15
	v_add_f32_e32 v50, 0x40051340, v64
	s_delay_alu instid0(VALU_DEP_1)
	v_max_num_f32_e32 v15, v15, v50
.LBB52_234:
	s_wait_alu 0xfffe
	s_or_b32 exec_lo, exec_lo, s11
	s_and_saveexec_b32 s6, s7
	s_cbranch_execz .LBB52_239
; %bb.235:
	v_cmp_ne_u32_e32 vcc_lo, 1, v165
	s_cbranch_vccnz .LBB52_237
; %bb.236:
	v_ashrrev_i32_e32 v50, 31, v49
	v_add_co_u32 v49, vcc_lo, v49, v100
	s_wait_alu 0xfffd
	s_delay_alu instid0(VALU_DEP_2) | instskip(NEXT) | instid1(VALU_DEP_1)
	v_add_co_ci_u32_e64 v50, null, 0, v50, vcc_lo
	v_lshlrev_b64_e32 v[49:50], 1, v[49:50]
	s_delay_alu instid0(VALU_DEP_1) | instskip(SKIP_1) | instid1(VALU_DEP_2)
	v_add_co_u32 v49, vcc_lo, s38, v49
	s_wait_alu 0xfffd
	v_add_co_ci_u32_e64 v50, null, s39, v50, vcc_lo
	global_load_u16 v49, v[49:50], off offset:64
	s_wait_loadcnt 0x0
	v_cvt_f32_f16_e32 v49, v49
	s_delay_alu instid0(VALU_DEP_1)
	v_mul_f32_e32 v49, v108, v49
	s_branch .LBB52_238
.LBB52_237:
	v_mov_b32_e32 v49, 0
.LBB52_238:
	s_delay_alu instid0(VALU_DEP_1) | instskip(SKIP_1) | instid1(VALU_DEP_2)
	v_add_f32_e32 v63, v63, v49
	v_max_num_f32_e32 v15, v15, v15
	v_add_f32_e32 v49, 0x40051340, v63
	s_delay_alu instid0(VALU_DEP_1)
	v_max_num_f32_e32 v15, v15, v49
.LBB52_239:
	s_wait_alu 0xfffe
	s_or_b32 exec_lo, exec_lo, s6
	ds_bpermute_b32 v49, v126, v15
	v_dual_max_num_f32 v15, v15, v15 :: v_dual_sub_f32 v32, v32, v0
	v_cmp_gt_u32_e32 vcc_lo, s9, v100
	v_sub_f32_e32 v23, v23, v7
	s_wait_loadcnt_dscnt 0x0
	s_barrier_signal -1
	v_cmp_ngt_f32_e64 s6, 0xc2ce8ed0, v32
	s_barrier_wait -1
	global_inv scope:SCOPE_SE
	v_sub_f32_e32 v25, v25, v9
	v_sub_f32_e32 v27, v27, v11
	;; [unrolled: 1-line block ×3, first 2 shown]
	s_ashr_i32 s11, s10, 31
	v_sub_f32_e32 v16, v16, v0
	v_sub_f32_e32 v18, v18, v2
	;; [unrolled: 1-line block ×5, first 2 shown]
	v_dual_sub_f32 v26, v26, v10 :: v_dual_max_num_f32 v49, v49, v49
	v_sub_f32_e32 v28, v28, v12
	s_delay_alu instid0(VALU_DEP_2) | instskip(SKIP_3) | instid1(VALU_DEP_1)
	v_dual_sub_f32 v30, v30, v14 :: v_dual_max_num_f32 v15, v15, v49
	ds_bpermute_b32 v49, v166, v15
	s_wait_dscnt 0x0
	v_max_num_f32_e32 v49, v49, v49
	v_max_num_f32_e32 v15, v15, v49
	ds_bpermute_b32 v49, v167, v15
	s_wait_dscnt 0x0
	v_max_num_f32_e32 v49, v49, v49
	s_delay_alu instid0(VALU_DEP_1) | instskip(SKIP_3) | instid1(VALU_DEP_1)
	v_max_num_f32_e32 v15, v15, v49
	ds_bpermute_b32 v49, v168, v15
	s_wait_dscnt 0x0
	v_max_num_f32_e32 v49, v49, v49
	v_max_num_f32_e32 v15, v15, v49
	ds_bpermute_b32 v49, v169, v15
	s_wait_dscnt 0x0
	v_max_num_f32_e32 v49, v49, v49
	s_delay_alu instid0(VALU_DEP_1) | instskip(SKIP_1) | instid1(VALU_DEP_1)
	v_max_num_f32_e32 v15, v15, v49
	v_mul_f32_e32 v49, 0x3fb8aa3b, v32
	v_fma_f32 v50, 0x3fb8aa3b, v32, -v49
	v_rndne_f32_e32 v72, v49
	s_delay_alu instid0(VALU_DEP_2) | instskip(NEXT) | instid1(VALU_DEP_2)
	v_fmac_f32_e32 v50, 0x32a5705f, v32
	v_sub_f32_e32 v49, v49, v72
	s_delay_alu instid0(VALU_DEP_1) | instskip(SKIP_1) | instid1(VALU_DEP_2)
	v_add_f32_e32 v49, v49, v50
	v_cvt_i32_f32_e32 v50, v72
	v_exp_f32_e32 v49, v49
	s_delay_alu instid0(TRANS32_DEP_1) | instskip(SKIP_1) | instid1(VALU_DEP_2)
	v_ldexp_f32 v49, v49, v50
	v_sub_f32_e32 v50, v164, v0
	v_cndmask_b32_e64 v49, 0, v49, s6
	s_delay_alu instid0(VALU_DEP_2) | instskip(SKIP_2) | instid1(VALU_DEP_3)
	v_mul_f32_e32 v72, 0x3fb8aa3b, v50
	v_cmp_ngt_f32_e64 s7, 0xc2ce8ed0, v50
	v_cmp_nlt_f32_e64 s6, 0x42b17218, v32
	v_fma_f32 v73, 0x3fb8aa3b, v50, -v72
	v_rndne_f32_e32 v74, v72
	s_wait_alu 0xf1ff
	s_delay_alu instid0(VALU_DEP_3)
	v_cndmask_b32_e64 v32, 0x7f800000, v49, s6
	v_cmp_gt_u32_e64 s6, s9, v123
	v_fmac_f32_e32 v73, 0x32a5705f, v50
	v_sub_f32_e32 v72, v72, v74
	s_wait_alu 0xfffd
	v_cndmask_b32_e32 v32, 0, v32, vcc_lo
	s_delay_alu instid0(VALU_DEP_2) | instskip(SKIP_1) | instid1(VALU_DEP_3)
	v_add_f32_e32 v72, v72, v73
	v_cvt_i32_f32_e32 v73, v74
	v_cvt_f16_f32_e32 v49, v32
	s_delay_alu instid0(VALU_DEP_3) | instskip(NEXT) | instid1(TRANS32_DEP_1)
	v_exp_f32_e32 v72, v72
	v_ldexp_f32 v72, v72, v73
	s_delay_alu instid0(VALU_DEP_1) | instskip(SKIP_2) | instid1(VALU_DEP_1)
	v_cndmask_b32_e64 v72, 0, v72, s7
	v_cmp_nlt_f32_e64 s7, 0x42b17218, v50
	s_wait_alu 0xf1ff
	v_cndmask_b32_e64 v50, 0x7f800000, v72, s7
	v_mul_f32_e32 v72, 0x3fb8aa3b, v16
	v_cmp_ngt_f32_e64 s7, 0xc2ce8ed0, v16
	s_delay_alu instid0(VALU_DEP_3) | instskip(NEXT) | instid1(VALU_DEP_3)
	v_cndmask_b32_e64 v50, 0, v50, s6
	v_fma_f32 v73, 0x3fb8aa3b, v16, -v72
	v_rndne_f32_e32 v74, v72
	s_delay_alu instid0(VALU_DEP_2) | instskip(NEXT) | instid1(VALU_DEP_2)
	v_dual_add_f32 v32, v32, v50 :: v_dual_fmac_f32 v73, 0x32a5705f, v16
	v_sub_f32_e32 v72, v72, v74
	v_cvt_f16_f32_e32 v50, v50
	s_delay_alu instid0(VALU_DEP_2) | instskip(SKIP_1) | instid1(VALU_DEP_2)
	v_add_f32_e32 v72, v72, v73
	v_cvt_i32_f32_e32 v73, v74
	v_exp_f32_e32 v72, v72
	s_delay_alu instid0(TRANS32_DEP_1) | instskip(SKIP_1) | instid1(VALU_DEP_1)
	v_ldexp_f32 v72, v72, v73
	s_wait_alu 0xf1ff
	v_cndmask_b32_e64 v72, 0, v72, s7
	v_cmp_nlt_f32_e64 s7, 0x42b17218, v16
	s_wait_alu 0xf1ff
	s_delay_alu instid0(VALU_DEP_1) | instskip(NEXT) | instid1(VALU_DEP_1)
	v_cndmask_b32_e64 v16, 0x7f800000, v72, s7
	v_fmac_f32_e32 v32, v33, v16
	v_sub_f32_e32 v33, v157, v1
	v_sub_f32_e32 v63, v63, v15
	v_cvt_f16_f32_e32 v16, v16
	s_delay_alu instid0(VALU_DEP_3) | instskip(SKIP_1) | instid1(VALU_DEP_3)
	v_mul_f32_e32 v72, 0x3fb8aa3b, v33
	v_cmp_ngt_f32_e64 s7, 0xc2ce8ed0, v33
	v_and_b32_e32 v16, 0xffff, v16
	s_delay_alu instid0(VALU_DEP_3) | instskip(SKIP_1) | instid1(VALU_DEP_3)
	v_fma_f32 v73, 0x3fb8aa3b, v33, -v72
	v_rndne_f32_e32 v74, v72
	v_mul_u32_u24_e32 v16, 0x10001, v16
	s_delay_alu instid0(VALU_DEP_2) | instskip(NEXT) | instid1(VALU_DEP_2)
	v_dual_fmac_f32 v73, 0x32a5705f, v33 :: v_dual_sub_f32 v72, v72, v74
	v_pk_mul_f16 v16, v142, v16
	s_delay_alu instid0(VALU_DEP_2) | instskip(SKIP_1) | instid1(VALU_DEP_2)
	v_add_f32_e32 v72, v72, v73
	v_cvt_i32_f32_e32 v73, v74
	v_exp_f32_e32 v72, v72
	s_delay_alu instid0(TRANS32_DEP_1) | instskip(SKIP_2) | instid1(VALU_DEP_2)
	v_ldexp_f32 v72, v72, v73
	v_sub_f32_e32 v73, v163, v1
	s_wait_alu 0xf1ff
	v_cndmask_b32_e64 v72, 0, v72, s7
	s_delay_alu instid0(VALU_DEP_2) | instskip(SKIP_1) | instid1(VALU_DEP_2)
	v_mul_f32_e32 v74, 0x3fb8aa3b, v73
	v_cmp_nlt_f32_e64 s7, 0x42b17218, v33
	v_fma_f32 v75, 0x3fb8aa3b, v73, -v74
	v_rndne_f32_e32 v76, v74
	s_wait_alu 0xf1ff
	s_delay_alu instid0(VALU_DEP_3) | instskip(SKIP_1) | instid1(VALU_DEP_3)
	v_cndmask_b32_e64 v33, 0x7f800000, v72, s7
	v_cmp_ngt_f32_e64 s7, 0xc2ce8ed0, v73
	v_dual_fmac_f32 v75, 0x32a5705f, v73 :: v_dual_sub_f32 v74, v74, v76
	v_sub_f32_e32 v17, v17, v1
	s_delay_alu instid0(VALU_DEP_2) | instskip(SKIP_1) | instid1(VALU_DEP_2)
	v_dual_cndmask_b32 v33, 0, v33 :: v_dual_add_f32 v74, v74, v75
	v_cvt_i32_f32_e32 v75, v76
	v_cvt_f16_f32_e32 v72, v33
	s_delay_alu instid0(VALU_DEP_3) | instskip(NEXT) | instid1(VALU_DEP_1)
	v_exp_f32_e32 v74, v74
	v_pack_b32_f16 v72, v49, v72
	v_lshl_add_u32 v49, v123, 4, v109
	s_delay_alu instid0(TRANS32_DEP_1) | instskip(SKIP_1) | instid1(VALU_DEP_1)
	v_ldexp_f32 v74, v74, v75
	s_wait_alu 0xf1ff
	v_cndmask_b32_e64 v74, 0, v74, s7
	v_cmp_nlt_f32_e64 s7, 0x42b17218, v73
	s_wait_alu 0xf1ff
	s_delay_alu instid0(VALU_DEP_1) | instskip(SKIP_1) | instid1(VALU_DEP_2)
	v_cndmask_b32_e64 v73, 0x7f800000, v74, s7
	v_cmp_ngt_f32_e64 s7, 0xc2ce8ed0, v17
	v_cndmask_b32_e64 v73, 0, v73, s6
	s_delay_alu instid0(VALU_DEP_1) | instskip(SKIP_2) | instid1(VALU_DEP_1)
	v_add_f32_e32 v33, v33, v73
	v_cvt_f16_f32_e32 v76, v73
	v_mul_f32_e32 v73, 0x3fb8aa3b, v17
	v_fma_f32 v74, 0x3fb8aa3b, v17, -v73
	v_rndne_f32_e32 v75, v73
	s_delay_alu instid0(VALU_DEP_1) | instskip(NEXT) | instid1(VALU_DEP_1)
	v_dual_fmac_f32 v74, 0x32a5705f, v17 :: v_dual_sub_f32 v73, v73, v75
	v_add_f32_e32 v73, v73, v74
	v_cvt_i32_f32_e32 v74, v75
	s_delay_alu instid0(VALU_DEP_2) | instskip(NEXT) | instid1(TRANS32_DEP_1)
	v_exp_f32_e32 v73, v73
	v_ldexp_f32 v73, v73, v74
	s_wait_alu 0xf1ff
	s_delay_alu instid0(VALU_DEP_1) | instskip(SKIP_2) | instid1(VALU_DEP_1)
	v_cndmask_b32_e64 v73, 0, v73, s7
	v_cmp_nlt_f32_e64 s7, 0x42b17218, v17
	s_wait_alu 0xf1ff
	v_cndmask_b32_e64 v17, 0x7f800000, v73, s7
	s_delay_alu instid0(VALU_DEP_1) | instskip(SKIP_1) | instid1(VALU_DEP_2)
	v_dual_fmac_f32 v33, v34, v17 :: v_dual_sub_f32 v34, v155, v2
	v_cvt_f16_f32_e32 v17, v17
	v_mul_f32_e32 v73, 0x3fb8aa3b, v34
	v_cmp_ngt_f32_e64 s7, 0xc2ce8ed0, v34
	s_delay_alu instid0(VALU_DEP_2) | instskip(SKIP_1) | instid1(VALU_DEP_1)
	v_fma_f32 v74, 0x3fb8aa3b, v34, -v73
	v_rndne_f32_e32 v75, v73
	v_dual_fmac_f32 v74, 0x32a5705f, v34 :: v_dual_sub_f32 v73, v73, v75
	s_delay_alu instid0(VALU_DEP_1) | instskip(SKIP_1) | instid1(VALU_DEP_2)
	v_add_f32_e32 v73, v73, v74
	v_cvt_i32_f32_e32 v74, v75
	v_exp_f32_e32 v73, v73
	s_delay_alu instid0(TRANS32_DEP_1) | instskip(SKIP_2) | instid1(VALU_DEP_2)
	v_ldexp_f32 v73, v73, v74
	v_sub_f32_e32 v74, v162, v2
	s_wait_alu 0xf1ff
	v_cndmask_b32_e64 v73, 0, v73, s7
	s_delay_alu instid0(VALU_DEP_2) | instskip(SKIP_1) | instid1(VALU_DEP_2)
	v_mul_f32_e32 v75, 0x3fb8aa3b, v74
	v_cmp_nlt_f32_e64 s7, 0x42b17218, v34
	v_fma_f32 v77, 0x3fb8aa3b, v74, -v75
	v_rndne_f32_e32 v78, v75
	s_wait_alu 0xf1ff
	s_delay_alu instid0(VALU_DEP_3) | instskip(SKIP_3) | instid1(VALU_DEP_1)
	v_cndmask_b32_e64 v34, 0x7f800000, v73, s7
	v_cmp_ngt_f32_e64 s7, 0xc2ce8ed0, v74
	v_fmac_f32_e32 v77, 0x32a5705f, v74
	v_sub_f32_e32 v75, v75, v78
	v_dual_cndmask_b32 v34, 0, v34 :: v_dual_add_f32 v75, v75, v77
	v_cvt_i32_f32_e32 v77, v78
	s_delay_alu instid0(VALU_DEP_2) | instskip(NEXT) | instid1(VALU_DEP_3)
	v_cvt_f16_f32_e32 v73, v34
	v_exp_f32_e32 v75, v75
	s_delay_alu instid0(TRANS32_DEP_1) | instskip(SKIP_1) | instid1(VALU_DEP_1)
	v_ldexp_f32 v75, v75, v77
	s_wait_alu 0xf1ff
	v_cndmask_b32_e64 v75, 0, v75, s7
	v_cmp_nlt_f32_e64 s7, 0x42b17218, v74
	s_wait_alu 0xf1ff
	s_delay_alu instid0(VALU_DEP_1) | instskip(SKIP_1) | instid1(VALU_DEP_2)
	v_cndmask_b32_e64 v74, 0x7f800000, v75, s7
	v_cmp_ngt_f32_e64 s7, 0xc2ce8ed0, v18
	v_cndmask_b32_e64 v74, 0, v74, s6
	s_delay_alu instid0(VALU_DEP_1) | instskip(SKIP_2) | instid1(VALU_DEP_1)
	v_add_f32_e32 v34, v34, v74
	v_cvt_f16_f32_e32 v77, v74
	v_mul_f32_e32 v74, 0x3fb8aa3b, v18
	v_fma_f32 v75, 0x3fb8aa3b, v18, -v74
	v_rndne_f32_e32 v78, v74
	v_and_b32_e32 v17, 0xffff, v17
	s_delay_alu instid0(VALU_DEP_3) | instskip(NEXT) | instid1(VALU_DEP_3)
	v_fmac_f32_e32 v75, 0x32a5705f, v18
	v_sub_f32_e32 v74, v74, v78
	s_delay_alu instid0(VALU_DEP_3) | instskip(NEXT) | instid1(VALU_DEP_2)
	v_mul_u32_u24_e32 v17, 0x10001, v17
	v_add_f32_e32 v74, v74, v75
	v_cvt_i32_f32_e32 v75, v78
	s_delay_alu instid0(VALU_DEP_3) | instskip(NEXT) | instid1(VALU_DEP_3)
	v_pk_mul_f16 v17, v141, v17
	v_exp_f32_e32 v74, v74
	s_delay_alu instid0(TRANS32_DEP_1) | instskip(SKIP_1) | instid1(VALU_DEP_1)
	v_ldexp_f32 v74, v74, v75
	s_wait_alu 0xf1ff
	v_cndmask_b32_e64 v74, 0, v74, s7
	v_cmp_nlt_f32_e64 s7, 0x42b17218, v18
	s_wait_alu 0xf1ff
	s_delay_alu instid0(VALU_DEP_1) | instskip(NEXT) | instid1(VALU_DEP_1)
	v_cndmask_b32_e64 v18, 0x7f800000, v74, s7
	v_dual_fmac_f32 v34, v35, v18 :: v_dual_sub_f32 v35, v153, v3
	v_cvt_f16_f32_e32 v18, v18
	s_delay_alu instid0(VALU_DEP_2) | instskip(SKIP_1) | instid1(VALU_DEP_3)
	v_mul_f32_e32 v74, 0x3fb8aa3b, v35
	v_cmp_ngt_f32_e64 s7, 0xc2ce8ed0, v35
	v_and_b32_e32 v18, 0xffff, v18
	s_delay_alu instid0(VALU_DEP_3) | instskip(SKIP_2) | instid1(VALU_DEP_4)
	v_fma_f32 v75, 0x3fb8aa3b, v35, -v74
	v_rndne_f32_e32 v78, v74
	v_sub_f32_e32 v19, v19, v3
	v_mul_u32_u24_e32 v18, 0x10001, v18
	s_delay_alu instid0(VALU_DEP_3) | instskip(NEXT) | instid1(VALU_DEP_2)
	v_dual_fmac_f32 v75, 0x32a5705f, v35 :: v_dual_sub_f32 v74, v74, v78
	v_pk_mul_f16 v18, v140, v18
	s_delay_alu instid0(VALU_DEP_2) | instskip(SKIP_1) | instid1(VALU_DEP_2)
	v_add_f32_e32 v74, v74, v75
	v_cvt_i32_f32_e32 v75, v78
	v_exp_f32_e32 v74, v74
	s_delay_alu instid0(TRANS32_DEP_1) | instskip(SKIP_1) | instid1(VALU_DEP_1)
	v_ldexp_f32 v74, v74, v75
	s_wait_alu 0xf1ff
	v_cndmask_b32_e64 v74, 0, v74, s7
	v_cmp_nlt_f32_e64 s7, 0x42b17218, v35
	s_wait_alu 0xf1ff
	s_delay_alu instid0(VALU_DEP_1) | instskip(SKIP_1) | instid1(VALU_DEP_2)
	v_cndmask_b32_e64 v35, 0x7f800000, v74, s7
	v_sub_f32_e32 v74, v161, v3
	v_cndmask_b32_e32 v35, 0, v35, vcc_lo
	s_delay_alu instid0(VALU_DEP_2) | instskip(SKIP_1) | instid1(VALU_DEP_3)
	v_mul_f32_e32 v75, 0x3fb8aa3b, v74
	v_cmp_ngt_f32_e64 s7, 0xc2ce8ed0, v74
	v_cvt_f16_f32_e32 v78, v35
	s_delay_alu instid0(VALU_DEP_3) | instskip(SKIP_1) | instid1(VALU_DEP_3)
	v_fma_f32 v79, 0x3fb8aa3b, v74, -v75
	v_rndne_f32_e32 v80, v75
	v_pack_b32_f16 v73, v73, v78
	s_delay_alu instid0(VALU_DEP_3) | instskip(NEXT) | instid1(VALU_DEP_3)
	v_fmac_f32_e32 v79, 0x32a5705f, v74
	v_sub_f32_e32 v75, v75, v80
	s_delay_alu instid0(VALU_DEP_1) | instskip(SKIP_1) | instid1(VALU_DEP_2)
	v_add_f32_e32 v75, v75, v79
	v_cvt_i32_f32_e32 v79, v80
	v_exp_f32_e32 v75, v75
	s_delay_alu instid0(TRANS32_DEP_1) | instskip(SKIP_1) | instid1(VALU_DEP_1)
	v_ldexp_f32 v75, v75, v79
	s_wait_alu 0xf1ff
	v_cndmask_b32_e64 v75, 0, v75, s7
	v_cmp_nlt_f32_e64 s7, 0x42b17218, v74
	s_wait_alu 0xf1ff
	s_delay_alu instid0(VALU_DEP_1) | instskip(SKIP_1) | instid1(VALU_DEP_2)
	v_cndmask_b32_e64 v74, 0x7f800000, v75, s7
	v_cmp_ngt_f32_e64 s7, 0xc2ce8ed0, v19
	v_cndmask_b32_e64 v74, 0, v74, s6
	s_delay_alu instid0(VALU_DEP_1) | instskip(SKIP_2) | instid1(VALU_DEP_1)
	v_add_f32_e32 v35, v35, v74
	v_cvt_f16_f32_e32 v79, v74
	v_mul_f32_e32 v74, 0x3fb8aa3b, v19
	v_fma_f32 v75, 0x3fb8aa3b, v19, -v74
	v_rndne_f32_e32 v80, v74
	s_delay_alu instid0(VALU_DEP_1) | instskip(NEXT) | instid1(VALU_DEP_1)
	v_dual_fmac_f32 v75, 0x32a5705f, v19 :: v_dual_sub_f32 v74, v74, v80
	v_add_f32_e32 v74, v74, v75
	v_cvt_i32_f32_e32 v75, v80
	s_delay_alu instid0(VALU_DEP_2) | instskip(NEXT) | instid1(TRANS32_DEP_1)
	v_exp_f32_e32 v74, v74
	v_ldexp_f32 v74, v74, v75
	s_wait_alu 0xf1ff
	s_delay_alu instid0(VALU_DEP_1) | instskip(SKIP_2) | instid1(VALU_DEP_1)
	v_cndmask_b32_e64 v74, 0, v74, s7
	v_cmp_nlt_f32_e64 s7, 0x42b17218, v19
	s_wait_alu 0xf1ff
	v_cndmask_b32_e64 v19, 0x7f800000, v74, s7
	s_delay_alu instid0(VALU_DEP_1) | instskip(SKIP_1) | instid1(VALU_DEP_2)
	v_dual_fmac_f32 v35, v36, v19 :: v_dual_sub_f32 v36, v151, v4
	v_cvt_f16_f32_e32 v19, v19
	v_mul_f32_e32 v74, 0x3fb8aa3b, v36
	v_cmp_ngt_f32_e64 s7, 0xc2ce8ed0, v36
	s_delay_alu instid0(VALU_DEP_2) | instskip(SKIP_1) | instid1(VALU_DEP_2)
	v_fma_f32 v75, 0x3fb8aa3b, v36, -v74
	v_rndne_f32_e32 v80, v74
	v_fmac_f32_e32 v75, 0x32a5705f, v36
	s_delay_alu instid0(VALU_DEP_2) | instskip(NEXT) | instid1(VALU_DEP_1)
	v_sub_f32_e32 v74, v74, v80
	v_add_f32_e32 v74, v74, v75
	v_cvt_i32_f32_e32 v75, v80
	s_delay_alu instid0(VALU_DEP_2) | instskip(NEXT) | instid1(TRANS32_DEP_1)
	v_exp_f32_e32 v74, v74
	v_ldexp_f32 v74, v74, v75
	v_sub_f32_e32 v75, v160, v4
	s_wait_alu 0xf1ff
	s_delay_alu instid0(VALU_DEP_2) | instskip(NEXT) | instid1(VALU_DEP_2)
	v_cndmask_b32_e64 v74, 0, v74, s7
	v_mul_f32_e32 v80, 0x3fb8aa3b, v75
	v_cmp_nlt_f32_e64 s7, 0x42b17218, v36
	s_delay_alu instid0(VALU_DEP_2) | instskip(SKIP_2) | instid1(VALU_DEP_3)
	v_fma_f32 v81, 0x3fb8aa3b, v75, -v80
	v_rndne_f32_e32 v82, v80
	s_wait_alu 0xf1ff
	v_cndmask_b32_e64 v36, 0x7f800000, v74, s7
	v_cmp_ngt_f32_e64 s7, 0xc2ce8ed0, v75
	s_delay_alu instid0(VALU_DEP_3) | instskip(NEXT) | instid1(VALU_DEP_3)
	v_dual_fmac_f32 v81, 0x32a5705f, v75 :: v_dual_sub_f32 v80, v80, v82
	v_dual_cndmask_b32 v36, 0, v36 :: v_dual_and_b32 v19, 0xffff, v19
	s_delay_alu instid0(VALU_DEP_2) | instskip(SKIP_1) | instid1(VALU_DEP_3)
	v_add_f32_e32 v80, v80, v81
	v_cvt_i32_f32_e32 v81, v82
	v_cvt_f16_f32_e32 v74, v36
	s_delay_alu instid0(VALU_DEP_4) | instskip(NEXT) | instid1(VALU_DEP_4)
	v_mul_u32_u24_e32 v19, 0x10001, v19
	v_exp_f32_e32 v80, v80
	s_delay_alu instid0(VALU_DEP_1) | instskip(NEXT) | instid1(TRANS32_DEP_1)
	v_pk_mul_f16 v19, v139, v19
	v_ldexp_f32 v80, v80, v81
	s_wait_alu 0xf1ff
	s_delay_alu instid0(VALU_DEP_1) | instskip(SKIP_2) | instid1(VALU_DEP_1)
	v_cndmask_b32_e64 v80, 0, v80, s7
	v_cmp_nlt_f32_e64 s7, 0x42b17218, v75
	s_wait_alu 0xf1ff
	v_cndmask_b32_e64 v75, 0x7f800000, v80, s7
	v_cmp_ngt_f32_e64 s7, 0xc2ce8ed0, v20
	s_delay_alu instid0(VALU_DEP_2) | instskip(NEXT) | instid1(VALU_DEP_1)
	v_cndmask_b32_e64 v75, 0, v75, s6
	v_add_f32_e32 v36, v36, v75
	v_cvt_f16_f32_e32 v80, v75
	v_mul_f32_e32 v75, 0x3fb8aa3b, v20
	s_delay_alu instid0(VALU_DEP_1) | instskip(SKIP_1) | instid1(VALU_DEP_2)
	v_fma_f32 v81, 0x3fb8aa3b, v20, -v75
	v_rndne_f32_e32 v82, v75
	v_fmac_f32_e32 v81, 0x32a5705f, v20
	s_delay_alu instid0(VALU_DEP_2) | instskip(NEXT) | instid1(VALU_DEP_1)
	v_sub_f32_e32 v75, v75, v82
	v_add_f32_e32 v75, v75, v81
	v_cvt_i32_f32_e32 v81, v82
	s_delay_alu instid0(VALU_DEP_2) | instskip(NEXT) | instid1(TRANS32_DEP_1)
	v_exp_f32_e32 v75, v75
	v_ldexp_f32 v75, v75, v81
	s_wait_alu 0xf1ff
	s_delay_alu instid0(VALU_DEP_1) | instskip(SKIP_2) | instid1(VALU_DEP_1)
	v_cndmask_b32_e64 v75, 0, v75, s7
	v_cmp_nlt_f32_e64 s7, 0x42b17218, v20
	s_wait_alu 0xf1ff
	v_cndmask_b32_e64 v20, 0x7f800000, v75, s7
	s_delay_alu instid0(VALU_DEP_1) | instskip(SKIP_2) | instid1(VALU_DEP_2)
	v_fmac_f32_e32 v36, v37, v20
	v_sub_f32_e32 v37, v149, v5
	v_cvt_f16_f32_e32 v20, v20
	v_mul_f32_e32 v75, 0x3fb8aa3b, v37
	v_cmp_ngt_f32_e64 s7, 0xc2ce8ed0, v37
	s_delay_alu instid0(VALU_DEP_3) | instskip(NEXT) | instid1(VALU_DEP_3)
	v_and_b32_e32 v20, 0xffff, v20
	v_fma_f32 v81, 0x3fb8aa3b, v37, -v75
	v_rndne_f32_e32 v82, v75
	s_delay_alu instid0(VALU_DEP_3) | instskip(NEXT) | instid1(VALU_DEP_3)
	v_mul_u32_u24_e32 v20, 0x10001, v20
	v_fmac_f32_e32 v81, 0x32a5705f, v37
	s_delay_alu instid0(VALU_DEP_3) | instskip(NEXT) | instid1(VALU_DEP_3)
	v_sub_f32_e32 v75, v75, v82
	v_pk_mul_f16 v20, v138, v20
	s_delay_alu instid0(VALU_DEP_2) | instskip(SKIP_1) | instid1(VALU_DEP_2)
	v_add_f32_e32 v75, v75, v81
	v_cvt_i32_f32_e32 v81, v82
	v_exp_f32_e32 v75, v75
	s_delay_alu instid0(TRANS32_DEP_1) | instskip(SKIP_1) | instid1(VALU_DEP_1)
	v_ldexp_f32 v75, v75, v81
	s_wait_alu 0xf1ff
	v_cndmask_b32_e64 v75, 0, v75, s7
	v_cmp_nlt_f32_e64 s7, 0x42b17218, v37
	s_wait_alu 0xf1ff
	s_delay_alu instid0(VALU_DEP_1) | instskip(SKIP_2) | instid1(VALU_DEP_2)
	v_cndmask_b32_e64 v37, 0x7f800000, v75, s7
	v_sub_f32_e32 v75, v159, v5
	v_sub_f32_e32 v21, v21, v5
	v_dual_cndmask_b32 v37, 0, v37 :: v_dual_mul_f32 v82, 0x3fb8aa3b, v75
	v_cmp_ngt_f32_e64 s7, 0xc2ce8ed0, v75
	s_delay_alu instid0(VALU_DEP_2) | instskip(NEXT) | instid1(VALU_DEP_3)
	v_cvt_f16_f32_e32 v81, v37
	v_fma_f32 v83, 0x3fb8aa3b, v75, -v82
	v_rndne_f32_e32 v84, v82
	s_delay_alu instid0(VALU_DEP_3) | instskip(NEXT) | instid1(VALU_DEP_2)
	v_pack_b32_f16 v74, v74, v81
	v_dual_fmac_f32 v83, 0x32a5705f, v75 :: v_dual_sub_f32 v82, v82, v84
	s_delay_alu instid0(VALU_DEP_1) | instskip(SKIP_1) | instid1(VALU_DEP_2)
	v_add_f32_e32 v82, v82, v83
	v_cvt_i32_f32_e32 v83, v84
	v_exp_f32_e32 v82, v82
	s_delay_alu instid0(TRANS32_DEP_1) | instskip(SKIP_1) | instid1(VALU_DEP_1)
	v_ldexp_f32 v82, v82, v83
	s_wait_alu 0xf1ff
	v_cndmask_b32_e64 v82, 0, v82, s7
	v_cmp_nlt_f32_e64 s7, 0x42b17218, v75
	s_wait_alu 0xf1ff
	s_delay_alu instid0(VALU_DEP_1) | instskip(SKIP_1) | instid1(VALU_DEP_2)
	v_cndmask_b32_e64 v75, 0x7f800000, v82, s7
	v_cmp_ngt_f32_e64 s7, 0xc2ce8ed0, v21
	v_cndmask_b32_e64 v75, 0, v75, s6
	s_delay_alu instid0(VALU_DEP_1) | instskip(SKIP_2) | instid1(VALU_DEP_1)
	v_add_f32_e32 v37, v37, v75
	v_cvt_f16_f32_e32 v82, v75
	v_mul_f32_e32 v75, 0x3fb8aa3b, v21
	v_fma_f32 v83, 0x3fb8aa3b, v21, -v75
	v_rndne_f32_e32 v84, v75
	s_delay_alu instid0(VALU_DEP_2) | instskip(NEXT) | instid1(VALU_DEP_2)
	v_fmac_f32_e32 v83, 0x32a5705f, v21
	v_sub_f32_e32 v75, v75, v84
	s_delay_alu instid0(VALU_DEP_1) | instskip(SKIP_1) | instid1(VALU_DEP_2)
	v_add_f32_e32 v75, v75, v83
	v_cvt_i32_f32_e32 v83, v84
	v_exp_f32_e32 v75, v75
	s_delay_alu instid0(TRANS32_DEP_1) | instskip(SKIP_1) | instid1(VALU_DEP_1)
	v_ldexp_f32 v75, v75, v83
	s_wait_alu 0xf1ff
	v_cndmask_b32_e64 v75, 0, v75, s7
	v_cmp_nlt_f32_e64 s7, 0x42b17218, v21
	s_wait_alu 0xf1ff
	s_delay_alu instid0(VALU_DEP_1) | instskip(NEXT) | instid1(VALU_DEP_1)
	v_cndmask_b32_e64 v21, 0x7f800000, v75, s7
	v_dual_fmac_f32 v37, v38, v21 :: v_dual_sub_f32 v38, v148, v6
	v_cvt_f16_f32_e32 v21, v21
	s_delay_alu instid0(VALU_DEP_2) | instskip(SKIP_1) | instid1(VALU_DEP_2)
	v_mul_f32_e32 v75, 0x3fb8aa3b, v38
	v_cmp_ngt_f32_e64 s7, 0xc2ce8ed0, v38
	v_fma_f32 v83, 0x3fb8aa3b, v38, -v75
	v_rndne_f32_e32 v84, v75
	s_delay_alu instid0(VALU_DEP_2) | instskip(NEXT) | instid1(VALU_DEP_2)
	v_fmac_f32_e32 v83, 0x32a5705f, v38
	v_sub_f32_e32 v75, v75, v84
	s_delay_alu instid0(VALU_DEP_1) | instskip(SKIP_1) | instid1(VALU_DEP_2)
	v_add_f32_e32 v75, v75, v83
	v_cvt_i32_f32_e32 v83, v84
	v_exp_f32_e32 v75, v75
	s_delay_alu instid0(TRANS32_DEP_1) | instskip(SKIP_2) | instid1(VALU_DEP_2)
	v_ldexp_f32 v75, v75, v83
	v_sub_f32_e32 v83, v158, v6
	s_wait_alu 0xf1ff
	v_cndmask_b32_e64 v75, 0, v75, s7
	s_delay_alu instid0(VALU_DEP_2) | instskip(SKIP_1) | instid1(VALU_DEP_2)
	v_mul_f32_e32 v84, 0x3fb8aa3b, v83
	v_cmp_nlt_f32_e64 s7, 0x42b17218, v38
	v_fma_f32 v85, 0x3fb8aa3b, v83, -v84
	v_rndne_f32_e32 v86, v84
	s_wait_alu 0xf1ff
	s_delay_alu instid0(VALU_DEP_3) | instskip(SKIP_1) | instid1(VALU_DEP_3)
	v_cndmask_b32_e64 v38, 0x7f800000, v75, s7
	v_cmp_ngt_f32_e64 s7, 0xc2ce8ed0, v83
	v_dual_fmac_f32 v85, 0x32a5705f, v83 :: v_dual_sub_f32 v84, v84, v86
	s_delay_alu instid0(VALU_DEP_3) | instskip(NEXT) | instid1(VALU_DEP_2)
	v_cndmask_b32_e32 v38, 0, v38, vcc_lo
	v_add_f32_e32 v84, v84, v85
	v_cvt_i32_f32_e32 v85, v86
	s_delay_alu instid0(VALU_DEP_3) | instskip(NEXT) | instid1(VALU_DEP_3)
	v_cvt_f16_f32_e32 v75, v38
	v_exp_f32_e32 v84, v84
	s_delay_alu instid0(TRANS32_DEP_1) | instskip(SKIP_1) | instid1(VALU_DEP_1)
	v_ldexp_f32 v84, v84, v85
	s_wait_alu 0xf1ff
	v_cndmask_b32_e64 v84, 0, v84, s7
	v_cmp_nlt_f32_e64 s7, 0x42b17218, v83
	s_wait_alu 0xf1ff
	s_delay_alu instid0(VALU_DEP_1) | instskip(SKIP_2) | instid1(VALU_DEP_3)
	v_cndmask_b32_e64 v83, 0x7f800000, v84, s7
	v_mul_f32_e32 v84, 0x3fb8aa3b, v22
	v_cmp_ngt_f32_e64 s7, 0xc2ce8ed0, v22
	v_cndmask_b32_e64 v83, 0, v83, s6
	s_delay_alu instid0(VALU_DEP_3) | instskip(SKIP_1) | instid1(VALU_DEP_2)
	v_fma_f32 v85, 0x3fb8aa3b, v22, -v84
	v_rndne_f32_e32 v86, v84
	v_dual_add_f32 v38, v38, v83 :: v_dual_fmac_f32 v85, 0x32a5705f, v22
	s_delay_alu instid0(VALU_DEP_2) | instskip(SKIP_1) | instid1(VALU_DEP_2)
	v_sub_f32_e32 v84, v84, v86
	v_cvt_f16_f32_e32 v83, v83
	v_add_f32_e32 v84, v84, v85
	v_cvt_i32_f32_e32 v85, v86
	s_delay_alu instid0(VALU_DEP_2) | instskip(NEXT) | instid1(TRANS32_DEP_1)
	v_exp_f32_e32 v84, v84
	v_ldexp_f32 v84, v84, v85
	s_wait_alu 0xf1ff
	s_delay_alu instid0(VALU_DEP_1) | instskip(SKIP_2) | instid1(VALU_DEP_1)
	v_cndmask_b32_e64 v84, 0, v84, s7
	v_cmp_nlt_f32_e64 s7, 0x42b17218, v22
	s_wait_alu 0xf1ff
	v_cndmask_b32_e64 v22, 0x7f800000, v84, s7
	s_delay_alu instid0(VALU_DEP_1) | instskip(SKIP_1) | instid1(VALU_DEP_2)
	v_dual_fmac_f32 v38, v39, v22 :: v_dual_sub_f32 v39, v145, v7
	v_cvt_f16_f32_e32 v22, v22
	v_mul_f32_e32 v84, 0x3fb8aa3b, v39
	v_cmp_ngt_f32_e64 s7, 0xc2ce8ed0, v39
	s_delay_alu instid0(VALU_DEP_3) | instskip(NEXT) | instid1(VALU_DEP_3)
	v_and_b32_e32 v22, 0xffff, v22
	v_fma_f32 v85, 0x3fb8aa3b, v39, -v84
	v_rndne_f32_e32 v86, v84
	s_delay_alu instid0(VALU_DEP_3) | instskip(NEXT) | instid1(VALU_DEP_2)
	v_mul_u32_u24_e32 v22, 0x10001, v22
	v_dual_fmac_f32 v85, 0x32a5705f, v39 :: v_dual_sub_f32 v84, v84, v86
	s_delay_alu instid0(VALU_DEP_2) | instskip(NEXT) | instid1(VALU_DEP_2)
	v_pk_mul_f16 v22, v136, v22
	v_add_f32_e32 v84, v84, v85
	v_cvt_i32_f32_e32 v85, v86
	s_delay_alu instid0(VALU_DEP_2) | instskip(NEXT) | instid1(TRANS32_DEP_1)
	v_exp_f32_e32 v84, v84
	v_ldexp_f32 v84, v84, v85
	v_sub_f32_e32 v85, v156, v7
	s_wait_alu 0xf1ff
	s_delay_alu instid0(VALU_DEP_2) | instskip(NEXT) | instid1(VALU_DEP_2)
	v_cndmask_b32_e64 v84, 0, v84, s7
	v_mul_f32_e32 v86, 0x3fb8aa3b, v85
	v_cmp_nlt_f32_e64 s7, 0x42b17218, v39
	s_delay_alu instid0(VALU_DEP_2)
	v_fma_f32 v87, 0x3fb8aa3b, v85, -v86
	v_rndne_f32_e32 v88, v86
	v_and_b32_e32 v21, 0xffff, v21
	s_wait_alu 0xf1ff
	v_cndmask_b32_e64 v39, 0x7f800000, v84, s7
	v_cmp_ngt_f32_e64 s7, 0xc2ce8ed0, v85
	v_dual_fmac_f32 v87, 0x32a5705f, v85 :: v_dual_sub_f32 v86, v86, v88
	v_mul_u32_u24_e32 v21, 0x10001, v21
	s_delay_alu instid0(VALU_DEP_4) | instskip(NEXT) | instid1(VALU_DEP_3)
	v_cndmask_b32_e32 v39, 0, v39, vcc_lo
	v_add_f32_e32 v86, v86, v87
	v_cvt_i32_f32_e32 v87, v88
	s_delay_alu instid0(VALU_DEP_3) | instskip(SKIP_1) | instid1(VALU_DEP_4)
	v_cvt_f16_f32_e32 v84, v39
	v_pk_mul_f16 v21, v137, v21
	v_exp_f32_e32 v86, v86
	s_delay_alu instid0(VALU_DEP_2) | instskip(NEXT) | instid1(TRANS32_DEP_1)
	v_pack_b32_f16 v75, v75, v84
	v_ldexp_f32 v86, v86, v87
	s_wait_alu 0xf1ff
	s_delay_alu instid0(VALU_DEP_1) | instskip(SKIP_2) | instid1(VALU_DEP_1)
	v_cndmask_b32_e64 v86, 0, v86, s7
	v_cmp_nlt_f32_e64 s7, 0x42b17218, v85
	s_wait_alu 0xf1ff
	v_cndmask_b32_e64 v85, 0x7f800000, v86, s7
	v_mul_f32_e32 v86, 0x3fb8aa3b, v23
	v_cmp_ngt_f32_e64 s7, 0xc2ce8ed0, v23
	s_delay_alu instid0(VALU_DEP_3) | instskip(NEXT) | instid1(VALU_DEP_3)
	v_cndmask_b32_e64 v85, 0, v85, s6
	v_fma_f32 v87, 0x3fb8aa3b, v23, -v86
	v_rndne_f32_e32 v88, v86
	s_delay_alu instid0(VALU_DEP_3) | instskip(NEXT) | instid1(VALU_DEP_2)
	v_add_f32_e32 v39, v39, v85
	v_dual_fmac_f32 v87, 0x32a5705f, v23 :: v_dual_sub_f32 v86, v86, v88
	v_cvt_f16_f32_e32 v85, v85
	s_delay_alu instid0(VALU_DEP_2) | instskip(SKIP_1) | instid1(VALU_DEP_2)
	v_add_f32_e32 v86, v86, v87
	v_cvt_i32_f32_e32 v87, v88
	v_exp_f32_e32 v86, v86
	s_delay_alu instid0(TRANS32_DEP_1) | instskip(SKIP_1) | instid1(VALU_DEP_1)
	v_ldexp_f32 v86, v86, v87
	s_wait_alu 0xf1ff
	v_cndmask_b32_e64 v86, 0, v86, s7
	v_cmp_nlt_f32_e64 s7, 0x42b17218, v23
	s_wait_alu 0xf1ff
	s_delay_alu instid0(VALU_DEP_1) | instskip(SKIP_1) | instid1(VALU_DEP_2)
	v_cndmask_b32_e64 v23, 0x7f800000, v86, s7
	v_lshl_add_u32 v86, v100, 4, v109
	v_dual_fmac_f32 v39, v40, v23 :: v_dual_sub_f32 v40, v143, v8
	ds_store_b128 v86, v[72:75]
	v_pack_b32_f16 v75, v83, v85
	v_pack_b32_f16 v74, v80, v82
	;; [unrolled: 1-line block ×4, first 2 shown]
	v_mul_f32_e32 v50, 0x3fb8aa3b, v40
	v_cmp_ngt_f32_e64 s7, 0xc2ce8ed0, v40
	v_cvt_f16_f32_e32 v23, v23
	ds_store_b128 v49, v[72:75]
	v_fma_f32 v72, 0x3fb8aa3b, v40, -v50
	v_rndne_f32_e32 v73, v50
	s_delay_alu instid0(VALU_DEP_2) | instskip(NEXT) | instid1(VALU_DEP_2)
	v_fmac_f32_e32 v72, 0x32a5705f, v40
	v_sub_f32_e32 v50, v50, v73
	s_delay_alu instid0(VALU_DEP_1) | instskip(SKIP_1) | instid1(VALU_DEP_2)
	v_add_f32_e32 v50, v50, v72
	v_cvt_i32_f32_e32 v72, v73
	v_exp_f32_e32 v50, v50
	s_delay_alu instid0(TRANS32_DEP_1) | instskip(SKIP_2) | instid1(VALU_DEP_2)
	v_ldexp_f32 v50, v50, v72
	v_sub_f32_e32 v72, v154, v8
	s_wait_alu 0xf1ff
	v_cndmask_b32_e64 v50, 0, v50, s7
	s_delay_alu instid0(VALU_DEP_2) | instskip(SKIP_1) | instid1(VALU_DEP_2)
	v_mul_f32_e32 v73, 0x3fb8aa3b, v72
	v_cmp_nlt_f32_e64 s7, 0x42b17218, v40
	v_fma_f32 v74, 0x3fb8aa3b, v72, -v73
	v_rndne_f32_e32 v75, v73
	s_wait_alu 0xf1ff
	s_delay_alu instid0(VALU_DEP_3) | instskip(SKIP_1) | instid1(VALU_DEP_3)
	v_cndmask_b32_e64 v40, 0x7f800000, v50, s7
	v_cmp_ngt_f32_e64 s7, 0xc2ce8ed0, v72
	v_dual_fmac_f32 v74, 0x32a5705f, v72 :: v_dual_sub_f32 v73, v73, v75
	s_delay_alu instid0(VALU_DEP_1) | instskip(SKIP_1) | instid1(VALU_DEP_2)
	v_dual_cndmask_b32 v40, 0, v40 :: v_dual_add_f32 v73, v73, v74
	v_cvt_i32_f32_e32 v74, v75
	v_cvt_f16_f32_e32 v50, v40
	s_delay_alu instid0(VALU_DEP_3) | instskip(NEXT) | instid1(TRANS32_DEP_1)
	v_exp_f32_e32 v73, v73
	v_ldexp_f32 v73, v73, v74
	s_wait_alu 0xf1ff
	s_delay_alu instid0(VALU_DEP_1) | instskip(SKIP_2) | instid1(VALU_DEP_1)
	v_cndmask_b32_e64 v73, 0, v73, s7
	v_cmp_nlt_f32_e64 s7, 0x42b17218, v72
	s_wait_alu 0xf1ff
	v_cndmask_b32_e64 v72, 0x7f800000, v73, s7
	v_mul_f32_e32 v73, 0x3fb8aa3b, v24
	v_cmp_ngt_f32_e64 s7, 0xc2ce8ed0, v24
	s_delay_alu instid0(VALU_DEP_3) | instskip(NEXT) | instid1(VALU_DEP_3)
	v_cndmask_b32_e64 v72, 0, v72, s6
	v_fma_f32 v74, 0x3fb8aa3b, v24, -v73
	v_rndne_f32_e32 v75, v73
	s_delay_alu instid0(VALU_DEP_3) | instskip(NEXT) | instid1(VALU_DEP_2)
	v_add_f32_e32 v40, v40, v72
	v_dual_fmac_f32 v74, 0x32a5705f, v24 :: v_dual_sub_f32 v73, v73, v75
	v_cvt_f16_f32_e32 v72, v72
	s_delay_alu instid0(VALU_DEP_2) | instskip(SKIP_1) | instid1(VALU_DEP_2)
	v_add_f32_e32 v73, v73, v74
	v_cvt_i32_f32_e32 v74, v75
	v_exp_f32_e32 v73, v73
	s_delay_alu instid0(TRANS32_DEP_1) | instskip(SKIP_1) | instid1(VALU_DEP_1)
	v_ldexp_f32 v73, v73, v74
	s_wait_alu 0xf1ff
	v_cndmask_b32_e64 v73, 0, v73, s7
	v_cmp_nlt_f32_e64 s7, 0x42b17218, v24
	s_wait_alu 0xf1ff
	s_delay_alu instid0(VALU_DEP_1) | instskip(NEXT) | instid1(VALU_DEP_1)
	v_cndmask_b32_e64 v24, 0x7f800000, v73, s7
	v_dual_fmac_f32 v40, v41, v24 :: v_dual_sub_f32 v41, v70, v9
	v_cvt_f16_f32_e32 v24, v24
	s_delay_alu instid0(VALU_DEP_2) | instskip(SKIP_1) | instid1(VALU_DEP_3)
	v_mul_f32_e32 v70, 0x3fb8aa3b, v41
	v_cmp_ngt_f32_e64 s7, 0xc2ce8ed0, v41
	v_and_b32_e32 v24, 0xffff, v24
	s_delay_alu instid0(VALU_DEP_3) | instskip(SKIP_2) | instid1(VALU_DEP_4)
	v_fma_f32 v73, 0x3fb8aa3b, v41, -v70
	v_rndne_f32_e32 v74, v70
	v_and_b32_e32 v23, 0xffff, v23
	v_mul_u32_u24_e32 v24, 0x10001, v24
	s_delay_alu instid0(VALU_DEP_3) | instskip(NEXT) | instid1(VALU_DEP_3)
	v_dual_fmac_f32 v73, 0x32a5705f, v41 :: v_dual_sub_f32 v70, v70, v74
	v_mul_u32_u24_e32 v23, 0x10001, v23
	s_delay_alu instid0(VALU_DEP_3) | instskip(NEXT) | instid1(VALU_DEP_3)
	v_pk_mul_f16 v24, v134, v24
	v_add_f32_e32 v70, v70, v73
	v_cvt_i32_f32_e32 v73, v74
	s_delay_alu instid0(VALU_DEP_4) | instskip(NEXT) | instid1(VALU_DEP_3)
	v_pk_mul_f16 v23, v135, v23
	v_exp_f32_e32 v70, v70
	s_delay_alu instid0(TRANS32_DEP_1) | instskip(SKIP_2) | instid1(VALU_DEP_2)
	v_ldexp_f32 v70, v70, v73
	v_sub_f32_e32 v73, v152, v9
	s_wait_alu 0xf1ff
	v_cndmask_b32_e64 v70, 0, v70, s7
	s_delay_alu instid0(VALU_DEP_2) | instskip(SKIP_1) | instid1(VALU_DEP_2)
	v_mul_f32_e32 v74, 0x3fb8aa3b, v73
	v_cmp_nlt_f32_e64 s7, 0x42b17218, v41
	v_fma_f32 v75, 0x3fb8aa3b, v73, -v74
	v_rndne_f32_e32 v76, v74
	s_wait_alu 0xf1ff
	s_delay_alu instid0(VALU_DEP_3) | instskip(SKIP_1) | instid1(VALU_DEP_3)
	v_cndmask_b32_e64 v41, 0x7f800000, v70, s7
	v_cmp_ngt_f32_e64 s7, 0xc2ce8ed0, v73
	v_dual_fmac_f32 v75, 0x32a5705f, v73 :: v_dual_sub_f32 v74, v74, v76
	s_delay_alu instid0(VALU_DEP_1) | instskip(SKIP_1) | instid1(VALU_DEP_2)
	v_dual_cndmask_b32 v41, 0, v41 :: v_dual_add_f32 v74, v74, v75
	v_cvt_i32_f32_e32 v75, v76
	v_cvt_f16_f32_e32 v70, v41
	s_delay_alu instid0(VALU_DEP_3) | instskip(NEXT) | instid1(TRANS32_DEP_1)
	v_exp_f32_e32 v74, v74
	v_ldexp_f32 v74, v74, v75
	s_wait_alu 0xf1ff
	s_delay_alu instid0(VALU_DEP_1) | instskip(SKIP_2) | instid1(VALU_DEP_1)
	v_cndmask_b32_e64 v74, 0, v74, s7
	v_cmp_nlt_f32_e64 s7, 0x42b17218, v73
	s_wait_alu 0xf1ff
	v_cndmask_b32_e64 v73, 0x7f800000, v74, s7
	v_mul_f32_e32 v74, 0x3fb8aa3b, v25
	s_delay_alu instid0(VALU_DEP_2) | instskip(NEXT) | instid1(VALU_DEP_2)
	v_cndmask_b32_e64 v73, 0, v73, s6
	v_fma_f32 v75, 0x3fb8aa3b, v25, -v74
	v_rndne_f32_e32 v76, v74
	s_delay_alu instid0(VALU_DEP_3) | instskip(NEXT) | instid1(VALU_DEP_2)
	v_add_f32_e32 v41, v41, v73
	v_dual_fmac_f32 v75, 0x32a5705f, v25 :: v_dual_sub_f32 v74, v74, v76
	v_cvt_f16_f32_e32 v73, v73
	s_delay_alu instid0(VALU_DEP_2) | instskip(SKIP_2) | instid1(VALU_DEP_3)
	v_add_f32_e32 v74, v74, v75
	v_cvt_i32_f32_e32 v75, v76
	v_cmp_ngt_f32_e64 s7, 0xc2ce8ed0, v25
	v_exp_f32_e32 v74, v74
	s_delay_alu instid0(TRANS32_DEP_1) | instskip(SKIP_1) | instid1(VALU_DEP_1)
	v_ldexp_f32 v74, v74, v75
	s_wait_alu 0xf1ff
	v_cndmask_b32_e64 v74, 0, v74, s7
	v_cmp_nlt_f32_e64 s7, 0x42b17218, v25
	s_wait_alu 0xf1ff
	s_delay_alu instid0(VALU_DEP_1) | instskip(NEXT) | instid1(VALU_DEP_1)
	v_cndmask_b32_e64 v25, 0x7f800000, v74, s7
	v_dual_fmac_f32 v41, v42, v25 :: v_dual_sub_f32 v42, v69, v10
	v_cvt_f16_f32_e32 v25, v25
	s_delay_alu instid0(VALU_DEP_2) | instskip(SKIP_1) | instid1(VALU_DEP_2)
	v_mul_f32_e32 v69, 0x3fb8aa3b, v42
	v_cmp_ngt_f32_e64 s7, 0xc2ce8ed0, v42
	v_fma_f32 v74, 0x3fb8aa3b, v42, -v69
	v_rndne_f32_e32 v75, v69
	s_delay_alu instid0(VALU_DEP_1) | instskip(NEXT) | instid1(VALU_DEP_1)
	v_dual_fmac_f32 v74, 0x32a5705f, v42 :: v_dual_sub_f32 v69, v69, v75
	v_add_f32_e32 v69, v69, v74
	v_cvt_i32_f32_e32 v74, v75
	s_delay_alu instid0(VALU_DEP_2) | instskip(NEXT) | instid1(TRANS32_DEP_1)
	v_exp_f32_e32 v69, v69
	v_ldexp_f32 v69, v69, v74
	v_sub_f32_e32 v74, v150, v10
	s_wait_alu 0xf1ff
	s_delay_alu instid0(VALU_DEP_2) | instskip(NEXT) | instid1(VALU_DEP_2)
	v_cndmask_b32_e64 v69, 0, v69, s7
	v_mul_f32_e32 v75, 0x3fb8aa3b, v74
	v_cmp_nlt_f32_e64 s7, 0x42b17218, v42
	s_delay_alu instid0(VALU_DEP_2) | instskip(SKIP_2) | instid1(VALU_DEP_3)
	v_fma_f32 v76, 0x3fb8aa3b, v74, -v75
	v_rndne_f32_e32 v77, v75
	s_wait_alu 0xf1ff
	v_cndmask_b32_e64 v42, 0x7f800000, v69, s7
	v_cmp_ngt_f32_e64 s7, 0xc2ce8ed0, v74
	s_delay_alu instid0(VALU_DEP_3) | instskip(NEXT) | instid1(VALU_DEP_1)
	v_dual_fmac_f32 v76, 0x32a5705f, v74 :: v_dual_sub_f32 v75, v75, v77
	v_dual_cndmask_b32 v42, 0, v42 :: v_dual_add_f32 v75, v75, v76
	v_cvt_i32_f32_e32 v76, v77
	s_delay_alu instid0(VALU_DEP_2) | instskip(NEXT) | instid1(VALU_DEP_3)
	v_cvt_f16_f32_e32 v69, v42
	v_exp_f32_e32 v75, v75
	s_delay_alu instid0(TRANS32_DEP_1) | instskip(SKIP_1) | instid1(VALU_DEP_1)
	v_ldexp_f32 v75, v75, v76
	s_wait_alu 0xf1ff
	v_cndmask_b32_e64 v75, 0, v75, s7
	v_cmp_nlt_f32_e64 s7, 0x42b17218, v74
	s_wait_alu 0xf1ff
	s_delay_alu instid0(VALU_DEP_1) | instskip(SKIP_2) | instid1(VALU_DEP_3)
	v_cndmask_b32_e64 v74, 0x7f800000, v75, s7
	v_mul_f32_e32 v75, 0x3fb8aa3b, v26
	v_cmp_ngt_f32_e64 s7, 0xc2ce8ed0, v26
	v_cndmask_b32_e64 v74, 0, v74, s6
	s_delay_alu instid0(VALU_DEP_3) | instskip(SKIP_1) | instid1(VALU_DEP_3)
	v_fma_f32 v76, 0x3fb8aa3b, v26, -v75
	v_rndne_f32_e32 v77, v75
	v_add_f32_e32 v42, v42, v74
	s_delay_alu instid0(VALU_DEP_2) | instskip(SKIP_1) | instid1(VALU_DEP_2)
	v_dual_fmac_f32 v76, 0x32a5705f, v26 :: v_dual_sub_f32 v75, v75, v77
	v_cvt_f16_f32_e32 v74, v74
	v_add_f32_e32 v75, v75, v76
	v_cvt_i32_f32_e32 v76, v77
	s_delay_alu instid0(VALU_DEP_2) | instskip(NEXT) | instid1(TRANS32_DEP_1)
	v_exp_f32_e32 v75, v75
	v_ldexp_f32 v75, v75, v76
	s_wait_alu 0xf1ff
	s_delay_alu instid0(VALU_DEP_1) | instskip(SKIP_2) | instid1(VALU_DEP_1)
	v_cndmask_b32_e64 v75, 0, v75, s7
	v_cmp_nlt_f32_e64 s7, 0x42b17218, v26
	s_wait_alu 0xf1ff
	v_cndmask_b32_e64 v26, 0x7f800000, v75, s7
	s_delay_alu instid0(VALU_DEP_1) | instskip(SKIP_2) | instid1(VALU_DEP_3)
	v_dual_fmac_f32 v42, v43, v26 :: v_dual_and_b32 v25, 0xffff, v25
	v_sub_f32_e32 v43, v68, v11
	v_cvt_f16_f32_e32 v26, v26
	v_mul_u32_u24_e32 v25, 0x10001, v25
	s_delay_alu instid0(VALU_DEP_3) | instskip(SKIP_1) | instid1(VALU_DEP_4)
	v_mul_f32_e32 v68, 0x3fb8aa3b, v43
	v_cmp_ngt_f32_e64 s7, 0xc2ce8ed0, v43
	v_and_b32_e32 v26, 0xffff, v26
	s_delay_alu instid0(VALU_DEP_4) | instskip(NEXT) | instid1(VALU_DEP_4)
	v_pk_mul_f16 v25, v133, v25
	v_fma_f32 v75, 0x3fb8aa3b, v43, -v68
	v_rndne_f32_e32 v76, v68
	s_delay_alu instid0(VALU_DEP_4) | instskip(NEXT) | instid1(VALU_DEP_2)
	v_mul_u32_u24_e32 v26, 0x10001, v26
	v_dual_fmac_f32 v75, 0x32a5705f, v43 :: v_dual_sub_f32 v68, v68, v76
	s_delay_alu instid0(VALU_DEP_2) | instskip(NEXT) | instid1(VALU_DEP_2)
	v_pk_mul_f16 v26, v132, v26
	v_add_f32_e32 v68, v68, v75
	v_cvt_i32_f32_e32 v75, v76
	s_delay_alu instid0(VALU_DEP_2) | instskip(NEXT) | instid1(TRANS32_DEP_1)
	v_exp_f32_e32 v68, v68
	v_ldexp_f32 v68, v68, v75
	v_sub_f32_e32 v75, v147, v11
	s_wait_alu 0xf1ff
	s_delay_alu instid0(VALU_DEP_2) | instskip(NEXT) | instid1(VALU_DEP_2)
	v_cndmask_b32_e64 v68, 0, v68, s7
	v_mul_f32_e32 v76, 0x3fb8aa3b, v75
	v_cmp_nlt_f32_e64 s7, 0x42b17218, v43
	s_delay_alu instid0(VALU_DEP_2) | instskip(SKIP_2) | instid1(VALU_DEP_3)
	v_fma_f32 v77, 0x3fb8aa3b, v75, -v76
	v_rndne_f32_e32 v78, v76
	s_wait_alu 0xf1ff
	v_cndmask_b32_e64 v43, 0x7f800000, v68, s7
	v_cmp_ngt_f32_e64 s7, 0xc2ce8ed0, v75
	s_delay_alu instid0(VALU_DEP_3) | instskip(NEXT) | instid1(VALU_DEP_1)
	v_dual_fmac_f32 v77, 0x32a5705f, v75 :: v_dual_sub_f32 v76, v76, v78
	v_dual_cndmask_b32 v43, 0, v43 :: v_dual_add_f32 v76, v76, v77
	v_cvt_i32_f32_e32 v77, v78
	s_delay_alu instid0(VALU_DEP_2) | instskip(NEXT) | instid1(VALU_DEP_3)
	v_cvt_f16_f32_e32 v68, v43
	v_exp_f32_e32 v76, v76
	s_delay_alu instid0(TRANS32_DEP_1) | instskip(SKIP_1) | instid1(VALU_DEP_1)
	v_ldexp_f32 v76, v76, v77
	s_wait_alu 0xf1ff
	v_cndmask_b32_e64 v76, 0, v76, s7
	v_cmp_nlt_f32_e64 s7, 0x42b17218, v75
	s_wait_alu 0xf1ff
	s_delay_alu instid0(VALU_DEP_1) | instskip(SKIP_1) | instid1(VALU_DEP_2)
	v_cndmask_b32_e64 v75, 0x7f800000, v76, s7
	v_mul_f32_e32 v76, 0x3fb8aa3b, v27
	v_cndmask_b32_e64 v75, 0, v75, s6
	s_delay_alu instid0(VALU_DEP_2) | instskip(SKIP_1) | instid1(VALU_DEP_3)
	v_fma_f32 v77, 0x3fb8aa3b, v27, -v76
	v_rndne_f32_e32 v78, v76
	v_add_f32_e32 v43, v43, v75
	s_delay_alu instid0(VALU_DEP_2) | instskip(SKIP_1) | instid1(VALU_DEP_2)
	v_dual_fmac_f32 v77, 0x32a5705f, v27 :: v_dual_sub_f32 v76, v76, v78
	v_cvt_f16_f32_e32 v75, v75
	v_add_f32_e32 v76, v76, v77
	v_cvt_i32_f32_e32 v77, v78
	v_cmp_ngt_f32_e64 s7, 0xc2ce8ed0, v27
	s_delay_alu instid0(VALU_DEP_3) | instskip(NEXT) | instid1(TRANS32_DEP_1)
	v_exp_f32_e32 v76, v76
	v_ldexp_f32 v76, v76, v77
	s_wait_alu 0xf1ff
	s_delay_alu instid0(VALU_DEP_1) | instskip(SKIP_2) | instid1(VALU_DEP_1)
	v_cndmask_b32_e64 v76, 0, v76, s7
	v_cmp_nlt_f32_e64 s7, 0x42b17218, v27
	s_wait_alu 0xf1ff
	v_cndmask_b32_e64 v27, 0x7f800000, v76, s7
	s_delay_alu instid0(VALU_DEP_1) | instskip(SKIP_1) | instid1(VALU_DEP_2)
	v_dual_fmac_f32 v43, v44, v27 :: v_dual_sub_f32 v44, v67, v12
	v_cvt_f16_f32_e32 v27, v27
	v_mul_f32_e32 v67, 0x3fb8aa3b, v44
	v_cmp_ngt_f32_e64 s7, 0xc2ce8ed0, v44
	s_delay_alu instid0(VALU_DEP_2) | instskip(SKIP_1) | instid1(VALU_DEP_1)
	v_fma_f32 v76, 0x3fb8aa3b, v44, -v67
	v_rndne_f32_e32 v77, v67
	v_dual_fmac_f32 v76, 0x32a5705f, v44 :: v_dual_sub_f32 v67, v67, v77
	s_delay_alu instid0(VALU_DEP_1) | instskip(SKIP_1) | instid1(VALU_DEP_2)
	v_add_f32_e32 v67, v67, v76
	v_cvt_i32_f32_e32 v76, v77
	v_exp_f32_e32 v67, v67
	s_delay_alu instid0(TRANS32_DEP_1) | instskip(SKIP_2) | instid1(VALU_DEP_2)
	v_ldexp_f32 v67, v67, v76
	v_sub_f32_e32 v76, v146, v12
	s_wait_alu 0xf1ff
	v_cndmask_b32_e64 v67, 0, v67, s7
	s_delay_alu instid0(VALU_DEP_2) | instskip(SKIP_1) | instid1(VALU_DEP_2)
	v_mul_f32_e32 v77, 0x3fb8aa3b, v76
	v_cmp_nlt_f32_e64 s7, 0x42b17218, v44
	v_fma_f32 v78, 0x3fb8aa3b, v76, -v77
	v_rndne_f32_e32 v79, v77
	s_wait_alu 0xf1ff
	s_delay_alu instid0(VALU_DEP_3) | instskip(SKIP_1) | instid1(VALU_DEP_3)
	v_cndmask_b32_e64 v44, 0x7f800000, v67, s7
	v_cmp_ngt_f32_e64 s7, 0xc2ce8ed0, v76
	v_dual_fmac_f32 v78, 0x32a5705f, v76 :: v_dual_sub_f32 v77, v77, v79
	s_delay_alu instid0(VALU_DEP_1) | instskip(SKIP_1) | instid1(VALU_DEP_2)
	v_dual_cndmask_b32 v44, 0, v44 :: v_dual_add_f32 v77, v77, v78
	v_cvt_i32_f32_e32 v78, v79
	v_cvt_f16_f32_e32 v67, v44
	s_delay_alu instid0(VALU_DEP_3) | instskip(NEXT) | instid1(TRANS32_DEP_1)
	v_exp_f32_e32 v77, v77
	v_ldexp_f32 v77, v77, v78
	s_wait_alu 0xf1ff
	s_delay_alu instid0(VALU_DEP_1) | instskip(SKIP_2) | instid1(VALU_DEP_1)
	v_cndmask_b32_e64 v77, 0, v77, s7
	v_cmp_nlt_f32_e64 s7, 0x42b17218, v76
	s_wait_alu 0xf1ff
	v_cndmask_b32_e64 v76, 0x7f800000, v77, s7
	v_mul_f32_e32 v77, 0x3fb8aa3b, v28
	v_cmp_ngt_f32_e64 s7, 0xc2ce8ed0, v28
	s_delay_alu instid0(VALU_DEP_3) | instskip(NEXT) | instid1(VALU_DEP_3)
	v_cndmask_b32_e64 v76, 0, v76, s6
	v_fma_f32 v78, 0x3fb8aa3b, v28, -v77
	v_rndne_f32_e32 v79, v77
	s_delay_alu instid0(VALU_DEP_3) | instskip(NEXT) | instid1(VALU_DEP_2)
	v_add_f32_e32 v44, v44, v76
	v_dual_fmac_f32 v78, 0x32a5705f, v28 :: v_dual_sub_f32 v77, v77, v79
	v_cvt_f16_f32_e32 v76, v76
	s_delay_alu instid0(VALU_DEP_2) | instskip(SKIP_1) | instid1(VALU_DEP_2)
	v_add_f32_e32 v77, v77, v78
	v_cvt_i32_f32_e32 v78, v79
	v_exp_f32_e32 v77, v77
	s_delay_alu instid0(TRANS32_DEP_1) | instskip(SKIP_1) | instid1(VALU_DEP_1)
	v_ldexp_f32 v77, v77, v78
	s_wait_alu 0xf1ff
	v_cndmask_b32_e64 v77, 0, v77, s7
	v_cmp_nlt_f32_e64 s7, 0x42b17218, v28
	s_wait_alu 0xf1ff
	s_delay_alu instid0(VALU_DEP_1) | instskip(NEXT) | instid1(VALU_DEP_1)
	v_cndmask_b32_e64 v28, 0x7f800000, v77, s7
	v_dual_fmac_f32 v44, v45, v28 :: v_dual_and_b32 v27, 0xffff, v27
	v_sub_f32_e32 v45, v66, v13
	v_cvt_f16_f32_e32 v28, v28
	s_delay_alu instid0(VALU_DEP_3) | instskip(NEXT) | instid1(VALU_DEP_3)
	v_mul_u32_u24_e32 v27, 0x10001, v27
	v_mul_f32_e32 v66, 0x3fb8aa3b, v45
	v_cmp_ngt_f32_e64 s7, 0xc2ce8ed0, v45
	s_delay_alu instid0(VALU_DEP_4) | instskip(NEXT) | instid1(VALU_DEP_4)
	v_and_b32_e32 v28, 0xffff, v28
	v_pk_mul_f16 v27, v131, v27
	s_delay_alu instid0(VALU_DEP_4) | instskip(SKIP_1) | instid1(VALU_DEP_4)
	v_fma_f32 v77, 0x3fb8aa3b, v45, -v66
	v_rndne_f32_e32 v78, v66
	v_mul_u32_u24_e32 v28, 0x10001, v28
	s_delay_alu instid0(VALU_DEP_2) | instskip(NEXT) | instid1(VALU_DEP_2)
	v_dual_fmac_f32 v77, 0x32a5705f, v45 :: v_dual_sub_f32 v66, v66, v78
	v_pk_mul_f16 v28, v130, v28
	s_delay_alu instid0(VALU_DEP_2) | instskip(SKIP_1) | instid1(VALU_DEP_2)
	v_add_f32_e32 v66, v66, v77
	v_cvt_i32_f32_e32 v77, v78
	v_exp_f32_e32 v66, v66
	s_delay_alu instid0(TRANS32_DEP_1) | instskip(SKIP_1) | instid1(VALU_DEP_1)
	v_ldexp_f32 v66, v66, v77
	s_wait_alu 0xf1ff
	v_cndmask_b32_e64 v66, 0, v66, s7
	v_cmp_nlt_f32_e64 s7, 0x42b17218, v45
	s_wait_alu 0xf1ff
	s_delay_alu instid0(VALU_DEP_1) | instskip(SKIP_1) | instid1(VALU_DEP_1)
	v_cndmask_b32_e64 v45, 0x7f800000, v66, s7
	v_sub_f32_e32 v66, v144, v13
	v_dual_cndmask_b32 v45, 0, v45 :: v_dual_mul_f32 v78, 0x3fb8aa3b, v66
	v_cmp_ngt_f32_e64 s7, 0xc2ce8ed0, v66
	s_delay_alu instid0(VALU_DEP_2) | instskip(NEXT) | instid1(VALU_DEP_3)
	v_cvt_f16_f32_e32 v77, v45
	v_fma_f32 v79, 0x3fb8aa3b, v66, -v78
	v_rndne_f32_e32 v80, v78
	s_delay_alu instid0(VALU_DEP_1) | instskip(NEXT) | instid1(VALU_DEP_1)
	v_dual_fmac_f32 v79, 0x32a5705f, v66 :: v_dual_sub_f32 v78, v78, v80
	v_add_f32_e32 v78, v78, v79
	v_cvt_i32_f32_e32 v79, v80
	s_delay_alu instid0(VALU_DEP_2) | instskip(NEXT) | instid1(TRANS32_DEP_1)
	v_exp_f32_e32 v78, v78
	v_ldexp_f32 v78, v78, v79
	s_wait_alu 0xf1ff
	s_delay_alu instid0(VALU_DEP_1) | instskip(SKIP_2) | instid1(VALU_DEP_1)
	v_cndmask_b32_e64 v78, 0, v78, s7
	v_cmp_nlt_f32_e64 s7, 0x42b17218, v66
	s_wait_alu 0xf1ff
	v_cndmask_b32_e64 v66, 0x7f800000, v78, s7
	s_delay_alu instid0(VALU_DEP_1) | instskip(NEXT) | instid1(VALU_DEP_1)
	v_cndmask_b32_e64 v66, 0, v66, s6
	v_add_f32_e32 v45, v45, v66
	v_cvt_f16_f32_e32 v78, v66
	v_mul_f32_e32 v66, 0x3fb8aa3b, v29
	s_delay_alu instid0(VALU_DEP_1) | instskip(SKIP_1) | instid1(VALU_DEP_1)
	v_fma_f32 v79, 0x3fb8aa3b, v29, -v66
	v_rndne_f32_e32 v80, v66
	v_dual_sub_f32 v66, v66, v80 :: v_dual_fmac_f32 v79, 0x32a5705f, v29
	v_cmp_ngt_f32_e64 s7, 0xc2ce8ed0, v29
	s_delay_alu instid0(VALU_DEP_2) | instskip(SKIP_1) | instid1(VALU_DEP_2)
	v_add_f32_e32 v66, v66, v79
	v_cvt_i32_f32_e32 v79, v80
	v_exp_f32_e32 v66, v66
	s_delay_alu instid0(TRANS32_DEP_1) | instskip(SKIP_1) | instid1(VALU_DEP_1)
	v_ldexp_f32 v66, v66, v79
	s_wait_alu 0xf1ff
	v_cndmask_b32_e64 v66, 0, v66, s7
	v_cmp_nlt_f32_e64 s7, 0x42b17218, v29
	s_wait_alu 0xf1ff
	s_delay_alu instid0(VALU_DEP_1) | instskip(NEXT) | instid1(VALU_DEP_1)
	v_cndmask_b32_e64 v29, 0x7f800000, v66, s7
	v_dual_fmac_f32 v45, v46, v29 :: v_dual_sub_f32 v46, v65, v14
	v_cvt_f16_f32_e32 v29, v29
	s_delay_alu instid0(VALU_DEP_2) | instskip(NEXT) | instid1(VALU_DEP_2)
	v_mul_f32_e32 v65, 0x3fb8aa3b, v46
	v_and_b32_e32 v29, 0xffff, v29
	v_cmp_ngt_f32_e64 s7, 0xc2ce8ed0, v46
	s_delay_alu instid0(VALU_DEP_3) | instskip(SKIP_1) | instid1(VALU_DEP_1)
	v_fma_f32 v66, 0x3fb8aa3b, v46, -v65
	v_rndne_f32_e32 v79, v65
	v_dual_fmac_f32 v66, 0x32a5705f, v46 :: v_dual_sub_f32 v65, v65, v79
	s_delay_alu instid0(VALU_DEP_1) | instskip(SKIP_1) | instid1(VALU_DEP_2)
	v_add_f32_e32 v65, v65, v66
	v_cvt_i32_f32_e32 v66, v79
	v_exp_f32_e32 v65, v65
	s_delay_alu instid0(TRANS32_DEP_1) | instskip(SKIP_3) | instid1(VALU_DEP_3)
	v_ldexp_f32 v65, v65, v66
	v_sub_f32_e32 v66, v71, v14
	v_mul_u32_u24_e32 v29, 0x10001, v29
	s_wait_alu 0xf1ff
	v_cndmask_b32_e64 v65, 0, v65, s7
	s_delay_alu instid0(VALU_DEP_3) | instskip(SKIP_2) | instid1(VALU_DEP_3)
	v_mul_f32_e32 v71, 0x3fb8aa3b, v66
	v_cmp_nlt_f32_e64 s7, 0x42b17218, v46
	v_pk_mul_f16 v29, v129, v29
	v_fma_f32 v79, 0x3fb8aa3b, v66, -v71
	v_rndne_f32_e32 v80, v71
	s_wait_alu 0xf1ff
	v_cndmask_b32_e64 v46, 0x7f800000, v65, s7
	v_cmp_ngt_f32_e64 s7, 0xc2ce8ed0, v66
	v_fmac_f32_e32 v79, 0x32a5705f, v66
	s_delay_alu instid0(VALU_DEP_3) | instskip(NEXT) | instid1(VALU_DEP_1)
	v_dual_sub_f32 v71, v71, v80 :: v_dual_cndmask_b32 v46, 0, v46
	v_add_f32_e32 v71, v71, v79
	v_cvt_i32_f32_e32 v79, v80
	s_delay_alu instid0(VALU_DEP_3) | instskip(NEXT) | instid1(VALU_DEP_3)
	v_cvt_f16_f32_e32 v65, v46
	v_exp_f32_e32 v71, v71
	s_delay_alu instid0(TRANS32_DEP_1) | instskip(SKIP_1) | instid1(VALU_DEP_1)
	v_ldexp_f32 v71, v71, v79
	s_wait_alu 0xf1ff
	v_cndmask_b32_e64 v71, 0, v71, s7
	v_cmp_nlt_f32_e64 s7, 0x42b17218, v66
	s_wait_alu 0xf1ff
	s_delay_alu instid0(VALU_DEP_1) | instskip(SKIP_1) | instid1(VALU_DEP_2)
	v_cndmask_b32_e64 v66, 0x7f800000, v71, s7
	v_cmp_ngt_f32_e64 s7, 0xc2ce8ed0, v30
	v_cndmask_b32_e64 v66, 0, v66, s6
	s_delay_alu instid0(VALU_DEP_1) | instskip(SKIP_2) | instid1(VALU_DEP_1)
	v_add_f32_e32 v46, v46, v66
	v_cvt_f16_f32_e32 v71, v66
	v_mul_f32_e32 v66, 0x3fb8aa3b, v30
	v_fma_f32 v79, 0x3fb8aa3b, v30, -v66
	v_rndne_f32_e32 v80, v66
	s_delay_alu instid0(VALU_DEP_1) | instskip(NEXT) | instid1(VALU_DEP_1)
	v_dual_fmac_f32 v79, 0x32a5705f, v30 :: v_dual_sub_f32 v66, v66, v80
	v_add_f32_e32 v66, v66, v79
	v_cvt_i32_f32_e32 v79, v80
	s_delay_alu instid0(VALU_DEP_2) | instskip(NEXT) | instid1(TRANS32_DEP_1)
	v_exp_f32_e32 v66, v66
	v_ldexp_f32 v66, v66, v79
	s_wait_alu 0xf1ff
	s_delay_alu instid0(VALU_DEP_1) | instskip(SKIP_2) | instid1(VALU_DEP_1)
	v_cndmask_b32_e64 v66, 0, v66, s7
	v_cmp_nlt_f32_e64 s7, 0x42b17218, v30
	s_wait_alu 0xf1ff
	v_cndmask_b32_e64 v30, 0x7f800000, v66, s7
	s_delay_alu instid0(VALU_DEP_1) | instskip(SKIP_1) | instid1(VALU_DEP_2)
	v_dual_fmac_f32 v46, v47, v30 :: v_dual_sub_f32 v47, v64, v15
	v_cvt_f16_f32_e32 v30, v30
	v_mul_f32_e32 v64, 0x3fb8aa3b, v47
	v_cmp_ngt_f32_e64 s7, 0xc2ce8ed0, v47
	s_delay_alu instid0(VALU_DEP_3) | instskip(NEXT) | instid1(VALU_DEP_3)
	v_and_b32_e32 v30, 0xffff, v30
	v_fma_f32 v66, 0x3fb8aa3b, v47, -v64
	v_rndne_f32_e32 v79, v64
	s_delay_alu instid0(VALU_DEP_3) | instskip(NEXT) | instid1(VALU_DEP_3)
	v_mul_u32_u24_e32 v30, 0x10001, v30
	v_fmac_f32_e32 v66, 0x32a5705f, v47
	s_delay_alu instid0(VALU_DEP_3) | instskip(SKIP_1) | instid1(VALU_DEP_4)
	v_sub_f32_e32 v64, v64, v79
	v_sub_f32_e32 v31, v31, v15
	v_pk_mul_f16 v30, v128, v30
	s_delay_alu instid0(VALU_DEP_3) | instskip(SKIP_1) | instid1(VALU_DEP_2)
	v_add_f32_e32 v64, v64, v66
	v_cvt_i32_f32_e32 v66, v79
	v_exp_f32_e32 v64, v64
	s_delay_alu instid0(TRANS32_DEP_1) | instskip(SKIP_2) | instid1(VALU_DEP_2)
	v_ldexp_f32 v64, v64, v66
	v_mul_f32_e32 v66, 0x3fb8aa3b, v63
	s_wait_alu 0xf1ff
	v_cndmask_b32_e64 v64, 0, v64, s7
	s_delay_alu instid0(VALU_DEP_2) | instskip(SKIP_2) | instid1(VALU_DEP_2)
	v_fma_f32 v79, 0x3fb8aa3b, v63, -v66
	v_rndne_f32_e32 v80, v66
	v_cmp_nlt_f32_e64 s7, 0x42b17218, v47
	v_dual_fmac_f32 v79, 0x32a5705f, v63 :: v_dual_sub_f32 v66, v66, v80
	s_wait_alu 0xf1ff
	s_delay_alu instid0(VALU_DEP_2) | instskip(NEXT) | instid1(VALU_DEP_2)
	v_cndmask_b32_e64 v47, 0x7f800000, v64, s7
	v_add_f32_e32 v66, v66, v79
	v_cvt_i32_f32_e32 v79, v80
	s_delay_alu instid0(VALU_DEP_2) | instskip(NEXT) | instid1(TRANS32_DEP_1)
	v_exp_f32_e32 v66, v66
	v_ldexp_f32 v66, v66, v79
	v_cndmask_b32_e32 v47, 0, v47, vcc_lo
	v_cmp_ngt_f32_e32 vcc_lo, 0xc2ce8ed0, v63
	s_wait_alu 0xfffd
	s_delay_alu instid0(VALU_DEP_3) | instskip(SKIP_3) | instid1(VALU_DEP_3)
	v_cndmask_b32_e32 v66, 0, v66, vcc_lo
	v_cmp_nlt_f32_e32 vcc_lo, 0x42b17218, v63
	v_cvt_f16_f32_e32 v64, v47
	s_wait_alu 0xfffd
	v_cndmask_b32_e32 v63, 0x7f800000, v66, vcc_lo
	v_cmp_ngt_f32_e32 vcc_lo, 0xc2ce8ed0, v31
	s_delay_alu instid0(VALU_DEP_2)
	v_cndmask_b32_e64 v63, 0, v63, s6
	s_wait_alu 0xfffe
	s_mul_u64 s[6:7], s[14:15], s[10:11]
	s_wait_alu 0xfffe
	s_lshl_b64 s[6:7], s[6:7], 2
	s_wait_alu 0xfffe
	s_add_nc_u64 s[14:15], s[24:25], s[6:7]
	s_mov_b32 s24, 0
	v_cvt_f16_f32_e32 v79, v63
	s_wait_alu 0xfffe
	s_mov_b32 s25, s24
	s_mov_b32 s26, s24
	v_add_f32_e32 v47, v47, v63
	v_mul_f32_e32 v63, 0x3fb8aa3b, v31
	s_mov_b64 s[6:7], src_private_base
	s_lshl_b32 s6, s10, 4
	s_delay_alu instid0(VALU_DEP_1) | instskip(SKIP_1) | instid1(VALU_DEP_1)
	v_fma_f32 v66, 0x3fb8aa3b, v31, -v63
	v_rndne_f32_e32 v80, v63
	v_dual_fmac_f32 v66, 0x32a5705f, v31 :: v_dual_sub_f32 v63, v63, v80
	s_delay_alu instid0(VALU_DEP_1) | instskip(SKIP_1) | instid1(VALU_DEP_2)
	v_add_f32_e32 v63, v63, v66
	v_cvt_i32_f32_e32 v66, v80
	v_exp_f32_e32 v63, v63
	s_delay_alu instid0(TRANS32_DEP_1)
	v_ldexp_f32 v63, v63, v66
	v_pack_b32_f16 v66, v65, v64
	v_pack_b32_f16 v65, v67, v77
	;; [unrolled: 1-line block ×3, first 2 shown]
	v_lshl_or_b32 v67, v60, 7, v58
	s_wait_alu 0xfffd
	v_cndmask_b32_e32 v63, 0, v63, vcc_lo
	v_cmp_nlt_f32_e32 vcc_lo, 0x42b17218, v31
	s_wait_alu 0xfffd
	s_delay_alu instid0(VALU_DEP_2) | instskip(SKIP_2) | instid1(VALU_DEP_3)
	v_cndmask_b32_e32 v31, 0x7f800000, v63, vcc_lo
	v_pack_b32_f16 v63, v50, v70
	v_lshl_or_b32 v70, v61, 7, v58
	v_fmac_f32_e32 v47, v48, v31
	ds_store_b128 v86, v[63:66] offset:1024
	v_pack_b32_f16 v66, v71, v79
	v_pack_b32_f16 v65, v76, v78
	;; [unrolled: 1-line block ×4, first 2 shown]
	v_lshl_or_b32 v48, v59, 7, v58
	v_lshl_or_b32 v75, v62, 7, v58
	v_mov_b32_e32 v76, 0
	v_cvt_f16_f32_e32 v31, v31
	ds_store_b128 v49, v[63:66] offset:1024
	v_mul_lo_u32 v49, s10, v59
	v_and_b32_e32 v31, 0xffff, v31
	s_delay_alu instid0(VALU_DEP_2) | instskip(NEXT) | instid1(VALU_DEP_2)
	v_ashrrev_i32_e32 v50, 31, v49
	v_mul_u32_u24_e32 v31, 0x10001, v31
	s_delay_alu instid0(VALU_DEP_2) | instskip(SKIP_2) | instid1(VALU_DEP_3)
	v_lshlrev_b64_e32 v[63:64], 2, v[49:50]
	s_wait_alu 0xfffe
	v_add_nc_u32_e32 v49, s6, v49
	v_pk_mul_f16 v31, v127, v31
	s_delay_alu instid0(VALU_DEP_3) | instskip(SKIP_3) | instid1(VALU_DEP_3)
	v_add_co_u32 v50, vcc_lo, s14, v63
	s_wait_alu 0xfffd
	v_add_co_ci_u32_e64 v59, null, s15, v64, vcc_lo
	v_mov_b32_e32 v64, s26
	v_add_co_u32 v65, vcc_lo, v50, v58
	v_ashrrev_i32_e32 v50, 31, v49
	s_wait_alu 0xfffd
	v_add_co_ci_u32_e64 v66, null, 0, v59, vcc_lo
	v_dual_mov_b32 v63, s25 :: v_dual_mov_b32 v62, s24
	s_delay_alu instid0(VALU_DEP_3)
	v_lshlrev_b64_e32 v[59:60], 2, v[49:50]
	v_add_nc_u32_e32 v49, s6, v49
	s_clause 0x1
	scratch_store_b32 off, v76, off
	scratch_store_b96 off, v[62:64], off offset:4
	v_add_co_u32 v50, vcc_lo, s14, v59
	s_wait_alu 0xfffd
	v_add_co_ci_u32_e64 v59, null, s15, v60, vcc_lo
	s_delay_alu instid0(VALU_DEP_2) | instskip(SKIP_2) | instid1(VALU_DEP_3)
	v_add_co_u32 v68, vcc_lo, v50, v58
	v_ashrrev_i32_e32 v50, 31, v49
	s_wait_alu 0xfffd
	v_add_co_ci_u32_e64 v69, null, 0, v59, vcc_lo
	s_delay_alu instid0(VALU_DEP_2) | instskip(SKIP_1) | instid1(VALU_DEP_2)
	v_lshlrev_b64_e32 v[59:60], 2, v[49:50]
	v_add_nc_u32_e32 v49, s6, v49
	v_add_co_u32 v50, vcc_lo, s14, v59
	s_wait_alu 0xfffd
	s_delay_alu instid0(VALU_DEP_3) | instskip(NEXT) | instid1(VALU_DEP_2)
	v_add_co_ci_u32_e64 v59, null, s15, v60, vcc_lo
	v_add_co_u32 v71, vcc_lo, v50, v58
	v_ashrrev_i32_e32 v50, 31, v49
	s_wait_alu 0xfffd
	s_delay_alu instid0(VALU_DEP_3) | instskip(NEXT) | instid1(VALU_DEP_2)
	v_add_co_ci_u32_e64 v72, null, 0, v59, vcc_lo
	v_lshlrev_b64_e32 v[49:50], 2, v[49:50]
	s_delay_alu instid0(VALU_DEP_1) | instskip(SKIP_1) | instid1(VALU_DEP_2)
	v_add_co_u32 v49, vcc_lo, s14, v49
	s_wait_alu 0xfffd
	v_add_co_ci_u32_e64 v50, null, s15, v50, vcc_lo
	s_delay_alu instid0(VALU_DEP_2) | instskip(SKIP_1) | instid1(VALU_DEP_2)
	v_add_co_u32 v73, vcc_lo, v49, v58
	s_wait_alu 0xfffd
	v_add_co_ci_u32_e64 v74, null, 0, v50, vcc_lo
	v_cndmask_b32_e64 v50, s7, v66, s5
	v_cndmask_b32_e64 v49, 0, v65, s5
	flat_load_b128 v[58:61], v[49:50]
	v_cndmask_b32_e64 v49, s7, v69, s4
	s_wait_loadcnt_dscnt 0x0
	ds_store_b128 v48, v[58:61]
	v_cndmask_b32_e64 v48, 0, v68, s4
	s_clause 0x1
	scratch_store_b32 off, v76, off
	scratch_store_b96 off, v[62:64], off offset:4
	flat_load_b128 v[58:61], v[48:49]
	v_cndmask_b32_e64 v49, s7, v72, s3
	v_cndmask_b32_e64 v48, 0, v71, s3
	s_wait_loadcnt_dscnt 0x0
	ds_store_b128 v67, v[58:61]
	s_clause 0x1
	scratch_store_b32 off, v76, off
	scratch_store_b96 off, v[62:64], off offset:4
	flat_load_b128 v[58:61], v[48:49]
	v_cndmask_b32_e64 v49, s7, v74, s2
	v_cndmask_b32_e64 v48, 0, v73, s2
	s_wait_loadcnt_dscnt 0x0
	ds_store_b128 v70, v[58:61]
	s_clause 0x1
	scratch_store_b32 off, v76, off
	scratch_store_b96 off, v[62:64], off offset:4
	flat_load_b128 v[58:61], v[48:49]
	s_wait_loadcnt_dscnt 0x0
	ds_store_b128 v75, v[58:61]
	s_wait_storecnt_dscnt 0x0
	s_barrier_signal -1
	s_barrier_wait -1
	global_inv scope:SCOPE_SE
	ds_load_2addr_b32 v[48:49], v107 offset1:32
	ds_load_b128 v[58:61], v106 offset:9216
	ds_load_b128 v[62:65], v106 offset:9232
	;; [unrolled: 1-line block ×4, first 2 shown]
	s_wait_dscnt 0x3
	v_lshrrev_b32_e32 v50, 16, v58
	v_and_b32_e32 v58, 0xffff, v58
	v_lshrrev_b32_e32 v74, 16, v59
	v_lshrrev_b32_e32 v75, 16, v60
	;; [unrolled: 1-line block ×3, first 2 shown]
	v_mul_u32_u24_e32 v50, 0x10001, v50
	v_mul_u32_u24_e32 v77, 0x10001, v58
	v_and_b32_e32 v58, 0xffff, v59
	v_mul_u32_u24_e32 v74, 0x10001, v74
	v_mul_u32_u24_e32 v75, 0x10001, v75
	;; [unrolled: 1-line block ×3, first 2 shown]
	v_pk_fma_f16 v77, v48, v77, v16
	v_mul_u32_u24_e32 v78, 0x10001, v58
	v_and_b32_e32 v58, 0xffff, v60
	s_wait_dscnt 0x2
	v_lshrrev_b32_e32 v16, 16, v62
	v_pk_fma_f16 v50, v48, v50, v17
	v_pk_fma_f16 v74, v48, v74, v19
	;; [unrolled: 1-line block ×3, first 2 shown]
	v_mul_u32_u24_e32 v79, 0x10001, v58
	v_and_b32_e32 v58, 0xffff, v61
	v_lshrrev_b32_e32 v17, 16, v63
	v_lshrrev_b32_e32 v18, 16, v64
	v_lshrrev_b32_e32 v19, 16, v65
	v_pk_fma_f16 v20, v48, v79, v20
	v_mul_u32_u24_e32 v80, 0x10001, v58
	ds_load_b128 v[58:61], v106 offset:10240
	v_pk_fma_f16 v21, v48, v75, v21
	v_pk_fma_f16 v23, v48, v76, v23
	;; [unrolled: 1-line block ×3, first 2 shown]
	s_wait_dscnt 0x0
	v_lshrrev_b32_e32 v81, 16, v58
	v_and_b32_e32 v58, 0xffff, v58
	v_lshrrev_b32_e32 v82, 16, v59
	v_and_b32_e32 v59, 0xffff, v59
	;; [unrolled: 2-line block ×3, first 2 shown]
	v_mul_u32_u24_e32 v58, 0x10001, v58
	v_lshrrev_b32_e32 v83, 16, v60
	v_mul_u32_u24_e32 v59, 0x10001, v59
	v_and_b32_e32 v60, 0xffff, v60
	v_mul_u32_u24_e32 v61, 0x10001, v61
	v_pk_fma_f16 v24, v48, v58, v24
	v_mul_u32_u24_e32 v58, 0x10001, v16
	v_and_b32_e32 v16, 0xffff, v63
	v_pk_fma_f16 v26, v48, v59, v26
	v_mul_u32_u24_e32 v81, 0x10001, v81
	v_mul_u32_u24_e32 v82, 0x10001, v82
	;; [unrolled: 1-line block ×4, first 2 shown]
	v_and_b32_e32 v16, 0xffff, v64
	v_mul_u32_u24_e32 v83, 0x10001, v83
	v_mul_u32_u24_e32 v84, 0x10001, v84
	v_pk_fma_f16 v30, v48, v61, v30
	v_pk_fma_f16 v25, v48, v81, v25
	v_mul_u32_u24_e32 v61, 0x10001, v16
	v_and_b32_e32 v16, 0xffff, v65
	v_pk_fma_f16 v27, v48, v82, v27
	v_pk_fma_f16 v28, v48, v60, v28
	;; [unrolled: 1-line block ×4, first 2 shown]
	v_and_b32_e32 v48, 0xffff, v62
	v_mul_u32_u24_e32 v60, 0x10001, v17
	v_mul_u32_u24_e32 v62, 0x10001, v18
	;; [unrolled: 1-line block ×4, first 2 shown]
	ds_load_b128 v[16:19], v106 offset:10256
	v_pk_fma_f16 v50, v49, v58, v50
	v_pk_fma_f16 v58, v49, v59, v78
	;; [unrolled: 1-line block ×6, first 2 shown]
	v_mul_u32_u24_e32 v48, 0x10001, v48
	v_pk_fma_f16 v23, v49, v64, v23
	ds_load_2addr_b32 v[20:21], v107 offset0:64 offset1:96
	v_pk_fma_f16 v48, v49, v48, v77
	s_wait_dscnt 0x1
	v_lshrrev_b32_e32 v65, 16, v16
	v_and_b32_e32 v16, 0xffff, v16
	v_lshrrev_b32_e32 v75, 16, v17
	v_lshrrev_b32_e32 v76, 16, v18
	;; [unrolled: 1-line block ×3, first 2 shown]
	v_and_b32_e32 v17, 0xffff, v17
	v_mul_u32_u24_e32 v16, 0x10001, v16
	v_and_b32_e32 v18, 0xffff, v18
	v_and_b32_e32 v19, 0xffff, v19
	v_mul_u32_u24_e32 v65, 0x10001, v65
	v_mul_u32_u24_e32 v17, 0x10001, v17
	v_pk_fma_f16 v24, v49, v16, v24
	v_lshrrev_b32_e32 v16, 16, v66
	v_mul_u32_u24_e32 v18, 0x10001, v18
	v_mul_u32_u24_e32 v19, 0x10001, v19
	;; [unrolled: 1-line block ×5, first 2 shown]
	v_and_b32_e32 v16, 0xffff, v67
	v_mul_u32_u24_e32 v79, 0x10001, v79
	v_pk_fma_f16 v25, v49, v65, v25
	v_pk_fma_f16 v26, v49, v17, v26
	;; [unrolled: 1-line block ×3, first 2 shown]
	v_mul_u32_u24_e32 v63, 0x10001, v16
	v_and_b32_e32 v16, 0xffff, v68
	v_pk_fma_f16 v30, v49, v19, v30
	v_lshrrev_b32_e32 v17, 16, v67
	v_lshrrev_b32_e32 v18, 16, v68
	;; [unrolled: 1-line block ×3, first 2 shown]
	v_mul_u32_u24_e32 v65, 0x10001, v16
	v_and_b32_e32 v16, 0xffff, v69
	v_pk_fma_f16 v27, v49, v75, v27
	v_pk_fma_f16 v29, v49, v76, v29
	;; [unrolled: 1-line block ×3, first 2 shown]
	v_and_b32_e32 v49, 0xffff, v66
	v_mul_u32_u24_e32 v64, 0x10001, v17
	v_mul_u32_u24_e32 v66, 0x10001, v18
	;; [unrolled: 1-line block ×4, first 2 shown]
	ds_load_b128 v[16:19], v106 offset:10272
	v_mul_u32_u24_e32 v49, 0x10001, v49
	s_wait_dscnt 0x1
	v_pk_fma_f16 v22, v20, v67, v22
	v_pk_fma_f16 v23, v20, v68, v23
	s_delay_alu instid0(VALU_DEP_3)
	v_pk_fma_f16 v48, v20, v49, v48
	v_pk_fma_f16 v49, v20, v62, v50
	;; [unrolled: 1-line block ×6, first 2 shown]
	s_wait_dscnt 0x0
	v_lshrrev_b32_e32 v69, 16, v16
	v_and_b32_e32 v16, 0xffff, v16
	v_lshrrev_b32_e32 v74, 16, v17
	v_lshrrev_b32_e32 v75, 16, v18
	;; [unrolled: 1-line block ×3, first 2 shown]
	v_and_b32_e32 v17, 0xffff, v17
	v_mul_u32_u24_e32 v16, 0x10001, v16
	v_and_b32_e32 v18, 0xffff, v18
	v_and_b32_e32 v19, 0xffff, v19
	v_mul_u32_u24_e32 v69, 0x10001, v69
	v_mul_u32_u24_e32 v17, 0x10001, v17
	v_pk_fma_f16 v24, v20, v16, v24
	v_lshrrev_b32_e32 v16, 16, v70
	v_mul_u32_u24_e32 v18, 0x10001, v18
	v_mul_u32_u24_e32 v19, 0x10001, v19
	v_pk_fma_f16 v26, v20, v17, v26
	v_lshrrev_b32_e32 v17, 16, v71
	v_mul_u32_u24_e32 v61, 0x10001, v16
	v_and_b32_e32 v16, 0xffff, v71
	v_pk_fma_f16 v28, v20, v18, v28
	v_pk_fma_f16 v30, v20, v19, v30
	v_lshrrev_b32_e32 v18, 16, v72
	v_lshrrev_b32_e32 v19, 16, v73
	v_mul_u32_u24_e32 v62, 0x10001, v16
	v_and_b32_e32 v16, 0xffff, v72
	v_mul_u32_u24_e32 v63, 0x10001, v17
	v_mul_u32_u24_e32 v65, 0x10001, v18
	;; [unrolled: 1-line block ×5, first 2 shown]
	v_and_b32_e32 v16, 0xffff, v73
	v_mul_u32_u24_e32 v75, 0x10001, v75
	v_mul_u32_u24_e32 v76, 0x10001, v76
	v_pk_fma_f16 v25, v20, v69, v25
	v_pk_fma_f16 v27, v20, v74, v27
	v_mul_u32_u24_e32 v66, 0x10001, v16
	ds_load_b128 v[16:19], v106 offset:10288
	v_pk_fma_f16 v29, v20, v75, v29
	v_pk_fma_f16 v20, v20, v76, v31
	v_and_b32_e32 v31, 0xffff, v70
	v_pk_fma_f16 v22, v21, v66, v22
	v_pk_fma_f16 v23, v21, v67, v23
	s_delay_alu instid0(VALU_DEP_3) | instskip(NEXT) | instid1(VALU_DEP_1)
	v_mul_u32_u24_e32 v31, 0x10001, v31
	v_pk_fma_f16 v31, v21, v31, v48
	v_pk_fma_f16 v48, v21, v61, v49
	;; [unrolled: 1-line block ×6, first 2 shown]
	s_wait_dscnt 0x0
	v_lshrrev_b32_e32 v68, 16, v16
	v_lshrrev_b32_e32 v69, 16, v17
	;; [unrolled: 1-line block ×4, first 2 shown]
	v_and_b32_e32 v16, 0xffff, v16
	v_and_b32_e32 v17, 0xffff, v17
	;; [unrolled: 1-line block ×4, first 2 shown]
	v_mul_u32_u24_e32 v68, 0x10001, v68
	v_mul_u32_u24_e32 v16, 0x10001, v16
	;; [unrolled: 1-line block ×8, first 2 shown]
	v_pk_fma_f16 v24, v21, v16, v24
	v_pk_fma_f16 v25, v21, v68, v25
	;; [unrolled: 1-line block ×8, first 2 shown]
	ds_load_2addr_b32 v[20:21], v107 offset0:128 offset1:160
	ds_load_b128 v[16:19], v106 offset:9280
	s_wait_dscnt 0x0
	v_lshrrev_b32_e32 v61, 16, v16
	v_and_b32_e32 v16, 0xffff, v16
	v_lshrrev_b32_e32 v62, 16, v17
	v_lshrrev_b32_e32 v63, 16, v18
	;; [unrolled: 1-line block ×3, first 2 shown]
	v_mul_u32_u24_e32 v61, 0x10001, v61
	v_mul_u32_u24_e32 v65, 0x10001, v16
	v_and_b32_e32 v16, 0xffff, v17
	v_mul_u32_u24_e32 v62, 0x10001, v62
	v_mul_u32_u24_e32 v63, 0x10001, v63
	;; [unrolled: 1-line block ×3, first 2 shown]
	v_pk_fma_f16 v31, v20, v65, v31
	v_mul_u32_u24_e32 v66, 0x10001, v16
	v_and_b32_e32 v16, 0xffff, v18
	v_pk_fma_f16 v48, v20, v61, v48
	v_pk_fma_f16 v50, v20, v62, v50
	;; [unrolled: 1-line block ×4, first 2 shown]
	v_mul_u32_u24_e32 v67, 0x10001, v16
	v_and_b32_e32 v16, 0xffff, v19
	v_pk_fma_f16 v23, v20, v64, v23
	s_delay_alu instid0(VALU_DEP_3) | instskip(NEXT) | instid1(VALU_DEP_3)
	v_pk_fma_f16 v58, v20, v67, v58
	v_mul_u32_u24_e32 v68, 0x10001, v16
	ds_load_b128 v[16:19], v106 offset:10304
	v_pk_fma_f16 v22, v20, v68, v22
	s_wait_dscnt 0x0
	v_lshrrev_b32_e32 v69, 16, v16
	v_lshrrev_b32_e32 v70, 16, v17
	;; [unrolled: 1-line block ×4, first 2 shown]
	v_and_b32_e32 v16, 0xffff, v16
	v_and_b32_e32 v17, 0xffff, v17
	;; [unrolled: 1-line block ×4, first 2 shown]
	v_mul_u32_u24_e32 v69, 0x10001, v69
	v_mul_u32_u24_e32 v16, 0x10001, v16
	;; [unrolled: 1-line block ×6, first 2 shown]
	v_pk_fma_f16 v24, v20, v16, v24
	v_pk_fma_f16 v26, v20, v17, v26
	v_pk_fma_f16 v28, v20, v18, v28
	v_pk_fma_f16 v30, v20, v19, v30
	ds_load_b128 v[16:19], v106 offset:9296
	v_mul_u32_u24_e32 v71, 0x10001, v71
	v_mul_u32_u24_e32 v72, 0x10001, v72
	v_pk_fma_f16 v25, v20, v69, v25
	v_pk_fma_f16 v27, v20, v70, v27
	s_delay_alu instid0(VALU_DEP_4) | instskip(NEXT) | instid1(VALU_DEP_4)
	v_pk_fma_f16 v29, v20, v71, v29
	v_pk_fma_f16 v20, v20, v72, v60
	s_wait_dscnt 0x0
	v_lshrrev_b32_e32 v60, 16, v16
	v_and_b32_e32 v16, 0xffff, v16
	v_lshrrev_b32_e32 v61, 16, v17
	v_lshrrev_b32_e32 v62, 16, v18
	;; [unrolled: 1-line block ×3, first 2 shown]
	v_mul_u32_u24_e32 v60, 0x10001, v60
	v_mul_u32_u24_e32 v64, 0x10001, v16
	v_and_b32_e32 v16, 0xffff, v17
	v_mul_u32_u24_e32 v61, 0x10001, v61
	v_mul_u32_u24_e32 v62, 0x10001, v62
	;; [unrolled: 1-line block ×3, first 2 shown]
	v_pk_fma_f16 v31, v21, v64, v31
	v_mul_u32_u24_e32 v65, 0x10001, v16
	v_and_b32_e32 v16, 0xffff, v18
	v_pk_fma_f16 v48, v21, v60, v48
	v_pk_fma_f16 v50, v21, v61, v50
	;; [unrolled: 1-line block ×4, first 2 shown]
	v_mul_u32_u24_e32 v66, 0x10001, v16
	v_and_b32_e32 v16, 0xffff, v19
	v_pk_fma_f16 v23, v21, v63, v23
	s_delay_alu instid0(VALU_DEP_3) | instskip(NEXT) | instid1(VALU_DEP_3)
	v_pk_fma_f16 v58, v21, v66, v58
	v_mul_u32_u24_e32 v67, 0x10001, v16
	ds_load_b128 v[16:19], v106 offset:10320
	v_pk_fma_f16 v22, v21, v67, v22
	s_wait_dscnt 0x0
	v_lshrrev_b32_e32 v68, 16, v16
	v_lshrrev_b32_e32 v69, 16, v17
	;; [unrolled: 1-line block ×4, first 2 shown]
	v_and_b32_e32 v16, 0xffff, v16
	v_and_b32_e32 v17, 0xffff, v17
	;; [unrolled: 1-line block ×4, first 2 shown]
	v_mul_u32_u24_e32 v68, 0x10001, v68
	v_mul_u32_u24_e32 v16, 0x10001, v16
	;; [unrolled: 1-line block ×8, first 2 shown]
	v_pk_fma_f16 v24, v21, v16, v24
	v_pk_fma_f16 v25, v21, v68, v25
	v_pk_fma_f16 v26, v21, v17, v26
	v_pk_fma_f16 v27, v21, v69, v27
	v_pk_fma_f16 v28, v21, v18, v28
	v_pk_fma_f16 v29, v21, v70, v29
	v_pk_fma_f16 v30, v21, v19, v30
	v_pk_fma_f16 v60, v21, v71, v20
	ds_load_2addr_b32 v[20:21], v107 offset0:192 offset1:224
	ds_load_b128 v[16:19], v106 offset:9312
	s_wait_dscnt 0x0
	v_lshrrev_b32_e32 v61, 16, v16
	v_and_b32_e32 v16, 0xffff, v16
	v_lshrrev_b32_e32 v62, 16, v17
	v_lshrrev_b32_e32 v63, 16, v18
	;; [unrolled: 1-line block ×3, first 2 shown]
	v_mul_u32_u24_e32 v61, 0x10001, v61
	v_mul_u32_u24_e32 v65, 0x10001, v16
	v_and_b32_e32 v16, 0xffff, v17
	v_mul_u32_u24_e32 v62, 0x10001, v62
	v_mul_u32_u24_e32 v63, 0x10001, v63
	;; [unrolled: 1-line block ×3, first 2 shown]
	v_pk_fma_f16 v31, v20, v65, v31
	v_mul_u32_u24_e32 v66, 0x10001, v16
	v_and_b32_e32 v16, 0xffff, v18
	v_pk_fma_f16 v48, v20, v61, v48
	v_pk_fma_f16 v50, v20, v62, v50
	;; [unrolled: 1-line block ×4, first 2 shown]
	v_mul_u32_u24_e32 v67, 0x10001, v16
	v_and_b32_e32 v16, 0xffff, v19
	v_pk_fma_f16 v23, v20, v64, v23
	s_delay_alu instid0(VALU_DEP_3) | instskip(NEXT) | instid1(VALU_DEP_3)
	v_pk_fma_f16 v58, v20, v67, v58
	v_mul_u32_u24_e32 v68, 0x10001, v16
	ds_load_b128 v[16:19], v106 offset:10336
	v_pk_fma_f16 v22, v20, v68, v22
	s_wait_dscnt 0x0
	v_lshrrev_b32_e32 v69, 16, v16
	v_lshrrev_b32_e32 v70, 16, v17
	;; [unrolled: 1-line block ×4, first 2 shown]
	v_and_b32_e32 v16, 0xffff, v16
	v_and_b32_e32 v17, 0xffff, v17
	;; [unrolled: 1-line block ×4, first 2 shown]
	v_mul_u32_u24_e32 v69, 0x10001, v69
	v_mul_u32_u24_e32 v16, 0x10001, v16
	;; [unrolled: 1-line block ×6, first 2 shown]
	v_pk_fma_f16 v24, v20, v16, v24
	v_pk_fma_f16 v26, v20, v17, v26
	v_pk_fma_f16 v28, v20, v18, v28
	v_pk_fma_f16 v30, v20, v19, v30
	ds_load_b128 v[16:19], v106 offset:9328
	v_mul_u32_u24_e32 v71, 0x10001, v71
	v_mul_u32_u24_e32 v72, 0x10001, v72
	v_pk_fma_f16 v25, v20, v69, v25
	v_pk_fma_f16 v27, v20, v70, v27
	s_delay_alu instid0(VALU_DEP_4) | instskip(NEXT) | instid1(VALU_DEP_4)
	v_pk_fma_f16 v29, v20, v71, v29
	v_pk_fma_f16 v20, v20, v72, v60
	s_wait_dscnt 0x0
	v_lshrrev_b32_e32 v60, 16, v16
	v_and_b32_e32 v16, 0xffff, v16
	v_lshrrev_b32_e32 v61, 16, v17
	v_lshrrev_b32_e32 v62, 16, v18
	;; [unrolled: 1-line block ×3, first 2 shown]
	v_mul_u32_u24_e32 v60, 0x10001, v60
	v_mul_u32_u24_e32 v64, 0x10001, v16
	v_and_b32_e32 v16, 0xffff, v17
	v_mul_u32_u24_e32 v61, 0x10001, v61
	v_mul_u32_u24_e32 v62, 0x10001, v62
	;; [unrolled: 1-line block ×3, first 2 shown]
	v_pk_fma_f16 v31, v21, v64, v31
	v_mul_u32_u24_e32 v65, 0x10001, v16
	v_and_b32_e32 v16, 0xffff, v18
	v_pk_fma_f16 v48, v21, v60, v48
	v_pk_fma_f16 v50, v21, v61, v50
	;; [unrolled: 1-line block ×4, first 2 shown]
	v_mul_u32_u24_e32 v66, 0x10001, v16
	v_and_b32_e32 v16, 0xffff, v19
	v_pk_fma_f16 v23, v21, v63, v23
	s_delay_alu instid0(VALU_DEP_3) | instskip(NEXT) | instid1(VALU_DEP_3)
	v_pk_fma_f16 v58, v21, v66, v58
	v_mul_u32_u24_e32 v67, 0x10001, v16
	ds_load_b128 v[16:19], v106 offset:10352
	v_pk_fma_f16 v60, v21, v67, v22
	s_wait_dscnt 0x0
	v_lshrrev_b32_e32 v70, 16, v18
	v_and_b32_e32 v18, 0xffff, v18
	v_lshrrev_b32_e32 v68, 16, v16
	v_lshrrev_b32_e32 v69, 16, v17
	;; [unrolled: 1-line block ×3, first 2 shown]
	v_and_b32_e32 v16, 0xffff, v16
	v_and_b32_e32 v17, 0xffff, v17
	v_mul_u32_u24_e32 v18, 0x10001, v18
	v_and_b32_e32 v19, 0xffff, v19
	v_mul_u32_u24_e32 v68, 0x10001, v68
	v_mul_u32_u24_e32 v16, 0x10001, v16
	;; [unrolled: 1-line block ×7, first 2 shown]
	v_pk_fma_f16 v28, v21, v18, v28
	v_add_nc_u32_e32 v18, 0x400, v107
	v_pk_fma_f16 v24, v21, v16, v24
	v_pk_fma_f16 v25, v21, v68, v25
	;; [unrolled: 1-line block ×7, first 2 shown]
	ds_load_2addr_b32 v[16:17], v18 offset1:32
	ds_load_b128 v[19:22], v106 offset:9344
	s_wait_dscnt 0x0
	v_lshrrev_b32_e32 v62, 16, v19
	v_and_b32_e32 v19, 0xffff, v19
	v_lshrrev_b32_e32 v63, 16, v20
	v_lshrrev_b32_e32 v64, 16, v21
	;; [unrolled: 1-line block ×3, first 2 shown]
	v_mul_u32_u24_e32 v62, 0x10001, v62
	v_mul_u32_u24_e32 v66, 0x10001, v19
	v_and_b32_e32 v19, 0xffff, v20
	v_mul_u32_u24_e32 v63, 0x10001, v63
	v_mul_u32_u24_e32 v64, 0x10001, v64
	;; [unrolled: 1-line block ×3, first 2 shown]
	v_pk_fma_f16 v31, v16, v66, v31
	v_mul_u32_u24_e32 v67, 0x10001, v19
	v_and_b32_e32 v19, 0xffff, v21
	v_pk_fma_f16 v48, v16, v62, v48
	v_pk_fma_f16 v50, v16, v63, v50
	;; [unrolled: 1-line block ×4, first 2 shown]
	v_mul_u32_u24_e32 v68, 0x10001, v19
	v_and_b32_e32 v19, 0xffff, v22
	v_pk_fma_f16 v23, v16, v65, v23
	s_delay_alu instid0(VALU_DEP_3) | instskip(NEXT) | instid1(VALU_DEP_3)
	v_pk_fma_f16 v58, v16, v68, v58
	v_mul_u32_u24_e32 v69, 0x10001, v19
	ds_load_b128 v[19:22], v106 offset:10368
	v_pk_fma_f16 v60, v16, v69, v60
	s_wait_dscnt 0x0
	v_lshrrev_b32_e32 v70, 16, v19
	v_lshrrev_b32_e32 v71, 16, v20
	;; [unrolled: 1-line block ×4, first 2 shown]
	v_and_b32_e32 v19, 0xffff, v19
	v_and_b32_e32 v20, 0xffff, v20
	v_and_b32_e32 v21, 0xffff, v21
	v_and_b32_e32 v22, 0xffff, v22
	v_mul_u32_u24_e32 v70, 0x10001, v70
	v_mul_u32_u24_e32 v19, 0x10001, v19
	;; [unrolled: 1-line block ×6, first 2 shown]
	v_pk_fma_f16 v24, v16, v19, v24
	v_pk_fma_f16 v26, v16, v20, v26
	;; [unrolled: 1-line block ×4, first 2 shown]
	ds_load_b128 v[19:22], v106 offset:9360
	v_mul_u32_u24_e32 v72, 0x10001, v72
	v_mul_u32_u24_e32 v73, 0x10001, v73
	v_pk_fma_f16 v25, v16, v70, v25
	v_pk_fma_f16 v27, v16, v71, v27
	s_delay_alu instid0(VALU_DEP_4) | instskip(NEXT) | instid1(VALU_DEP_4)
	v_pk_fma_f16 v29, v16, v72, v29
	v_pk_fma_f16 v16, v16, v73, v61
	s_wait_dscnt 0x0
	v_lshrrev_b32_e32 v61, 16, v19
	v_and_b32_e32 v19, 0xffff, v19
	v_lshrrev_b32_e32 v62, 16, v20
	v_lshrrev_b32_e32 v63, 16, v21
	v_lshrrev_b32_e32 v64, 16, v22
	v_mul_u32_u24_e32 v61, 0x10001, v61
	v_mul_u32_u24_e32 v65, 0x10001, v19
	v_and_b32_e32 v19, 0xffff, v20
	v_mul_u32_u24_e32 v62, 0x10001, v62
	v_mul_u32_u24_e32 v63, 0x10001, v63
	;; [unrolled: 1-line block ×3, first 2 shown]
	v_pk_fma_f16 v31, v17, v65, v31
	v_mul_u32_u24_e32 v66, 0x10001, v19
	v_and_b32_e32 v19, 0xffff, v21
	v_pk_fma_f16 v48, v17, v61, v48
	v_pk_fma_f16 v50, v17, v62, v50
	;; [unrolled: 1-line block ×4, first 2 shown]
	v_mul_u32_u24_e32 v67, 0x10001, v19
	v_and_b32_e32 v19, 0xffff, v22
	v_pk_fma_f16 v23, v17, v64, v23
	s_delay_alu instid0(VALU_DEP_3) | instskip(NEXT) | instid1(VALU_DEP_3)
	v_pk_fma_f16 v58, v17, v67, v58
	v_mul_u32_u24_e32 v68, 0x10001, v19
	ds_load_b128 v[19:22], v106 offset:10384
	v_pk_fma_f16 v60, v17, v68, v60
	s_wait_dscnt 0x0
	v_lshrrev_b32_e32 v69, 16, v19
	v_lshrrev_b32_e32 v70, 16, v20
	;; [unrolled: 1-line block ×4, first 2 shown]
	v_and_b32_e32 v19, 0xffff, v19
	v_and_b32_e32 v20, 0xffff, v20
	;; [unrolled: 1-line block ×4, first 2 shown]
	v_mul_u32_u24_e32 v69, 0x10001, v69
	v_mul_u32_u24_e32 v19, 0x10001, v19
	v_mul_u32_u24_e32 v20, 0x10001, v20
	v_mul_u32_u24_e32 v70, 0x10001, v70
	v_mul_u32_u24_e32 v21, 0x10001, v21
	v_mul_u32_u24_e32 v71, 0x10001, v71
	v_mul_u32_u24_e32 v22, 0x10001, v22
	v_mul_u32_u24_e32 v72, 0x10001, v72
	v_pk_fma_f16 v24, v17, v19, v24
	v_pk_fma_f16 v25, v17, v69, v25
	;; [unrolled: 1-line block ×8, first 2 shown]
	ds_load_2addr_b32 v[16:17], v18 offset0:64 offset1:96
	ds_load_b128 v[19:22], v106 offset:9376
	s_wait_dscnt 0x0
	v_lshrrev_b32_e32 v62, 16, v19
	v_and_b32_e32 v19, 0xffff, v19
	v_lshrrev_b32_e32 v63, 16, v20
	v_lshrrev_b32_e32 v64, 16, v21
	;; [unrolled: 1-line block ×3, first 2 shown]
	v_mul_u32_u24_e32 v62, 0x10001, v62
	v_mul_u32_u24_e32 v66, 0x10001, v19
	v_and_b32_e32 v19, 0xffff, v20
	v_mul_u32_u24_e32 v63, 0x10001, v63
	v_mul_u32_u24_e32 v65, 0x10001, v65
	v_pk_fma_f16 v48, v16, v62, v48
	v_mul_u32_u24_e32 v64, 0x10001, v64
	v_mul_u32_u24_e32 v67, 0x10001, v19
	v_and_b32_e32 v19, 0xffff, v21
	v_pk_fma_f16 v50, v16, v63, v50
	v_pk_fma_f16 v62, v16, v65, v23
	;; [unrolled: 1-line block ×4, first 2 shown]
	v_mul_u32_u24_e32 v68, 0x10001, v19
	v_and_b32_e32 v19, 0xffff, v22
	v_pk_fma_f16 v59, v16, v64, v59
	s_delay_alu instid0(VALU_DEP_3) | instskip(NEXT) | instid1(VALU_DEP_3)
	v_pk_fma_f16 v58, v16, v68, v58
	v_mul_u32_u24_e32 v69, 0x10001, v19
	ds_load_b128 v[19:22], v106 offset:10400
	v_pk_fma_f16 v60, v16, v69, v60
	s_wait_dscnt 0x0
	v_lshrrev_b32_e32 v70, 16, v19
	v_lshrrev_b32_e32 v71, 16, v20
	;; [unrolled: 1-line block ×4, first 2 shown]
	v_and_b32_e32 v19, 0xffff, v19
	v_and_b32_e32 v20, 0xffff, v20
	;; [unrolled: 1-line block ×4, first 2 shown]
	v_mul_u32_u24_e32 v70, 0x10001, v70
	v_mul_u32_u24_e32 v19, 0x10001, v19
	;; [unrolled: 1-line block ×6, first 2 shown]
	v_pk_fma_f16 v63, v16, v19, v24
	v_pk_fma_f16 v65, v16, v20, v26
	;; [unrolled: 1-line block ×4, first 2 shown]
	ds_load_b128 v[19:22], v106 offset:9392
	v_mul_u32_u24_e32 v72, 0x10001, v72
	v_mul_u32_u24_e32 v73, 0x10001, v73
	v_pk_fma_f16 v64, v16, v70, v25
	v_pk_fma_f16 v27, v16, v71, v27
	s_delay_alu instid0(VALU_DEP_4) | instskip(NEXT) | instid1(VALU_DEP_4)
	v_pk_fma_f16 v29, v16, v72, v29
	v_pk_fma_f16 v16, v16, v73, v61
	s_wait_dscnt 0x0
	v_lshrrev_b32_e32 v23, 16, v19
	v_and_b32_e32 v19, 0xffff, v19
	v_lshrrev_b32_e32 v24, 16, v20
	v_lshrrev_b32_e32 v25, 16, v21
	;; [unrolled: 1-line block ×3, first 2 shown]
	v_mul_u32_u24_e32 v23, 0x10001, v23
	v_mul_u32_u24_e32 v61, 0x10001, v19
	v_and_b32_e32 v19, 0xffff, v20
	v_mul_u32_u24_e32 v24, 0x10001, v24
	v_mul_u32_u24_e32 v25, 0x10001, v25
	;; [unrolled: 1-line block ×3, first 2 shown]
	s_delay_alu instid0(VALU_DEP_4) | instskip(SKIP_1) | instid1(VALU_DEP_3)
	v_mul_u32_u24_e32 v66, 0x10001, v19
	v_and_b32_e32 v19, 0xffff, v21
	v_pk_fma_f16 v26, v17, v26, v62
	s_delay_alu instid0(VALU_DEP_2) | instskip(SKIP_1) | instid1(VALU_DEP_1)
	v_mul_u32_u24_e32 v67, 0x10001, v19
	v_and_b32_e32 v19, 0xffff, v22
	v_mul_u32_u24_e32 v68, 0x10001, v19
	ds_load_b128 v[19:22], v106 offset:10416
	s_wait_dscnt 0x0
	v_lshrrev_b32_e32 v69, 16, v19
	v_and_b32_e32 v19, 0xffff, v19
	v_lshrrev_b32_e32 v70, 16, v20
	v_lshrrev_b32_e32 v71, 16, v21
	;; [unrolled: 1-line block ×3, first 2 shown]
	v_mul_u32_u24_e32 v69, 0x10001, v69
	v_mul_u32_u24_e32 v73, 0x10001, v19
	v_and_b32_e32 v19, 0xffff, v20
	v_mul_u32_u24_e32 v70, 0x10001, v70
	v_mul_u32_u24_e32 v71, 0x10001, v71
	;; [unrolled: 1-line block ×3, first 2 shown]
	v_pk_fma_f16 v20, v17, v23, v48
	v_mul_u32_u24_e32 v74, 0x10001, v19
	v_and_b32_e32 v19, 0xffff, v21
	v_pk_fma_f16 v21, v17, v66, v49
	v_pk_fma_f16 v23, v17, v67, v58
	v_pk_fma_f16 v58, v17, v69, v64
	v_pk_fma_f16 v62, v17, v71, v29
	v_mul_u32_u24_e32 v75, 0x10001, v19
	v_and_b32_e32 v19, 0xffff, v22
	v_pk_fma_f16 v22, v17, v24, v50
	v_pk_fma_f16 v24, v17, v25, v59
	v_pk_fma_f16 v25, v17, v68, v60
	v_pk_fma_f16 v50, v17, v73, v63
	v_mul_u32_u24_e32 v76, 0x10001, v19
	v_pk_fma_f16 v19, v17, v61, v31
	v_pk_fma_f16 v59, v17, v74, v65
	;; [unrolled: 1-line block ×6, first 2 shown]
	ds_load_2addr_b32 v[16:17], v18 offset0:128 offset1:160
	ds_load_b128 v[27:30], v106 offset:9408
	s_wait_dscnt 0x0
	v_lshrrev_b32_e32 v31, 16, v27
	v_and_b32_e32 v27, 0xffff, v27
	v_lshrrev_b32_e32 v48, 16, v28
	v_lshrrev_b32_e32 v49, 16, v29
	;; [unrolled: 1-line block ×3, first 2 shown]
	v_mul_u32_u24_e32 v31, 0x10001, v31
	v_mul_u32_u24_e32 v66, 0x10001, v27
	v_and_b32_e32 v27, 0xffff, v28
	v_mul_u32_u24_e32 v68, 0x10001, v48
	v_mul_u32_u24_e32 v70, 0x10001, v49
	;; [unrolled: 1-line block ×3, first 2 shown]
	s_delay_alu instid0(VALU_DEP_4) | instskip(SKIP_1) | instid1(VALU_DEP_3)
	v_mul_u32_u24_e32 v67, 0x10001, v27
	v_and_b32_e32 v27, 0xffff, v29
	v_pk_fma_f16 v26, v16, v65, v26
	s_delay_alu instid0(VALU_DEP_2) | instskip(SKIP_1) | instid1(VALU_DEP_1)
	v_mul_u32_u24_e32 v69, 0x10001, v27
	v_and_b32_e32 v27, 0xffff, v30
	v_mul_u32_u24_e32 v71, 0x10001, v27
	ds_load_b128 v[27:30], v106 offset:10432
	s_wait_dscnt 0x0
	v_lshrrev_b32_e32 v48, 16, v27
	v_and_b32_e32 v27, 0xffff, v27
	v_lshrrev_b32_e32 v49, 16, v28
	v_lshrrev_b32_e32 v72, 16, v29
	v_lshrrev_b32_e32 v73, 16, v30
	v_mul_u32_u24_e32 v75, 0x10001, v48
	v_mul_u32_u24_e32 v74, 0x10001, v27
	v_and_b32_e32 v27, 0xffff, v28
	v_mul_u32_u24_e32 v77, 0x10001, v49
	v_mul_u32_u24_e32 v72, 0x10001, v72
	v_pk_fma_f16 v49, v16, v66, v19
	v_pk_fma_f16 v48, v16, v31, v20
	v_mul_u32_u24_e32 v76, 0x10001, v27
	v_and_b32_e32 v27, 0xffff, v29
	v_pk_fma_f16 v31, v16, v67, v21
	v_pk_fma_f16 v20, v16, v72, v62
	v_mul_u32_u24_e32 v73, 0x10001, v73
	v_pk_fma_f16 v29, v16, v69, v23
	v_mul_u32_u24_e32 v78, 0x10001, v27
	v_and_b32_e32 v27, 0xffff, v30
	v_pk_fma_f16 v30, v16, v68, v22
	v_pk_fma_f16 v22, v16, v77, v60
	;; [unrolled: 1-line block ×4, first 2 shown]
	v_mul_u32_u24_e32 v79, 0x10001, v27
	v_pk_fma_f16 v27, v16, v71, v25
	v_pk_fma_f16 v25, v16, v74, v50
	;; [unrolled: 1-line block ×5, first 2 shown]
	ds_load_b128 v[60:63], v106 offset:9424
	v_pk_fma_f16 v16, v16, v73, v64
	s_wait_dscnt 0x0
	v_lshrrev_b32_e32 v50, 16, v60
	v_lshrrev_b32_e32 v59, 16, v61
	;; [unrolled: 1-line block ×4, first 2 shown]
	v_and_b32_e32 v58, 0xffff, v60
	v_and_b32_e32 v60, 0xffff, v61
	;; [unrolled: 1-line block ×4, first 2 shown]
	v_mul_u32_u24_e32 v50, 0x10001, v50
	v_mul_u32_u24_e32 v58, 0x10001, v58
	;; [unrolled: 1-line block ×7, first 2 shown]
	ds_load_b128 v[65:68], v106 offset:10448
	v_mul_u32_u24_e32 v59, 0x10001, v59
	v_pk_fma_f16 v49, v17, v58, v49
	v_pk_fma_f16 v48, v17, v50, v48
	;; [unrolled: 1-line block ×8, first 2 shown]
	s_wait_dscnt 0x0
	v_lshrrev_b32_e32 v69, 16, v65
	v_lshrrev_b32_e32 v70, 16, v66
	;; [unrolled: 1-line block ×4, first 2 shown]
	v_and_b32_e32 v65, 0xffff, v65
	v_and_b32_e32 v66, 0xffff, v66
	;; [unrolled: 1-line block ×4, first 2 shown]
	v_mul_u32_u24_e32 v69, 0x10001, v69
	v_mul_u32_u24_e32 v65, 0x10001, v65
	;; [unrolled: 1-line block ×8, first 2 shown]
	v_pk_fma_f16 v25, v17, v65, v25
	v_pk_fma_f16 v24, v17, v69, v24
	v_pk_fma_f16 v23, v17, v66, v23
	v_pk_fma_f16 v22, v17, v70, v22
	v_pk_fma_f16 v50, v17, v67, v21
	v_pk_fma_f16 v58, v17, v71, v20
	v_pk_fma_f16 v59, v17, v68, v19
	v_pk_fma_f16 v60, v17, v72, v16
	ds_load_2addr_b32 v[20:21], v18 offset0:192 offset1:224
	ds_load_b128 v[16:19], v106 offset:9440
	s_wait_dscnt 0x0
	v_lshrrev_b32_e32 v61, 16, v16
	v_and_b32_e32 v16, 0xffff, v16
	v_lshrrev_b32_e32 v62, 16, v17
	v_lshrrev_b32_e32 v63, 16, v18
	;; [unrolled: 1-line block ×3, first 2 shown]
	v_mul_u32_u24_e32 v61, 0x10001, v61
	v_mul_u32_u24_e32 v65, 0x10001, v16
	v_and_b32_e32 v16, 0xffff, v17
	v_mul_u32_u24_e32 v62, 0x10001, v62
	v_mul_u32_u24_e32 v63, 0x10001, v63
	;; [unrolled: 1-line block ×3, first 2 shown]
	v_pk_fma_f16 v49, v20, v65, v49
	v_mul_u32_u24_e32 v66, 0x10001, v16
	v_and_b32_e32 v16, 0xffff, v18
	v_pk_fma_f16 v48, v20, v61, v48
	v_pk_fma_f16 v30, v20, v62, v30
	;; [unrolled: 1-line block ×4, first 2 shown]
	v_mul_u32_u24_e32 v67, 0x10001, v16
	v_and_b32_e32 v16, 0xffff, v19
	v_pk_fma_f16 v26, v20, v64, v26
	s_delay_alu instid0(VALU_DEP_3) | instskip(NEXT) | instid1(VALU_DEP_3)
	v_pk_fma_f16 v29, v20, v67, v29
	v_mul_u32_u24_e32 v68, 0x10001, v16
	ds_load_b128 v[16:19], v106 offset:10464
	v_pk_fma_f16 v27, v20, v68, v27
	s_wait_dscnt 0x0
	v_lshrrev_b32_e32 v69, 16, v16
	v_lshrrev_b32_e32 v70, 16, v17
	;; [unrolled: 1-line block ×4, first 2 shown]
	v_and_b32_e32 v16, 0xffff, v16
	v_and_b32_e32 v17, 0xffff, v17
	;; [unrolled: 1-line block ×4, first 2 shown]
	v_mul_u32_u24_e32 v69, 0x10001, v69
	v_mul_u32_u24_e32 v16, 0x10001, v16
	;; [unrolled: 1-line block ×6, first 2 shown]
	v_pk_fma_f16 v25, v20, v16, v25
	v_pk_fma_f16 v23, v20, v17, v23
	;; [unrolled: 1-line block ×4, first 2 shown]
	ds_load_b128 v[16:19], v106 offset:9456
	v_mul_u32_u24_e32 v71, 0x10001, v71
	v_mul_u32_u24_e32 v72, 0x10001, v72
	v_pk_fma_f16 v24, v20, v69, v24
	v_pk_fma_f16 v22, v20, v70, v22
	s_delay_alu instid0(VALU_DEP_4) | instskip(NEXT) | instid1(VALU_DEP_4)
	v_pk_fma_f16 v58, v20, v71, v58
	v_pk_fma_f16 v20, v20, v72, v60
	s_wait_dscnt 0x0
	v_lshrrev_b32_e32 v60, 16, v16
	v_and_b32_e32 v16, 0xffff, v16
	v_lshrrev_b32_e32 v61, 16, v17
	v_lshrrev_b32_e32 v62, 16, v18
	;; [unrolled: 1-line block ×3, first 2 shown]
	v_mul_u32_u24_e32 v60, 0x10001, v60
	v_mul_u32_u24_e32 v64, 0x10001, v16
	v_and_b32_e32 v16, 0xffff, v17
	v_mul_u32_u24_e32 v61, 0x10001, v61
	v_mul_u32_u24_e32 v62, 0x10001, v62
	v_mul_u32_u24_e32 v63, 0x10001, v63
	v_pk_fma_f16 v49, v21, v64, v49
	v_mul_u32_u24_e32 v65, 0x10001, v16
	v_and_b32_e32 v16, 0xffff, v18
	v_pk_fma_f16 v48, v21, v60, v48
	v_pk_fma_f16 v30, v21, v61, v30
	;; [unrolled: 1-line block ×4, first 2 shown]
	v_mul_u32_u24_e32 v66, 0x10001, v16
	v_and_b32_e32 v16, 0xffff, v19
	v_pk_fma_f16 v26, v21, v63, v26
	s_delay_alu instid0(VALU_DEP_3) | instskip(NEXT) | instid1(VALU_DEP_3)
	v_pk_fma_f16 v29, v21, v66, v29
	v_mul_u32_u24_e32 v67, 0x10001, v16
	ds_load_b128 v[16:19], v106 offset:10480
	v_pk_fma_f16 v27, v21, v67, v27
	s_wait_dscnt 0x0
	v_lshrrev_b32_e32 v68, 16, v16
	v_and_b32_e32 v16, 0xffff, v16
	v_lshrrev_b32_e32 v69, 16, v17
	v_lshrrev_b32_e32 v70, 16, v18
	;; [unrolled: 1-line block ×3, first 2 shown]
	v_and_b32_e32 v17, 0xffff, v17
	v_mul_u32_u24_e32 v16, 0x10001, v16
	v_and_b32_e32 v18, 0xffff, v18
	v_and_b32_e32 v19, 0xffff, v19
	v_mul_u32_u24_e32 v68, 0x10001, v68
	v_mul_u32_u24_e32 v17, 0x10001, v17
	v_mul_u32_u24_e32 v69, 0x10001, v69
	v_mul_u32_u24_e32 v18, 0x10001, v18
	v_mul_u32_u24_e32 v70, 0x10001, v70
	v_mul_u32_u24_e32 v19, 0x10001, v19
	v_mul_u32_u24_e32 v71, 0x10001, v71
	v_pk_fma_f16 v25, v21, v16, v25
	v_add_nc_u32_e32 v16, 0x800, v107
	v_pk_fma_f16 v24, v21, v68, v24
	v_pk_fma_f16 v23, v21, v17, v23
	;; [unrolled: 1-line block ×7, first 2 shown]
	ds_load_2addr_b32 v[21:22], v16 offset1:32
	ds_load_b128 v[17:20], v106 offset:9472
	s_wait_dscnt 0x0
	v_lshrrev_b32_e32 v62, 16, v17
	v_and_b32_e32 v17, 0xffff, v17
	v_lshrrev_b32_e32 v63, 16, v18
	v_lshrrev_b32_e32 v64, 16, v19
	;; [unrolled: 1-line block ×3, first 2 shown]
	v_mul_u32_u24_e32 v62, 0x10001, v62
	v_mul_u32_u24_e32 v66, 0x10001, v17
	v_and_b32_e32 v17, 0xffff, v18
	v_mul_u32_u24_e32 v63, 0x10001, v63
	v_mul_u32_u24_e32 v64, 0x10001, v64
	;; [unrolled: 1-line block ×3, first 2 shown]
	v_pk_fma_f16 v49, v21, v66, v49
	v_mul_u32_u24_e32 v67, 0x10001, v17
	v_and_b32_e32 v17, 0xffff, v19
	v_pk_fma_f16 v48, v21, v62, v48
	v_pk_fma_f16 v30, v21, v63, v30
	;; [unrolled: 1-line block ×4, first 2 shown]
	v_mul_u32_u24_e32 v68, 0x10001, v17
	v_and_b32_e32 v17, 0xffff, v20
	v_pk_fma_f16 v26, v21, v65, v26
	s_delay_alu instid0(VALU_DEP_3) | instskip(NEXT) | instid1(VALU_DEP_3)
	v_pk_fma_f16 v29, v21, v68, v29
	v_mul_u32_u24_e32 v69, 0x10001, v17
	ds_load_b128 v[17:20], v106 offset:10496
	v_pk_fma_f16 v27, v21, v69, v27
	s_wait_dscnt 0x0
	v_lshrrev_b32_e32 v70, 16, v17
	v_lshrrev_b32_e32 v71, 16, v18
	;; [unrolled: 1-line block ×4, first 2 shown]
	v_and_b32_e32 v17, 0xffff, v17
	v_and_b32_e32 v18, 0xffff, v18
	;; [unrolled: 1-line block ×4, first 2 shown]
	v_mul_u32_u24_e32 v70, 0x10001, v70
	v_mul_u32_u24_e32 v17, 0x10001, v17
	;; [unrolled: 1-line block ×6, first 2 shown]
	v_pk_fma_f16 v25, v21, v17, v25
	v_pk_fma_f16 v23, v21, v18, v23
	;; [unrolled: 1-line block ×4, first 2 shown]
	ds_load_b128 v[17:20], v106 offset:9488
	v_mul_u32_u24_e32 v72, 0x10001, v72
	v_mul_u32_u24_e32 v73, 0x10001, v73
	v_pk_fma_f16 v24, v21, v70, v24
	v_pk_fma_f16 v60, v21, v71, v60
	s_delay_alu instid0(VALU_DEP_4) | instskip(NEXT) | instid1(VALU_DEP_4)
	v_pk_fma_f16 v58, v21, v72, v58
	v_pk_fma_f16 v21, v21, v73, v61
	s_wait_dscnt 0x0
	v_lshrrev_b32_e32 v61, 16, v17
	v_and_b32_e32 v17, 0xffff, v17
	v_lshrrev_b32_e32 v62, 16, v18
	v_lshrrev_b32_e32 v63, 16, v19
	;; [unrolled: 1-line block ×3, first 2 shown]
	v_mul_u32_u24_e32 v61, 0x10001, v61
	v_mul_u32_u24_e32 v65, 0x10001, v17
	v_and_b32_e32 v17, 0xffff, v18
	v_mul_u32_u24_e32 v62, 0x10001, v62
	v_mul_u32_u24_e32 v63, 0x10001, v63
	;; [unrolled: 1-line block ×3, first 2 shown]
	v_pk_fma_f16 v49, v22, v65, v49
	v_mul_u32_u24_e32 v66, 0x10001, v17
	v_and_b32_e32 v17, 0xffff, v19
	v_pk_fma_f16 v48, v22, v61, v48
	v_pk_fma_f16 v30, v22, v62, v30
	;; [unrolled: 1-line block ×4, first 2 shown]
	v_mul_u32_u24_e32 v67, 0x10001, v17
	v_and_b32_e32 v17, 0xffff, v20
	v_pk_fma_f16 v26, v22, v64, v26
	s_delay_alu instid0(VALU_DEP_3) | instskip(NEXT) | instid1(VALU_DEP_3)
	v_pk_fma_f16 v29, v22, v67, v29
	v_mul_u32_u24_e32 v68, 0x10001, v17
	ds_load_b128 v[17:20], v106 offset:10512
	v_pk_fma_f16 v27, v22, v68, v27
	s_wait_dscnt 0x0
	v_lshrrev_b32_e32 v69, 16, v17
	v_lshrrev_b32_e32 v70, 16, v18
	;; [unrolled: 1-line block ×4, first 2 shown]
	v_and_b32_e32 v17, 0xffff, v17
	v_and_b32_e32 v18, 0xffff, v18
	v_and_b32_e32 v19, 0xffff, v19
	v_and_b32_e32 v20, 0xffff, v20
	v_mul_u32_u24_e32 v69, 0x10001, v69
	v_mul_u32_u24_e32 v17, 0x10001, v17
	;; [unrolled: 1-line block ×8, first 2 shown]
	v_pk_fma_f16 v25, v22, v17, v25
	v_pk_fma_f16 v24, v22, v69, v24
	;; [unrolled: 1-line block ×8, first 2 shown]
	ds_load_2addr_b32 v[21:22], v16 offset0:64 offset1:96
	ds_load_b128 v[17:20], v106 offset:9504
	s_wait_dscnt 0x0
	v_lshrrev_b32_e32 v62, 16, v17
	v_and_b32_e32 v17, 0xffff, v17
	v_lshrrev_b32_e32 v63, 16, v18
	v_lshrrev_b32_e32 v64, 16, v19
	;; [unrolled: 1-line block ×3, first 2 shown]
	v_mul_u32_u24_e32 v62, 0x10001, v62
	v_mul_u32_u24_e32 v66, 0x10001, v17
	v_and_b32_e32 v17, 0xffff, v18
	v_mul_u32_u24_e32 v63, 0x10001, v63
	v_mul_u32_u24_e32 v64, 0x10001, v64
	;; [unrolled: 1-line block ×3, first 2 shown]
	v_pk_fma_f16 v49, v21, v66, v49
	v_mul_u32_u24_e32 v67, 0x10001, v17
	v_and_b32_e32 v17, 0xffff, v19
	v_pk_fma_f16 v48, v21, v62, v48
	v_pk_fma_f16 v30, v21, v63, v30
	v_pk_fma_f16 v28, v21, v64, v28
	v_pk_fma_f16 v31, v21, v67, v31
	v_mul_u32_u24_e32 v68, 0x10001, v17
	v_and_b32_e32 v17, 0xffff, v20
	v_pk_fma_f16 v26, v21, v65, v26
	s_delay_alu instid0(VALU_DEP_3) | instskip(NEXT) | instid1(VALU_DEP_3)
	v_pk_fma_f16 v29, v21, v68, v29
	v_mul_u32_u24_e32 v69, 0x10001, v17
	ds_load_b128 v[17:20], v106 offset:10528
	v_pk_fma_f16 v27, v21, v69, v27
	s_wait_dscnt 0x0
	v_lshrrev_b32_e32 v70, 16, v17
	v_lshrrev_b32_e32 v71, 16, v18
	;; [unrolled: 1-line block ×4, first 2 shown]
	v_and_b32_e32 v17, 0xffff, v17
	v_and_b32_e32 v18, 0xffff, v18
	v_and_b32_e32 v19, 0xffff, v19
	v_and_b32_e32 v20, 0xffff, v20
	v_mul_u32_u24_e32 v70, 0x10001, v70
	v_mul_u32_u24_e32 v17, 0x10001, v17
	;; [unrolled: 1-line block ×6, first 2 shown]
	v_pk_fma_f16 v25, v21, v17, v25
	v_pk_fma_f16 v23, v21, v18, v23
	;; [unrolled: 1-line block ×4, first 2 shown]
	ds_load_b128 v[17:20], v106 offset:9520
	v_mul_u32_u24_e32 v72, 0x10001, v72
	v_mul_u32_u24_e32 v73, 0x10001, v73
	v_pk_fma_f16 v24, v21, v70, v24
	v_pk_fma_f16 v60, v21, v71, v60
	s_delay_alu instid0(VALU_DEP_4) | instskip(NEXT) | instid1(VALU_DEP_4)
	v_pk_fma_f16 v58, v21, v72, v58
	v_pk_fma_f16 v21, v21, v73, v61
	s_wait_dscnt 0x0
	v_lshrrev_b32_e32 v61, 16, v17
	v_and_b32_e32 v17, 0xffff, v17
	v_lshrrev_b32_e32 v62, 16, v18
	v_lshrrev_b32_e32 v63, 16, v19
	;; [unrolled: 1-line block ×3, first 2 shown]
	v_mul_u32_u24_e32 v61, 0x10001, v61
	v_mul_u32_u24_e32 v65, 0x10001, v17
	v_and_b32_e32 v17, 0xffff, v18
	v_mul_u32_u24_e32 v62, 0x10001, v62
	v_mul_u32_u24_e32 v63, 0x10001, v63
	;; [unrolled: 1-line block ×3, first 2 shown]
	v_pk_fma_f16 v49, v22, v65, v49
	v_mul_u32_u24_e32 v66, 0x10001, v17
	v_and_b32_e32 v17, 0xffff, v19
	v_pk_fma_f16 v48, v22, v61, v48
	v_pk_fma_f16 v30, v22, v62, v30
	;; [unrolled: 1-line block ×4, first 2 shown]
	v_mul_u32_u24_e32 v67, 0x10001, v17
	v_and_b32_e32 v17, 0xffff, v20
	v_pk_fma_f16 v26, v22, v64, v26
	s_delay_alu instid0(VALU_DEP_3) | instskip(NEXT) | instid1(VALU_DEP_3)
	v_pk_fma_f16 v29, v22, v67, v29
	v_mul_u32_u24_e32 v68, 0x10001, v17
	ds_load_b128 v[17:20], v106 offset:10544
	v_pk_fma_f16 v27, v22, v68, v27
	s_wait_dscnt 0x0
	v_lshrrev_b32_e32 v69, 16, v17
	v_lshrrev_b32_e32 v70, 16, v18
	;; [unrolled: 1-line block ×4, first 2 shown]
	v_and_b32_e32 v17, 0xffff, v17
	v_and_b32_e32 v18, 0xffff, v18
	;; [unrolled: 1-line block ×4, first 2 shown]
	v_mul_u32_u24_e32 v69, 0x10001, v69
	v_mul_u32_u24_e32 v17, 0x10001, v17
	;; [unrolled: 1-line block ×8, first 2 shown]
	v_pk_fma_f16 v25, v22, v17, v25
	v_pk_fma_f16 v24, v22, v69, v24
	v_pk_fma_f16 v23, v22, v18, v23
	v_pk_fma_f16 v60, v22, v70, v60
	v_pk_fma_f16 v50, v22, v19, v50
	v_pk_fma_f16 v58, v22, v71, v58
	v_pk_fma_f16 v59, v22, v20, v59
	v_pk_fma_f16 v61, v22, v72, v21
	ds_load_2addr_b32 v[21:22], v16 offset0:128 offset1:160
	ds_load_b128 v[17:20], v106 offset:9536
	s_wait_dscnt 0x0
	v_lshrrev_b32_e32 v62, 16, v17
	v_and_b32_e32 v17, 0xffff, v17
	v_lshrrev_b32_e32 v63, 16, v18
	v_lshrrev_b32_e32 v64, 16, v19
	;; [unrolled: 1-line block ×3, first 2 shown]
	v_mul_u32_u24_e32 v62, 0x10001, v62
	v_mul_u32_u24_e32 v66, 0x10001, v17
	v_and_b32_e32 v17, 0xffff, v18
	v_mul_u32_u24_e32 v63, 0x10001, v63
	v_mul_u32_u24_e32 v64, 0x10001, v64
	;; [unrolled: 1-line block ×3, first 2 shown]
	v_pk_fma_f16 v49, v21, v66, v49
	v_mul_u32_u24_e32 v67, 0x10001, v17
	v_and_b32_e32 v17, 0xffff, v19
	v_pk_fma_f16 v48, v21, v62, v48
	v_pk_fma_f16 v30, v21, v63, v30
	;; [unrolled: 1-line block ×4, first 2 shown]
	v_mul_u32_u24_e32 v68, 0x10001, v17
	v_and_b32_e32 v17, 0xffff, v20
	v_pk_fma_f16 v26, v21, v65, v26
	s_delay_alu instid0(VALU_DEP_3) | instskip(NEXT) | instid1(VALU_DEP_3)
	v_pk_fma_f16 v29, v21, v68, v29
	v_mul_u32_u24_e32 v69, 0x10001, v17
	ds_load_b128 v[17:20], v106 offset:10560
	v_pk_fma_f16 v27, v21, v69, v27
	s_wait_dscnt 0x0
	v_lshrrev_b32_e32 v70, 16, v17
	v_lshrrev_b32_e32 v71, 16, v18
	;; [unrolled: 1-line block ×4, first 2 shown]
	v_and_b32_e32 v17, 0xffff, v17
	v_and_b32_e32 v18, 0xffff, v18
	;; [unrolled: 1-line block ×4, first 2 shown]
	v_mul_u32_u24_e32 v70, 0x10001, v70
	v_mul_u32_u24_e32 v17, 0x10001, v17
	;; [unrolled: 1-line block ×6, first 2 shown]
	v_pk_fma_f16 v25, v21, v17, v25
	v_pk_fma_f16 v23, v21, v18, v23
	;; [unrolled: 1-line block ×4, first 2 shown]
	ds_load_b128 v[17:20], v106 offset:9552
	v_mul_u32_u24_e32 v72, 0x10001, v72
	v_mul_u32_u24_e32 v73, 0x10001, v73
	v_pk_fma_f16 v24, v21, v70, v24
	v_pk_fma_f16 v60, v21, v71, v60
	s_delay_alu instid0(VALU_DEP_4) | instskip(NEXT) | instid1(VALU_DEP_4)
	v_pk_fma_f16 v58, v21, v72, v58
	v_pk_fma_f16 v21, v21, v73, v61
	s_wait_dscnt 0x0
	v_lshrrev_b32_e32 v61, 16, v17
	v_and_b32_e32 v17, 0xffff, v17
	v_lshrrev_b32_e32 v62, 16, v18
	v_lshrrev_b32_e32 v63, 16, v19
	;; [unrolled: 1-line block ×3, first 2 shown]
	v_mul_u32_u24_e32 v61, 0x10001, v61
	v_mul_u32_u24_e32 v65, 0x10001, v17
	v_and_b32_e32 v17, 0xffff, v18
	v_mul_u32_u24_e32 v62, 0x10001, v62
	v_mul_u32_u24_e32 v63, 0x10001, v63
	;; [unrolled: 1-line block ×3, first 2 shown]
	v_pk_fma_f16 v49, v22, v65, v49
	v_mul_u32_u24_e32 v66, 0x10001, v17
	v_and_b32_e32 v17, 0xffff, v19
	v_pk_fma_f16 v48, v22, v61, v48
	v_pk_fma_f16 v30, v22, v62, v30
	;; [unrolled: 1-line block ×4, first 2 shown]
	v_mul_u32_u24_e32 v67, 0x10001, v17
	v_and_b32_e32 v17, 0xffff, v20
	v_pk_fma_f16 v26, v22, v64, v26
	s_delay_alu instid0(VALU_DEP_3) | instskip(NEXT) | instid1(VALU_DEP_3)
	v_pk_fma_f16 v29, v22, v67, v29
	v_mul_u32_u24_e32 v68, 0x10001, v17
	ds_load_b128 v[17:20], v106 offset:10576
	v_pk_fma_f16 v27, v22, v68, v27
	s_wait_dscnt 0x0
	v_lshrrev_b32_e32 v69, 16, v17
	v_lshrrev_b32_e32 v70, 16, v18
	;; [unrolled: 1-line block ×4, first 2 shown]
	v_and_b32_e32 v17, 0xffff, v17
	v_and_b32_e32 v18, 0xffff, v18
	v_and_b32_e32 v19, 0xffff, v19
	v_and_b32_e32 v20, 0xffff, v20
	v_mul_u32_u24_e32 v69, 0x10001, v69
	v_mul_u32_u24_e32 v17, 0x10001, v17
	;; [unrolled: 1-line block ×8, first 2 shown]
	v_pk_fma_f16 v25, v22, v17, v25
	v_pk_fma_f16 v24, v22, v69, v24
	;; [unrolled: 1-line block ×8, first 2 shown]
	ds_load_2addr_b32 v[20:21], v16 offset0:192 offset1:224
	ds_load_b128 v[16:19], v106 offset:9568
	s_wait_dscnt 0x0
	v_lshrrev_b32_e32 v61, 16, v16
	v_and_b32_e32 v16, 0xffff, v16
	v_lshrrev_b32_e32 v62, 16, v17
	v_lshrrev_b32_e32 v63, 16, v18
	;; [unrolled: 1-line block ×3, first 2 shown]
	v_mul_u32_u24_e32 v61, 0x10001, v61
	v_mul_u32_u24_e32 v65, 0x10001, v16
	v_and_b32_e32 v16, 0xffff, v17
	v_mul_u32_u24_e32 v62, 0x10001, v62
	v_mul_u32_u24_e32 v63, 0x10001, v63
	;; [unrolled: 1-line block ×3, first 2 shown]
	v_pk_fma_f16 v49, v20, v65, v49
	v_mul_u32_u24_e32 v66, 0x10001, v16
	v_and_b32_e32 v16, 0xffff, v18
	v_pk_fma_f16 v48, v20, v61, v48
	v_pk_fma_f16 v30, v20, v62, v30
	;; [unrolled: 1-line block ×4, first 2 shown]
	v_mul_u32_u24_e32 v67, 0x10001, v16
	v_and_b32_e32 v16, 0xffff, v19
	v_pk_fma_f16 v26, v20, v64, v26
	s_delay_alu instid0(VALU_DEP_3) | instskip(NEXT) | instid1(VALU_DEP_3)
	v_pk_fma_f16 v29, v20, v67, v29
	v_mul_u32_u24_e32 v68, 0x10001, v16
	ds_load_b128 v[16:19], v106 offset:10592
	v_pk_fma_f16 v27, v20, v68, v27
	s_wait_dscnt 0x0
	v_lshrrev_b32_e32 v69, 16, v16
	v_lshrrev_b32_e32 v70, 16, v17
	;; [unrolled: 1-line block ×4, first 2 shown]
	v_and_b32_e32 v16, 0xffff, v16
	v_and_b32_e32 v17, 0xffff, v17
	v_and_b32_e32 v18, 0xffff, v18
	v_and_b32_e32 v19, 0xffff, v19
	v_mul_u32_u24_e32 v69, 0x10001, v69
	v_mul_u32_u24_e32 v16, 0x10001, v16
	;; [unrolled: 1-line block ×6, first 2 shown]
	v_pk_fma_f16 v25, v20, v16, v25
	v_pk_fma_f16 v23, v20, v17, v23
	;; [unrolled: 1-line block ×4, first 2 shown]
	ds_load_b128 v[16:19], v106 offset:9584
	v_mul_u32_u24_e32 v71, 0x10001, v71
	v_mul_u32_u24_e32 v72, 0x10001, v72
	v_pk_fma_f16 v24, v20, v69, v24
	v_pk_fma_f16 v60, v20, v70, v60
	s_delay_alu instid0(VALU_DEP_4) | instskip(NEXT) | instid1(VALU_DEP_4)
	v_pk_fma_f16 v58, v20, v71, v58
	v_pk_fma_f16 v20, v20, v72, v22
	s_wait_dscnt 0x0
	v_lshrrev_b32_e32 v22, 16, v16
	v_and_b32_e32 v16, 0xffff, v16
	v_lshrrev_b32_e32 v61, 16, v17
	v_lshrrev_b32_e32 v62, 16, v18
	;; [unrolled: 1-line block ×3, first 2 shown]
	v_mul_u32_u24_e32 v22, 0x10001, v22
	v_mul_u32_u24_e32 v64, 0x10001, v16
	v_and_b32_e32 v16, 0xffff, v17
	v_mul_u32_u24_e32 v61, 0x10001, v61
	v_mul_u32_u24_e32 v62, 0x10001, v62
	;; [unrolled: 1-line block ×3, first 2 shown]
	v_pk_fma_f16 v49, v21, v64, v49
	v_mul_u32_u24_e32 v65, 0x10001, v16
	v_and_b32_e32 v16, 0xffff, v18
	v_pk_fma_f16 v48, v21, v22, v48
	v_pk_fma_f16 v30, v21, v61, v30
	;; [unrolled: 1-line block ×4, first 2 shown]
	v_mul_u32_u24_e32 v66, 0x10001, v16
	v_and_b32_e32 v16, 0xffff, v19
	v_pk_fma_f16 v26, v21, v63, v26
	s_delay_alu instid0(VALU_DEP_3) | instskip(NEXT) | instid1(VALU_DEP_3)
	v_pk_fma_f16 v29, v21, v66, v29
	v_mul_u32_u24_e32 v67, 0x10001, v16
	ds_load_b128 v[16:19], v106 offset:10608
	v_pk_fma_f16 v27, v21, v67, v27
	s_wait_dscnt 0x0
	v_lshrrev_b32_e32 v68, 16, v16
	v_and_b32_e32 v16, 0xffff, v16
	v_lshrrev_b32_e32 v69, 16, v17
	v_lshrrev_b32_e32 v70, 16, v18
	;; [unrolled: 1-line block ×3, first 2 shown]
	v_and_b32_e32 v17, 0xffff, v17
	v_mul_u32_u24_e32 v16, 0x10001, v16
	v_and_b32_e32 v18, 0xffff, v18
	v_and_b32_e32 v19, 0xffff, v19
	v_mul_u32_u24_e32 v68, 0x10001, v68
	v_mul_u32_u24_e32 v17, 0x10001, v17
	;; [unrolled: 1-line block ×7, first 2 shown]
	v_pk_fma_f16 v25, v21, v16, v25
	v_add_nc_u32_e32 v16, 0xc00, v107
	v_pk_fma_f16 v24, v21, v68, v24
	v_pk_fma_f16 v23, v21, v17, v23
	;; [unrolled: 1-line block ×7, first 2 shown]
	ds_load_2addr_b32 v[21:22], v16 offset1:32
	ds_load_b128 v[17:20], v106 offset:9600
	s_wait_dscnt 0x0
	v_lshrrev_b32_e32 v62, 16, v17
	v_and_b32_e32 v17, 0xffff, v17
	v_lshrrev_b32_e32 v63, 16, v18
	v_lshrrev_b32_e32 v64, 16, v19
	;; [unrolled: 1-line block ×3, first 2 shown]
	v_mul_u32_u24_e32 v62, 0x10001, v62
	v_mul_u32_u24_e32 v66, 0x10001, v17
	v_and_b32_e32 v17, 0xffff, v18
	v_mul_u32_u24_e32 v63, 0x10001, v63
	v_mul_u32_u24_e32 v64, 0x10001, v64
	;; [unrolled: 1-line block ×3, first 2 shown]
	v_pk_fma_f16 v49, v21, v66, v49
	v_mul_u32_u24_e32 v67, 0x10001, v17
	v_and_b32_e32 v17, 0xffff, v19
	v_pk_fma_f16 v48, v21, v62, v48
	v_pk_fma_f16 v30, v21, v63, v30
	v_pk_fma_f16 v28, v21, v64, v28
	v_pk_fma_f16 v31, v21, v67, v31
	v_mul_u32_u24_e32 v68, 0x10001, v17
	v_and_b32_e32 v17, 0xffff, v20
	v_pk_fma_f16 v26, v21, v65, v26
	s_delay_alu instid0(VALU_DEP_3) | instskip(NEXT) | instid1(VALU_DEP_3)
	v_pk_fma_f16 v29, v21, v68, v29
	v_mul_u32_u24_e32 v69, 0x10001, v17
	ds_load_b128 v[17:20], v106 offset:10624
	v_pk_fma_f16 v27, v21, v69, v27
	s_wait_dscnt 0x0
	v_lshrrev_b32_e32 v70, 16, v17
	v_lshrrev_b32_e32 v71, 16, v18
	;; [unrolled: 1-line block ×4, first 2 shown]
	v_and_b32_e32 v17, 0xffff, v17
	v_and_b32_e32 v18, 0xffff, v18
	;; [unrolled: 1-line block ×4, first 2 shown]
	v_mul_u32_u24_e32 v70, 0x10001, v70
	v_mul_u32_u24_e32 v17, 0x10001, v17
	;; [unrolled: 1-line block ×6, first 2 shown]
	v_pk_fma_f16 v25, v21, v17, v25
	v_pk_fma_f16 v23, v21, v18, v23
	;; [unrolled: 1-line block ×4, first 2 shown]
	ds_load_b128 v[17:20], v106 offset:9616
	v_mul_u32_u24_e32 v72, 0x10001, v72
	v_mul_u32_u24_e32 v73, 0x10001, v73
	v_pk_fma_f16 v24, v21, v70, v24
	v_pk_fma_f16 v60, v21, v71, v60
	s_delay_alu instid0(VALU_DEP_4) | instskip(NEXT) | instid1(VALU_DEP_4)
	v_pk_fma_f16 v58, v21, v72, v58
	v_pk_fma_f16 v21, v21, v73, v61
	s_wait_dscnt 0x0
	v_lshrrev_b32_e32 v61, 16, v17
	v_and_b32_e32 v17, 0xffff, v17
	v_lshrrev_b32_e32 v62, 16, v18
	v_lshrrev_b32_e32 v63, 16, v19
	;; [unrolled: 1-line block ×3, first 2 shown]
	v_mul_u32_u24_e32 v61, 0x10001, v61
	v_mul_u32_u24_e32 v65, 0x10001, v17
	v_and_b32_e32 v17, 0xffff, v18
	v_mul_u32_u24_e32 v62, 0x10001, v62
	v_mul_u32_u24_e32 v63, 0x10001, v63
	;; [unrolled: 1-line block ×3, first 2 shown]
	v_pk_fma_f16 v49, v22, v65, v49
	v_mul_u32_u24_e32 v66, 0x10001, v17
	v_and_b32_e32 v17, 0xffff, v19
	v_pk_fma_f16 v48, v22, v61, v48
	v_pk_fma_f16 v30, v22, v62, v30
	;; [unrolled: 1-line block ×4, first 2 shown]
	v_mul_u32_u24_e32 v67, 0x10001, v17
	v_and_b32_e32 v17, 0xffff, v20
	v_pk_fma_f16 v26, v22, v64, v26
	s_delay_alu instid0(VALU_DEP_3) | instskip(NEXT) | instid1(VALU_DEP_3)
	v_pk_fma_f16 v29, v22, v67, v29
	v_mul_u32_u24_e32 v68, 0x10001, v17
	ds_load_b128 v[17:20], v106 offset:10640
	v_pk_fma_f16 v27, v22, v68, v27
	s_wait_dscnt 0x0
	v_lshrrev_b32_e32 v69, 16, v17
	v_lshrrev_b32_e32 v70, 16, v18
	;; [unrolled: 1-line block ×4, first 2 shown]
	v_and_b32_e32 v17, 0xffff, v17
	v_and_b32_e32 v18, 0xffff, v18
	;; [unrolled: 1-line block ×4, first 2 shown]
	v_mul_u32_u24_e32 v69, 0x10001, v69
	v_mul_u32_u24_e32 v17, 0x10001, v17
	v_mul_u32_u24_e32 v18, 0x10001, v18
	v_mul_u32_u24_e32 v70, 0x10001, v70
	v_mul_u32_u24_e32 v19, 0x10001, v19
	v_mul_u32_u24_e32 v71, 0x10001, v71
	v_mul_u32_u24_e32 v20, 0x10001, v20
	v_mul_u32_u24_e32 v72, 0x10001, v72
	v_pk_fma_f16 v25, v22, v17, v25
	v_pk_fma_f16 v24, v22, v69, v24
	;; [unrolled: 1-line block ×8, first 2 shown]
	ds_load_2addr_b32 v[21:22], v16 offset0:64 offset1:96
	ds_load_b128 v[17:20], v106 offset:9632
	s_wait_dscnt 0x0
	v_lshrrev_b32_e32 v62, 16, v17
	v_and_b32_e32 v17, 0xffff, v17
	v_lshrrev_b32_e32 v63, 16, v18
	v_lshrrev_b32_e32 v64, 16, v19
	;; [unrolled: 1-line block ×3, first 2 shown]
	v_mul_u32_u24_e32 v62, 0x10001, v62
	v_mul_u32_u24_e32 v66, 0x10001, v17
	v_and_b32_e32 v17, 0xffff, v18
	v_mul_u32_u24_e32 v63, 0x10001, v63
	v_mul_u32_u24_e32 v64, 0x10001, v64
	;; [unrolled: 1-line block ×3, first 2 shown]
	v_pk_fma_f16 v49, v21, v66, v49
	v_mul_u32_u24_e32 v67, 0x10001, v17
	v_and_b32_e32 v17, 0xffff, v19
	v_pk_fma_f16 v48, v21, v62, v48
	v_pk_fma_f16 v30, v21, v63, v30
	;; [unrolled: 1-line block ×4, first 2 shown]
	v_mul_u32_u24_e32 v68, 0x10001, v17
	v_and_b32_e32 v17, 0xffff, v20
	v_pk_fma_f16 v26, v21, v65, v26
	s_delay_alu instid0(VALU_DEP_3) | instskip(NEXT) | instid1(VALU_DEP_3)
	v_pk_fma_f16 v29, v21, v68, v29
	v_mul_u32_u24_e32 v69, 0x10001, v17
	ds_load_b128 v[17:20], v106 offset:10656
	v_pk_fma_f16 v27, v21, v69, v27
	s_wait_dscnt 0x0
	v_lshrrev_b32_e32 v70, 16, v17
	v_lshrrev_b32_e32 v71, 16, v18
	;; [unrolled: 1-line block ×4, first 2 shown]
	v_and_b32_e32 v17, 0xffff, v17
	v_and_b32_e32 v18, 0xffff, v18
	;; [unrolled: 1-line block ×4, first 2 shown]
	v_mul_u32_u24_e32 v70, 0x10001, v70
	v_mul_u32_u24_e32 v17, 0x10001, v17
	;; [unrolled: 1-line block ×6, first 2 shown]
	v_pk_fma_f16 v25, v21, v17, v25
	v_pk_fma_f16 v23, v21, v18, v23
	;; [unrolled: 1-line block ×4, first 2 shown]
	ds_load_b128 v[17:20], v106 offset:9648
	v_mul_u32_u24_e32 v72, 0x10001, v72
	v_mul_u32_u24_e32 v73, 0x10001, v73
	v_pk_fma_f16 v24, v21, v70, v24
	v_pk_fma_f16 v60, v21, v71, v60
	s_delay_alu instid0(VALU_DEP_4) | instskip(NEXT) | instid1(VALU_DEP_4)
	v_pk_fma_f16 v58, v21, v72, v58
	v_pk_fma_f16 v21, v21, v73, v61
	s_wait_dscnt 0x0
	v_lshrrev_b32_e32 v61, 16, v17
	v_and_b32_e32 v17, 0xffff, v17
	v_lshrrev_b32_e32 v62, 16, v18
	v_lshrrev_b32_e32 v63, 16, v19
	;; [unrolled: 1-line block ×3, first 2 shown]
	v_mul_u32_u24_e32 v61, 0x10001, v61
	v_mul_u32_u24_e32 v65, 0x10001, v17
	v_and_b32_e32 v17, 0xffff, v18
	v_mul_u32_u24_e32 v62, 0x10001, v62
	v_mul_u32_u24_e32 v63, 0x10001, v63
	;; [unrolled: 1-line block ×3, first 2 shown]
	v_pk_fma_f16 v49, v22, v65, v49
	v_mul_u32_u24_e32 v66, 0x10001, v17
	v_and_b32_e32 v17, 0xffff, v19
	v_pk_fma_f16 v48, v22, v61, v48
	v_pk_fma_f16 v30, v22, v62, v30
	v_pk_fma_f16 v28, v22, v63, v28
	v_pk_fma_f16 v31, v22, v66, v31
	v_mul_u32_u24_e32 v67, 0x10001, v17
	v_and_b32_e32 v17, 0xffff, v20
	v_pk_fma_f16 v26, v22, v64, v26
	s_delay_alu instid0(VALU_DEP_3) | instskip(NEXT) | instid1(VALU_DEP_3)
	v_pk_fma_f16 v29, v22, v67, v29
	v_mul_u32_u24_e32 v68, 0x10001, v17
	ds_load_b128 v[17:20], v106 offset:10672
	v_pk_fma_f16 v27, v22, v68, v27
	s_wait_dscnt 0x0
	v_lshrrev_b32_e32 v69, 16, v17
	v_lshrrev_b32_e32 v70, 16, v18
	;; [unrolled: 1-line block ×4, first 2 shown]
	v_and_b32_e32 v17, 0xffff, v17
	v_and_b32_e32 v18, 0xffff, v18
	;; [unrolled: 1-line block ×4, first 2 shown]
	v_mul_u32_u24_e32 v69, 0x10001, v69
	v_mul_u32_u24_e32 v17, 0x10001, v17
	;; [unrolled: 1-line block ×8, first 2 shown]
	v_pk_fma_f16 v25, v22, v17, v25
	v_pk_fma_f16 v24, v22, v69, v24
	;; [unrolled: 1-line block ×8, first 2 shown]
	ds_load_2addr_b32 v[21:22], v16 offset0:128 offset1:160
	ds_load_b128 v[17:20], v106 offset:9664
	s_wait_dscnt 0x0
	v_lshrrev_b32_e32 v62, 16, v17
	v_and_b32_e32 v17, 0xffff, v17
	v_lshrrev_b32_e32 v63, 16, v18
	v_lshrrev_b32_e32 v64, 16, v19
	;; [unrolled: 1-line block ×3, first 2 shown]
	v_mul_u32_u24_e32 v62, 0x10001, v62
	v_mul_u32_u24_e32 v66, 0x10001, v17
	v_and_b32_e32 v17, 0xffff, v18
	v_mul_u32_u24_e32 v63, 0x10001, v63
	v_mul_u32_u24_e32 v64, 0x10001, v64
	;; [unrolled: 1-line block ×3, first 2 shown]
	v_pk_fma_f16 v49, v21, v66, v49
	v_mul_u32_u24_e32 v67, 0x10001, v17
	v_and_b32_e32 v17, 0xffff, v19
	v_pk_fma_f16 v48, v21, v62, v48
	v_pk_fma_f16 v30, v21, v63, v30
	;; [unrolled: 1-line block ×4, first 2 shown]
	v_mul_u32_u24_e32 v68, 0x10001, v17
	v_and_b32_e32 v17, 0xffff, v20
	v_pk_fma_f16 v26, v21, v65, v26
	s_delay_alu instid0(VALU_DEP_3) | instskip(NEXT) | instid1(VALU_DEP_3)
	v_pk_fma_f16 v29, v21, v68, v29
	v_mul_u32_u24_e32 v69, 0x10001, v17
	ds_load_b128 v[17:20], v106 offset:10688
	v_pk_fma_f16 v27, v21, v69, v27
	s_wait_dscnt 0x0
	v_lshrrev_b32_e32 v70, 16, v17
	v_lshrrev_b32_e32 v71, 16, v18
	;; [unrolled: 1-line block ×4, first 2 shown]
	v_and_b32_e32 v17, 0xffff, v17
	v_and_b32_e32 v18, 0xffff, v18
	;; [unrolled: 1-line block ×4, first 2 shown]
	v_mul_u32_u24_e32 v70, 0x10001, v70
	v_mul_u32_u24_e32 v17, 0x10001, v17
	;; [unrolled: 1-line block ×6, first 2 shown]
	v_pk_fma_f16 v25, v21, v17, v25
	v_pk_fma_f16 v23, v21, v18, v23
	;; [unrolled: 1-line block ×4, first 2 shown]
	ds_load_b128 v[17:20], v106 offset:9680
	v_mul_u32_u24_e32 v72, 0x10001, v72
	v_mul_u32_u24_e32 v73, 0x10001, v73
	v_pk_fma_f16 v24, v21, v70, v24
	v_pk_fma_f16 v60, v21, v71, v60
	s_delay_alu instid0(VALU_DEP_4) | instskip(NEXT) | instid1(VALU_DEP_4)
	v_pk_fma_f16 v58, v21, v72, v58
	v_pk_fma_f16 v21, v21, v73, v61
	s_wait_dscnt 0x0
	v_lshrrev_b32_e32 v61, 16, v17
	v_and_b32_e32 v17, 0xffff, v17
	v_lshrrev_b32_e32 v62, 16, v18
	v_lshrrev_b32_e32 v63, 16, v19
	;; [unrolled: 1-line block ×3, first 2 shown]
	v_mul_u32_u24_e32 v61, 0x10001, v61
	v_mul_u32_u24_e32 v65, 0x10001, v17
	v_and_b32_e32 v17, 0xffff, v18
	v_mul_u32_u24_e32 v62, 0x10001, v62
	v_mul_u32_u24_e32 v63, 0x10001, v63
	;; [unrolled: 1-line block ×3, first 2 shown]
	v_pk_fma_f16 v49, v22, v65, v49
	v_mul_u32_u24_e32 v66, 0x10001, v17
	v_and_b32_e32 v17, 0xffff, v19
	v_pk_fma_f16 v48, v22, v61, v48
	v_pk_fma_f16 v30, v22, v62, v30
	;; [unrolled: 1-line block ×4, first 2 shown]
	v_mul_u32_u24_e32 v67, 0x10001, v17
	v_and_b32_e32 v17, 0xffff, v20
	v_pk_fma_f16 v26, v22, v64, v26
	s_delay_alu instid0(VALU_DEP_3) | instskip(NEXT) | instid1(VALU_DEP_3)
	v_pk_fma_f16 v29, v22, v67, v29
	v_mul_u32_u24_e32 v68, 0x10001, v17
	ds_load_b128 v[17:20], v106 offset:10704
	v_pk_fma_f16 v27, v22, v68, v27
	s_wait_dscnt 0x0
	v_lshrrev_b32_e32 v69, 16, v17
	v_lshrrev_b32_e32 v70, 16, v18
	;; [unrolled: 1-line block ×4, first 2 shown]
	v_and_b32_e32 v17, 0xffff, v17
	v_and_b32_e32 v18, 0xffff, v18
	;; [unrolled: 1-line block ×4, first 2 shown]
	v_mul_u32_u24_e32 v69, 0x10001, v69
	v_mul_u32_u24_e32 v17, 0x10001, v17
	;; [unrolled: 1-line block ×8, first 2 shown]
	v_pk_fma_f16 v25, v22, v17, v25
	v_pk_fma_f16 v24, v22, v69, v24
	;; [unrolled: 1-line block ×8, first 2 shown]
	ds_load_2addr_b32 v[20:21], v16 offset0:192 offset1:224
	ds_load_b128 v[16:19], v106 offset:9696
	s_wait_dscnt 0x0
	v_lshrrev_b32_e32 v61, 16, v16
	v_and_b32_e32 v16, 0xffff, v16
	v_lshrrev_b32_e32 v62, 16, v17
	v_lshrrev_b32_e32 v63, 16, v18
	;; [unrolled: 1-line block ×3, first 2 shown]
	v_mul_u32_u24_e32 v61, 0x10001, v61
	v_mul_u32_u24_e32 v65, 0x10001, v16
	v_and_b32_e32 v16, 0xffff, v17
	v_mul_u32_u24_e32 v62, 0x10001, v62
	v_mul_u32_u24_e32 v63, 0x10001, v63
	;; [unrolled: 1-line block ×3, first 2 shown]
	v_pk_fma_f16 v49, v20, v65, v49
	v_mul_u32_u24_e32 v66, 0x10001, v16
	v_and_b32_e32 v16, 0xffff, v18
	v_pk_fma_f16 v48, v20, v61, v48
	v_pk_fma_f16 v30, v20, v62, v30
	;; [unrolled: 1-line block ×4, first 2 shown]
	v_mul_u32_u24_e32 v67, 0x10001, v16
	v_and_b32_e32 v16, 0xffff, v19
	v_pk_fma_f16 v26, v20, v64, v26
	s_delay_alu instid0(VALU_DEP_3) | instskip(NEXT) | instid1(VALU_DEP_3)
	v_pk_fma_f16 v29, v20, v67, v29
	v_mul_u32_u24_e32 v68, 0x10001, v16
	ds_load_b128 v[16:19], v106 offset:10720
	v_pk_fma_f16 v27, v20, v68, v27
	s_wait_dscnt 0x0
	v_lshrrev_b32_e32 v69, 16, v16
	v_lshrrev_b32_e32 v70, 16, v17
	;; [unrolled: 1-line block ×4, first 2 shown]
	v_and_b32_e32 v16, 0xffff, v16
	v_and_b32_e32 v17, 0xffff, v17
	;; [unrolled: 1-line block ×4, first 2 shown]
	v_mul_u32_u24_e32 v69, 0x10001, v69
	v_mul_u32_u24_e32 v16, 0x10001, v16
	;; [unrolled: 1-line block ×6, first 2 shown]
	v_pk_fma_f16 v25, v20, v16, v25
	v_pk_fma_f16 v23, v20, v17, v23
	;; [unrolled: 1-line block ×4, first 2 shown]
	ds_load_b128 v[16:19], v106 offset:9712
	v_mul_u32_u24_e32 v71, 0x10001, v71
	v_mul_u32_u24_e32 v72, 0x10001, v72
	v_pk_fma_f16 v24, v20, v69, v24
	v_pk_fma_f16 v60, v20, v70, v60
	s_delay_alu instid0(VALU_DEP_4) | instskip(NEXT) | instid1(VALU_DEP_4)
	v_pk_fma_f16 v58, v20, v71, v58
	v_pk_fma_f16 v20, v20, v72, v22
	s_wait_dscnt 0x0
	v_lshrrev_b32_e32 v22, 16, v16
	v_and_b32_e32 v16, 0xffff, v16
	v_lshrrev_b32_e32 v61, 16, v17
	v_lshrrev_b32_e32 v62, 16, v18
	;; [unrolled: 1-line block ×3, first 2 shown]
	v_mul_u32_u24_e32 v22, 0x10001, v22
	v_mul_u32_u24_e32 v64, 0x10001, v16
	v_and_b32_e32 v16, 0xffff, v17
	v_mul_u32_u24_e32 v61, 0x10001, v61
	v_mul_u32_u24_e32 v62, 0x10001, v62
	;; [unrolled: 1-line block ×3, first 2 shown]
	v_pk_fma_f16 v49, v21, v64, v49
	v_mul_u32_u24_e32 v65, 0x10001, v16
	v_and_b32_e32 v16, 0xffff, v18
	v_pk_fma_f16 v48, v21, v22, v48
	v_pk_fma_f16 v30, v21, v61, v30
	;; [unrolled: 1-line block ×4, first 2 shown]
	v_mul_u32_u24_e32 v66, 0x10001, v16
	v_and_b32_e32 v16, 0xffff, v19
	v_pk_fma_f16 v26, v21, v63, v26
	s_delay_alu instid0(VALU_DEP_3) | instskip(NEXT) | instid1(VALU_DEP_3)
	v_pk_fma_f16 v29, v21, v66, v29
	v_mul_u32_u24_e32 v67, 0x10001, v16
	ds_load_b128 v[16:19], v106 offset:10736
	v_pk_fma_f16 v27, v21, v67, v27
	s_wait_dscnt 0x0
	v_lshrrev_b32_e32 v68, 16, v16
	v_and_b32_e32 v16, 0xffff, v16
	v_lshrrev_b32_e32 v69, 16, v17
	v_lshrrev_b32_e32 v70, 16, v18
	;; [unrolled: 1-line block ×3, first 2 shown]
	v_and_b32_e32 v17, 0xffff, v17
	v_mul_u32_u24_e32 v16, 0x10001, v16
	v_and_b32_e32 v18, 0xffff, v18
	v_and_b32_e32 v19, 0xffff, v19
	v_mul_u32_u24_e32 v68, 0x10001, v68
	v_mul_u32_u24_e32 v17, 0x10001, v17
	;; [unrolled: 1-line block ×7, first 2 shown]
	v_pk_fma_f16 v25, v21, v16, v25
	v_add_nc_u32_e32 v16, 0x1000, v107
	v_pk_fma_f16 v24, v21, v68, v24
	v_pk_fma_f16 v23, v21, v17, v23
	;; [unrolled: 1-line block ×7, first 2 shown]
	ds_load_2addr_b32 v[21:22], v16 offset1:32
	ds_load_b128 v[17:20], v106 offset:9728
	s_wait_dscnt 0x0
	v_lshrrev_b32_e32 v62, 16, v17
	v_and_b32_e32 v17, 0xffff, v17
	v_lshrrev_b32_e32 v63, 16, v18
	v_lshrrev_b32_e32 v64, 16, v19
	;; [unrolled: 1-line block ×3, first 2 shown]
	v_mul_u32_u24_e32 v62, 0x10001, v62
	v_mul_u32_u24_e32 v66, 0x10001, v17
	v_and_b32_e32 v17, 0xffff, v18
	v_mul_u32_u24_e32 v63, 0x10001, v63
	v_mul_u32_u24_e32 v64, 0x10001, v64
	;; [unrolled: 1-line block ×3, first 2 shown]
	v_pk_fma_f16 v49, v21, v66, v49
	v_mul_u32_u24_e32 v67, 0x10001, v17
	v_and_b32_e32 v17, 0xffff, v19
	v_pk_fma_f16 v48, v21, v62, v48
	v_pk_fma_f16 v30, v21, v63, v30
	;; [unrolled: 1-line block ×4, first 2 shown]
	v_mul_u32_u24_e32 v68, 0x10001, v17
	v_and_b32_e32 v17, 0xffff, v20
	v_pk_fma_f16 v26, v21, v65, v26
	s_delay_alu instid0(VALU_DEP_3) | instskip(NEXT) | instid1(VALU_DEP_3)
	v_pk_fma_f16 v29, v21, v68, v29
	v_mul_u32_u24_e32 v69, 0x10001, v17
	ds_load_b128 v[17:20], v106 offset:10752
	v_pk_fma_f16 v27, v21, v69, v27
	s_wait_dscnt 0x0
	v_lshrrev_b32_e32 v70, 16, v17
	v_lshrrev_b32_e32 v71, 16, v18
	;; [unrolled: 1-line block ×4, first 2 shown]
	v_and_b32_e32 v17, 0xffff, v17
	v_and_b32_e32 v18, 0xffff, v18
	;; [unrolled: 1-line block ×4, first 2 shown]
	v_mul_u32_u24_e32 v70, 0x10001, v70
	v_mul_u32_u24_e32 v17, 0x10001, v17
	;; [unrolled: 1-line block ×6, first 2 shown]
	v_pk_fma_f16 v25, v21, v17, v25
	v_pk_fma_f16 v23, v21, v18, v23
	;; [unrolled: 1-line block ×4, first 2 shown]
	ds_load_b128 v[17:20], v106 offset:9744
	v_mul_u32_u24_e32 v72, 0x10001, v72
	v_mul_u32_u24_e32 v73, 0x10001, v73
	v_pk_fma_f16 v24, v21, v70, v24
	v_pk_fma_f16 v60, v21, v71, v60
	s_delay_alu instid0(VALU_DEP_4) | instskip(NEXT) | instid1(VALU_DEP_4)
	v_pk_fma_f16 v58, v21, v72, v58
	v_pk_fma_f16 v21, v21, v73, v61
	s_wait_dscnt 0x0
	v_lshrrev_b32_e32 v61, 16, v17
	v_and_b32_e32 v17, 0xffff, v17
	v_lshrrev_b32_e32 v62, 16, v18
	v_lshrrev_b32_e32 v63, 16, v19
	;; [unrolled: 1-line block ×3, first 2 shown]
	v_mul_u32_u24_e32 v61, 0x10001, v61
	v_mul_u32_u24_e32 v65, 0x10001, v17
	v_and_b32_e32 v17, 0xffff, v18
	v_mul_u32_u24_e32 v62, 0x10001, v62
	v_mul_u32_u24_e32 v63, 0x10001, v63
	;; [unrolled: 1-line block ×3, first 2 shown]
	v_pk_fma_f16 v49, v22, v65, v49
	v_mul_u32_u24_e32 v66, 0x10001, v17
	v_and_b32_e32 v17, 0xffff, v19
	v_pk_fma_f16 v48, v22, v61, v48
	v_pk_fma_f16 v30, v22, v62, v30
	;; [unrolled: 1-line block ×4, first 2 shown]
	v_mul_u32_u24_e32 v67, 0x10001, v17
	v_and_b32_e32 v17, 0xffff, v20
	v_pk_fma_f16 v26, v22, v64, v26
	s_delay_alu instid0(VALU_DEP_3) | instskip(NEXT) | instid1(VALU_DEP_3)
	v_pk_fma_f16 v29, v22, v67, v29
	v_mul_u32_u24_e32 v68, 0x10001, v17
	ds_load_b128 v[17:20], v106 offset:10768
	v_pk_fma_f16 v27, v22, v68, v27
	s_wait_dscnt 0x0
	v_lshrrev_b32_e32 v69, 16, v17
	v_lshrrev_b32_e32 v70, 16, v18
	;; [unrolled: 1-line block ×4, first 2 shown]
	v_and_b32_e32 v17, 0xffff, v17
	v_and_b32_e32 v18, 0xffff, v18
	v_and_b32_e32 v19, 0xffff, v19
	v_and_b32_e32 v20, 0xffff, v20
	v_mul_u32_u24_e32 v69, 0x10001, v69
	v_mul_u32_u24_e32 v17, 0x10001, v17
	;; [unrolled: 1-line block ×8, first 2 shown]
	v_pk_fma_f16 v25, v22, v17, v25
	v_pk_fma_f16 v24, v22, v69, v24
	;; [unrolled: 1-line block ×8, first 2 shown]
	ds_load_2addr_b32 v[21:22], v16 offset0:64 offset1:96
	ds_load_b128 v[17:20], v106 offset:9760
	s_wait_dscnt 0x0
	v_lshrrev_b32_e32 v62, 16, v17
	v_and_b32_e32 v17, 0xffff, v17
	v_lshrrev_b32_e32 v63, 16, v18
	v_lshrrev_b32_e32 v64, 16, v19
	;; [unrolled: 1-line block ×3, first 2 shown]
	v_mul_u32_u24_e32 v62, 0x10001, v62
	v_mul_u32_u24_e32 v66, 0x10001, v17
	v_and_b32_e32 v17, 0xffff, v18
	v_mul_u32_u24_e32 v63, 0x10001, v63
	v_mul_u32_u24_e32 v64, 0x10001, v64
	;; [unrolled: 1-line block ×3, first 2 shown]
	v_pk_fma_f16 v49, v21, v66, v49
	v_mul_u32_u24_e32 v67, 0x10001, v17
	v_and_b32_e32 v17, 0xffff, v19
	v_pk_fma_f16 v48, v21, v62, v48
	v_pk_fma_f16 v30, v21, v63, v30
	;; [unrolled: 1-line block ×4, first 2 shown]
	v_mul_u32_u24_e32 v68, 0x10001, v17
	v_and_b32_e32 v17, 0xffff, v20
	v_pk_fma_f16 v26, v21, v65, v26
	s_delay_alu instid0(VALU_DEP_3) | instskip(NEXT) | instid1(VALU_DEP_3)
	v_pk_fma_f16 v29, v21, v68, v29
	v_mul_u32_u24_e32 v69, 0x10001, v17
	ds_load_b128 v[17:20], v106 offset:10784
	v_pk_fma_f16 v27, v21, v69, v27
	s_wait_dscnt 0x0
	v_lshrrev_b32_e32 v70, 16, v17
	v_lshrrev_b32_e32 v71, 16, v18
	;; [unrolled: 1-line block ×4, first 2 shown]
	v_and_b32_e32 v17, 0xffff, v17
	v_and_b32_e32 v18, 0xffff, v18
	;; [unrolled: 1-line block ×4, first 2 shown]
	v_mul_u32_u24_e32 v70, 0x10001, v70
	v_mul_u32_u24_e32 v17, 0x10001, v17
	;; [unrolled: 1-line block ×6, first 2 shown]
	v_pk_fma_f16 v25, v21, v17, v25
	v_pk_fma_f16 v23, v21, v18, v23
	;; [unrolled: 1-line block ×4, first 2 shown]
	ds_load_b128 v[17:20], v106 offset:9776
	v_mul_u32_u24_e32 v72, 0x10001, v72
	v_mul_u32_u24_e32 v73, 0x10001, v73
	v_pk_fma_f16 v24, v21, v70, v24
	v_pk_fma_f16 v60, v21, v71, v60
	s_delay_alu instid0(VALU_DEP_4) | instskip(NEXT) | instid1(VALU_DEP_4)
	v_pk_fma_f16 v58, v21, v72, v58
	v_pk_fma_f16 v21, v21, v73, v61
	s_wait_dscnt 0x0
	v_lshrrev_b32_e32 v61, 16, v17
	v_and_b32_e32 v17, 0xffff, v17
	v_lshrrev_b32_e32 v62, 16, v18
	v_lshrrev_b32_e32 v63, 16, v19
	;; [unrolled: 1-line block ×3, first 2 shown]
	v_mul_u32_u24_e32 v61, 0x10001, v61
	v_mul_u32_u24_e32 v65, 0x10001, v17
	v_and_b32_e32 v17, 0xffff, v18
	v_mul_u32_u24_e32 v62, 0x10001, v62
	v_mul_u32_u24_e32 v63, 0x10001, v63
	;; [unrolled: 1-line block ×3, first 2 shown]
	v_pk_fma_f16 v49, v22, v65, v49
	v_mul_u32_u24_e32 v66, 0x10001, v17
	v_and_b32_e32 v17, 0xffff, v19
	v_pk_fma_f16 v48, v22, v61, v48
	v_pk_fma_f16 v30, v22, v62, v30
	;; [unrolled: 1-line block ×4, first 2 shown]
	v_mul_u32_u24_e32 v67, 0x10001, v17
	v_and_b32_e32 v17, 0xffff, v20
	v_pk_fma_f16 v26, v22, v64, v26
	s_delay_alu instid0(VALU_DEP_3) | instskip(NEXT) | instid1(VALU_DEP_3)
	v_pk_fma_f16 v29, v22, v67, v29
	v_mul_u32_u24_e32 v68, 0x10001, v17
	ds_load_b128 v[17:20], v106 offset:10800
	v_pk_fma_f16 v27, v22, v68, v27
	s_wait_dscnt 0x0
	v_lshrrev_b32_e32 v69, 16, v17
	v_lshrrev_b32_e32 v70, 16, v18
	;; [unrolled: 1-line block ×4, first 2 shown]
	v_and_b32_e32 v17, 0xffff, v17
	v_and_b32_e32 v18, 0xffff, v18
	;; [unrolled: 1-line block ×4, first 2 shown]
	v_mul_u32_u24_e32 v69, 0x10001, v69
	v_mul_u32_u24_e32 v17, 0x10001, v17
	;; [unrolled: 1-line block ×8, first 2 shown]
	v_pk_fma_f16 v25, v22, v17, v25
	v_pk_fma_f16 v24, v22, v69, v24
	;; [unrolled: 1-line block ×8, first 2 shown]
	ds_load_2addr_b32 v[21:22], v16 offset0:128 offset1:160
	ds_load_b128 v[17:20], v106 offset:9792
	s_wait_dscnt 0x0
	v_lshrrev_b32_e32 v62, 16, v17
	v_and_b32_e32 v17, 0xffff, v17
	v_lshrrev_b32_e32 v63, 16, v18
	v_lshrrev_b32_e32 v64, 16, v19
	;; [unrolled: 1-line block ×3, first 2 shown]
	v_mul_u32_u24_e32 v62, 0x10001, v62
	v_mul_u32_u24_e32 v66, 0x10001, v17
	v_and_b32_e32 v17, 0xffff, v18
	v_mul_u32_u24_e32 v63, 0x10001, v63
	v_mul_u32_u24_e32 v64, 0x10001, v64
	;; [unrolled: 1-line block ×3, first 2 shown]
	v_pk_fma_f16 v49, v21, v66, v49
	v_mul_u32_u24_e32 v67, 0x10001, v17
	v_and_b32_e32 v17, 0xffff, v19
	v_pk_fma_f16 v48, v21, v62, v48
	v_pk_fma_f16 v30, v21, v63, v30
	;; [unrolled: 1-line block ×4, first 2 shown]
	v_mul_u32_u24_e32 v68, 0x10001, v17
	v_and_b32_e32 v17, 0xffff, v20
	v_pk_fma_f16 v26, v21, v65, v26
	s_delay_alu instid0(VALU_DEP_3) | instskip(NEXT) | instid1(VALU_DEP_3)
	v_pk_fma_f16 v29, v21, v68, v29
	v_mul_u32_u24_e32 v69, 0x10001, v17
	ds_load_b128 v[17:20], v106 offset:10816
	v_pk_fma_f16 v27, v21, v69, v27
	s_wait_dscnt 0x0
	v_lshrrev_b32_e32 v70, 16, v17
	v_lshrrev_b32_e32 v71, 16, v18
	;; [unrolled: 1-line block ×4, first 2 shown]
	v_and_b32_e32 v17, 0xffff, v17
	v_and_b32_e32 v18, 0xffff, v18
	;; [unrolled: 1-line block ×4, first 2 shown]
	v_mul_u32_u24_e32 v70, 0x10001, v70
	v_mul_u32_u24_e32 v17, 0x10001, v17
	;; [unrolled: 1-line block ×6, first 2 shown]
	v_pk_fma_f16 v25, v21, v17, v25
	v_pk_fma_f16 v23, v21, v18, v23
	;; [unrolled: 1-line block ×4, first 2 shown]
	ds_load_b128 v[17:20], v106 offset:9808
	v_mul_u32_u24_e32 v72, 0x10001, v72
	v_mul_u32_u24_e32 v73, 0x10001, v73
	v_pk_fma_f16 v24, v21, v70, v24
	v_pk_fma_f16 v60, v21, v71, v60
	s_delay_alu instid0(VALU_DEP_4) | instskip(NEXT) | instid1(VALU_DEP_4)
	v_pk_fma_f16 v58, v21, v72, v58
	v_pk_fma_f16 v21, v21, v73, v61
	s_wait_dscnt 0x0
	v_lshrrev_b32_e32 v61, 16, v17
	v_and_b32_e32 v17, 0xffff, v17
	v_lshrrev_b32_e32 v62, 16, v18
	v_lshrrev_b32_e32 v63, 16, v19
	;; [unrolled: 1-line block ×3, first 2 shown]
	v_mul_u32_u24_e32 v61, 0x10001, v61
	v_mul_u32_u24_e32 v65, 0x10001, v17
	v_and_b32_e32 v17, 0xffff, v18
	v_mul_u32_u24_e32 v62, 0x10001, v62
	v_mul_u32_u24_e32 v63, 0x10001, v63
	;; [unrolled: 1-line block ×3, first 2 shown]
	v_pk_fma_f16 v49, v22, v65, v49
	v_mul_u32_u24_e32 v66, 0x10001, v17
	v_and_b32_e32 v17, 0xffff, v19
	v_pk_fma_f16 v48, v22, v61, v48
	v_pk_fma_f16 v30, v22, v62, v30
	;; [unrolled: 1-line block ×4, first 2 shown]
	v_mul_u32_u24_e32 v67, 0x10001, v17
	v_and_b32_e32 v17, 0xffff, v20
	v_pk_fma_f16 v26, v22, v64, v26
	s_delay_alu instid0(VALU_DEP_3) | instskip(NEXT) | instid1(VALU_DEP_3)
	v_pk_fma_f16 v29, v22, v67, v29
	v_mul_u32_u24_e32 v68, 0x10001, v17
	ds_load_b128 v[17:20], v106 offset:10832
	v_pk_fma_f16 v27, v22, v68, v27
	s_wait_dscnt 0x0
	v_lshrrev_b32_e32 v69, 16, v17
	v_lshrrev_b32_e32 v70, 16, v18
	;; [unrolled: 1-line block ×4, first 2 shown]
	v_and_b32_e32 v17, 0xffff, v17
	v_and_b32_e32 v18, 0xffff, v18
	;; [unrolled: 1-line block ×4, first 2 shown]
	v_mul_u32_u24_e32 v69, 0x10001, v69
	v_mul_u32_u24_e32 v17, 0x10001, v17
	;; [unrolled: 1-line block ×8, first 2 shown]
	v_pk_fma_f16 v25, v22, v17, v25
	v_pk_fma_f16 v24, v22, v69, v24
	v_pk_fma_f16 v23, v22, v18, v23
	v_pk_fma_f16 v60, v22, v70, v60
	v_pk_fma_f16 v50, v22, v19, v50
	v_pk_fma_f16 v58, v22, v71, v58
	v_pk_fma_f16 v59, v22, v20, v59
	v_pk_fma_f16 v22, v22, v72, v21
	ds_load_2addr_b32 v[20:21], v16 offset0:192 offset1:224
	ds_load_b128 v[16:19], v106 offset:9824
	s_wait_dscnt 0x0
	v_lshrrev_b32_e32 v61, 16, v16
	v_and_b32_e32 v16, 0xffff, v16
	v_lshrrev_b32_e32 v62, 16, v17
	v_lshrrev_b32_e32 v63, 16, v18
	;; [unrolled: 1-line block ×3, first 2 shown]
	v_mul_u32_u24_e32 v61, 0x10001, v61
	v_mul_u32_u24_e32 v65, 0x10001, v16
	v_and_b32_e32 v16, 0xffff, v17
	v_mul_u32_u24_e32 v62, 0x10001, v62
	v_mul_u32_u24_e32 v63, 0x10001, v63
	;; [unrolled: 1-line block ×3, first 2 shown]
	v_pk_fma_f16 v49, v20, v65, v49
	v_mul_u32_u24_e32 v66, 0x10001, v16
	v_and_b32_e32 v16, 0xffff, v18
	v_pk_fma_f16 v48, v20, v61, v48
	v_pk_fma_f16 v30, v20, v62, v30
	;; [unrolled: 1-line block ×4, first 2 shown]
	v_mul_u32_u24_e32 v67, 0x10001, v16
	v_and_b32_e32 v16, 0xffff, v19
	v_pk_fma_f16 v26, v20, v64, v26
	s_delay_alu instid0(VALU_DEP_3) | instskip(NEXT) | instid1(VALU_DEP_3)
	v_pk_fma_f16 v29, v20, v67, v29
	v_mul_u32_u24_e32 v68, 0x10001, v16
	ds_load_b128 v[16:19], v106 offset:10848
	v_pk_fma_f16 v27, v20, v68, v27
	s_wait_dscnt 0x0
	v_lshrrev_b32_e32 v69, 16, v16
	v_lshrrev_b32_e32 v70, 16, v17
	;; [unrolled: 1-line block ×4, first 2 shown]
	v_and_b32_e32 v16, 0xffff, v16
	v_and_b32_e32 v17, 0xffff, v17
	v_and_b32_e32 v18, 0xffff, v18
	v_and_b32_e32 v19, 0xffff, v19
	v_mul_u32_u24_e32 v69, 0x10001, v69
	v_mul_u32_u24_e32 v16, 0x10001, v16
	;; [unrolled: 1-line block ×6, first 2 shown]
	v_pk_fma_f16 v25, v20, v16, v25
	v_pk_fma_f16 v23, v20, v17, v23
	;; [unrolled: 1-line block ×4, first 2 shown]
	ds_load_b128 v[16:19], v106 offset:9840
	v_mul_u32_u24_e32 v71, 0x10001, v71
	v_mul_u32_u24_e32 v72, 0x10001, v72
	v_pk_fma_f16 v24, v20, v69, v24
	v_pk_fma_f16 v60, v20, v70, v60
	s_delay_alu instid0(VALU_DEP_4) | instskip(NEXT) | instid1(VALU_DEP_4)
	v_pk_fma_f16 v58, v20, v71, v58
	v_pk_fma_f16 v20, v20, v72, v22
	s_wait_dscnt 0x0
	v_lshrrev_b32_e32 v22, 16, v16
	v_and_b32_e32 v16, 0xffff, v16
	v_lshrrev_b32_e32 v61, 16, v17
	v_lshrrev_b32_e32 v62, 16, v18
	;; [unrolled: 1-line block ×3, first 2 shown]
	v_mul_u32_u24_e32 v22, 0x10001, v22
	v_mul_u32_u24_e32 v64, 0x10001, v16
	v_and_b32_e32 v16, 0xffff, v17
	v_mul_u32_u24_e32 v61, 0x10001, v61
	v_mul_u32_u24_e32 v62, 0x10001, v62
	;; [unrolled: 1-line block ×3, first 2 shown]
	v_pk_fma_f16 v49, v21, v64, v49
	v_mul_u32_u24_e32 v65, 0x10001, v16
	v_and_b32_e32 v16, 0xffff, v18
	v_pk_fma_f16 v48, v21, v22, v48
	v_pk_fma_f16 v30, v21, v61, v30
	v_pk_fma_f16 v28, v21, v62, v28
	v_pk_fma_f16 v31, v21, v65, v31
	v_mul_u32_u24_e32 v66, 0x10001, v16
	v_and_b32_e32 v16, 0xffff, v19
	v_pk_fma_f16 v26, v21, v63, v26
	s_delay_alu instid0(VALU_DEP_3) | instskip(NEXT) | instid1(VALU_DEP_3)
	v_pk_fma_f16 v29, v21, v66, v29
	v_mul_u32_u24_e32 v67, 0x10001, v16
	ds_load_b128 v[16:19], v106 offset:10864
	v_pk_fma_f16 v27, v21, v67, v27
	s_wait_dscnt 0x0
	v_lshrrev_b32_e32 v68, 16, v16
	v_and_b32_e32 v16, 0xffff, v16
	v_lshrrev_b32_e32 v69, 16, v17
	v_lshrrev_b32_e32 v70, 16, v18
	;; [unrolled: 1-line block ×3, first 2 shown]
	v_and_b32_e32 v17, 0xffff, v17
	v_mul_u32_u24_e32 v16, 0x10001, v16
	v_and_b32_e32 v18, 0xffff, v18
	v_and_b32_e32 v19, 0xffff, v19
	v_mul_u32_u24_e32 v68, 0x10001, v68
	v_mul_u32_u24_e32 v17, 0x10001, v17
	;; [unrolled: 1-line block ×7, first 2 shown]
	v_pk_fma_f16 v25, v21, v16, v25
	v_add_nc_u32_e32 v16, 0x1400, v107
	v_pk_fma_f16 v24, v21, v68, v24
	v_pk_fma_f16 v23, v21, v17, v23
	;; [unrolled: 1-line block ×7, first 2 shown]
	ds_load_2addr_b32 v[21:22], v16 offset1:32
	ds_load_b128 v[17:20], v106 offset:9856
	s_wait_dscnt 0x0
	v_lshrrev_b32_e32 v62, 16, v17
	v_and_b32_e32 v17, 0xffff, v17
	v_lshrrev_b32_e32 v63, 16, v18
	v_lshrrev_b32_e32 v64, 16, v19
	;; [unrolled: 1-line block ×3, first 2 shown]
	v_mul_u32_u24_e32 v62, 0x10001, v62
	v_mul_u32_u24_e32 v66, 0x10001, v17
	v_and_b32_e32 v17, 0xffff, v18
	v_mul_u32_u24_e32 v63, 0x10001, v63
	v_mul_u32_u24_e32 v64, 0x10001, v64
	;; [unrolled: 1-line block ×3, first 2 shown]
	v_pk_fma_f16 v49, v21, v66, v49
	v_mul_u32_u24_e32 v67, 0x10001, v17
	v_and_b32_e32 v17, 0xffff, v19
	v_pk_fma_f16 v48, v21, v62, v48
	v_pk_fma_f16 v30, v21, v63, v30
	;; [unrolled: 1-line block ×4, first 2 shown]
	v_mul_u32_u24_e32 v68, 0x10001, v17
	v_and_b32_e32 v17, 0xffff, v20
	v_pk_fma_f16 v26, v21, v65, v26
	s_delay_alu instid0(VALU_DEP_3) | instskip(NEXT) | instid1(VALU_DEP_3)
	v_pk_fma_f16 v29, v21, v68, v29
	v_mul_u32_u24_e32 v69, 0x10001, v17
	ds_load_b128 v[17:20], v106 offset:10880
	v_pk_fma_f16 v27, v21, v69, v27
	s_wait_dscnt 0x0
	v_lshrrev_b32_e32 v70, 16, v17
	v_lshrrev_b32_e32 v71, 16, v18
	;; [unrolled: 1-line block ×4, first 2 shown]
	v_and_b32_e32 v17, 0xffff, v17
	v_and_b32_e32 v18, 0xffff, v18
	;; [unrolled: 1-line block ×4, first 2 shown]
	v_mul_u32_u24_e32 v70, 0x10001, v70
	v_mul_u32_u24_e32 v17, 0x10001, v17
	;; [unrolled: 1-line block ×6, first 2 shown]
	v_pk_fma_f16 v25, v21, v17, v25
	v_pk_fma_f16 v23, v21, v18, v23
	;; [unrolled: 1-line block ×4, first 2 shown]
	ds_load_b128 v[17:20], v106 offset:9872
	v_mul_u32_u24_e32 v72, 0x10001, v72
	v_mul_u32_u24_e32 v73, 0x10001, v73
	v_pk_fma_f16 v24, v21, v70, v24
	v_pk_fma_f16 v60, v21, v71, v60
	s_delay_alu instid0(VALU_DEP_4) | instskip(NEXT) | instid1(VALU_DEP_4)
	v_pk_fma_f16 v58, v21, v72, v58
	v_pk_fma_f16 v21, v21, v73, v61
	s_wait_dscnt 0x0
	v_lshrrev_b32_e32 v61, 16, v17
	v_and_b32_e32 v17, 0xffff, v17
	v_lshrrev_b32_e32 v62, 16, v18
	v_lshrrev_b32_e32 v63, 16, v19
	;; [unrolled: 1-line block ×3, first 2 shown]
	v_mul_u32_u24_e32 v61, 0x10001, v61
	v_mul_u32_u24_e32 v65, 0x10001, v17
	v_and_b32_e32 v17, 0xffff, v18
	v_mul_u32_u24_e32 v62, 0x10001, v62
	v_mul_u32_u24_e32 v63, 0x10001, v63
	;; [unrolled: 1-line block ×3, first 2 shown]
	v_pk_fma_f16 v49, v22, v65, v49
	v_mul_u32_u24_e32 v66, 0x10001, v17
	v_and_b32_e32 v17, 0xffff, v19
	v_pk_fma_f16 v48, v22, v61, v48
	v_pk_fma_f16 v30, v22, v62, v30
	;; [unrolled: 1-line block ×4, first 2 shown]
	v_mul_u32_u24_e32 v67, 0x10001, v17
	v_and_b32_e32 v17, 0xffff, v20
	v_pk_fma_f16 v26, v22, v64, v26
	s_delay_alu instid0(VALU_DEP_3) | instskip(NEXT) | instid1(VALU_DEP_3)
	v_pk_fma_f16 v29, v22, v67, v29
	v_mul_u32_u24_e32 v68, 0x10001, v17
	ds_load_b128 v[17:20], v106 offset:10896
	v_pk_fma_f16 v27, v22, v68, v27
	s_wait_dscnt 0x0
	v_lshrrev_b32_e32 v69, 16, v17
	v_lshrrev_b32_e32 v70, 16, v18
	;; [unrolled: 1-line block ×4, first 2 shown]
	v_and_b32_e32 v17, 0xffff, v17
	v_and_b32_e32 v18, 0xffff, v18
	;; [unrolled: 1-line block ×4, first 2 shown]
	v_mul_u32_u24_e32 v69, 0x10001, v69
	v_mul_u32_u24_e32 v17, 0x10001, v17
	v_mul_u32_u24_e32 v18, 0x10001, v18
	v_mul_u32_u24_e32 v70, 0x10001, v70
	v_mul_u32_u24_e32 v19, 0x10001, v19
	v_mul_u32_u24_e32 v71, 0x10001, v71
	v_mul_u32_u24_e32 v20, 0x10001, v20
	v_mul_u32_u24_e32 v72, 0x10001, v72
	v_pk_fma_f16 v25, v22, v17, v25
	v_pk_fma_f16 v24, v22, v69, v24
	;; [unrolled: 1-line block ×8, first 2 shown]
	ds_load_2addr_b32 v[21:22], v16 offset0:64 offset1:96
	ds_load_b128 v[17:20], v106 offset:9888
	s_wait_dscnt 0x0
	v_lshrrev_b32_e32 v62, 16, v17
	v_and_b32_e32 v17, 0xffff, v17
	v_lshrrev_b32_e32 v63, 16, v18
	v_lshrrev_b32_e32 v64, 16, v19
	;; [unrolled: 1-line block ×3, first 2 shown]
	v_mul_u32_u24_e32 v62, 0x10001, v62
	v_mul_u32_u24_e32 v66, 0x10001, v17
	v_and_b32_e32 v17, 0xffff, v18
	v_mul_u32_u24_e32 v63, 0x10001, v63
	v_mul_u32_u24_e32 v64, 0x10001, v64
	v_mul_u32_u24_e32 v65, 0x10001, v65
	v_pk_fma_f16 v49, v21, v66, v49
	v_mul_u32_u24_e32 v67, 0x10001, v17
	v_and_b32_e32 v17, 0xffff, v19
	v_pk_fma_f16 v48, v21, v62, v48
	v_pk_fma_f16 v30, v21, v63, v30
	;; [unrolled: 1-line block ×4, first 2 shown]
	v_mul_u32_u24_e32 v68, 0x10001, v17
	v_and_b32_e32 v17, 0xffff, v20
	v_pk_fma_f16 v26, v21, v65, v26
	s_delay_alu instid0(VALU_DEP_3) | instskip(NEXT) | instid1(VALU_DEP_3)
	v_pk_fma_f16 v29, v21, v68, v29
	v_mul_u32_u24_e32 v69, 0x10001, v17
	ds_load_b128 v[17:20], v106 offset:10912
	v_pk_fma_f16 v27, v21, v69, v27
	s_wait_dscnt 0x0
	v_lshrrev_b32_e32 v70, 16, v17
	v_lshrrev_b32_e32 v71, 16, v18
	;; [unrolled: 1-line block ×4, first 2 shown]
	v_and_b32_e32 v17, 0xffff, v17
	v_and_b32_e32 v18, 0xffff, v18
	;; [unrolled: 1-line block ×4, first 2 shown]
	v_mul_u32_u24_e32 v70, 0x10001, v70
	v_mul_u32_u24_e32 v17, 0x10001, v17
	;; [unrolled: 1-line block ×6, first 2 shown]
	v_pk_fma_f16 v25, v21, v17, v25
	v_pk_fma_f16 v23, v21, v18, v23
	;; [unrolled: 1-line block ×4, first 2 shown]
	ds_load_b128 v[17:20], v106 offset:9904
	v_mul_u32_u24_e32 v72, 0x10001, v72
	v_mul_u32_u24_e32 v73, 0x10001, v73
	v_pk_fma_f16 v24, v21, v70, v24
	v_pk_fma_f16 v60, v21, v71, v60
	s_delay_alu instid0(VALU_DEP_4) | instskip(NEXT) | instid1(VALU_DEP_4)
	v_pk_fma_f16 v58, v21, v72, v58
	v_pk_fma_f16 v21, v21, v73, v61
	s_wait_dscnt 0x0
	v_lshrrev_b32_e32 v61, 16, v17
	v_and_b32_e32 v17, 0xffff, v17
	v_lshrrev_b32_e32 v62, 16, v18
	v_lshrrev_b32_e32 v63, 16, v19
	;; [unrolled: 1-line block ×3, first 2 shown]
	v_mul_u32_u24_e32 v61, 0x10001, v61
	v_mul_u32_u24_e32 v65, 0x10001, v17
	v_and_b32_e32 v17, 0xffff, v18
	v_mul_u32_u24_e32 v62, 0x10001, v62
	v_mul_u32_u24_e32 v63, 0x10001, v63
	;; [unrolled: 1-line block ×3, first 2 shown]
	v_pk_fma_f16 v49, v22, v65, v49
	v_mul_u32_u24_e32 v66, 0x10001, v17
	v_and_b32_e32 v17, 0xffff, v19
	v_pk_fma_f16 v48, v22, v61, v48
	v_pk_fma_f16 v30, v22, v62, v30
	;; [unrolled: 1-line block ×4, first 2 shown]
	v_mul_u32_u24_e32 v67, 0x10001, v17
	v_and_b32_e32 v17, 0xffff, v20
	v_pk_fma_f16 v26, v22, v64, v26
	s_delay_alu instid0(VALU_DEP_3) | instskip(NEXT) | instid1(VALU_DEP_3)
	v_pk_fma_f16 v29, v22, v67, v29
	v_mul_u32_u24_e32 v68, 0x10001, v17
	ds_load_b128 v[17:20], v106 offset:10928
	v_pk_fma_f16 v27, v22, v68, v27
	s_wait_dscnt 0x0
	v_lshrrev_b32_e32 v69, 16, v17
	v_lshrrev_b32_e32 v70, 16, v18
	;; [unrolled: 1-line block ×4, first 2 shown]
	v_and_b32_e32 v17, 0xffff, v17
	v_and_b32_e32 v18, 0xffff, v18
	;; [unrolled: 1-line block ×4, first 2 shown]
	v_mul_u32_u24_e32 v69, 0x10001, v69
	v_mul_u32_u24_e32 v17, 0x10001, v17
	;; [unrolled: 1-line block ×8, first 2 shown]
	v_pk_fma_f16 v25, v22, v17, v25
	v_pk_fma_f16 v24, v22, v69, v24
	v_pk_fma_f16 v23, v22, v18, v23
	v_pk_fma_f16 v60, v22, v70, v60
	v_pk_fma_f16 v50, v22, v19, v50
	v_pk_fma_f16 v58, v22, v71, v58
	v_pk_fma_f16 v59, v22, v20, v59
	v_pk_fma_f16 v61, v22, v72, v21
	ds_load_2addr_b32 v[21:22], v16 offset0:128 offset1:160
	ds_load_b128 v[17:20], v106 offset:9920
	s_wait_dscnt 0x0
	v_lshrrev_b32_e32 v62, 16, v17
	v_and_b32_e32 v17, 0xffff, v17
	v_lshrrev_b32_e32 v63, 16, v18
	v_lshrrev_b32_e32 v64, 16, v19
	;; [unrolled: 1-line block ×3, first 2 shown]
	v_mul_u32_u24_e32 v62, 0x10001, v62
	v_mul_u32_u24_e32 v66, 0x10001, v17
	v_and_b32_e32 v17, 0xffff, v18
	v_mul_u32_u24_e32 v63, 0x10001, v63
	v_mul_u32_u24_e32 v64, 0x10001, v64
	v_mul_u32_u24_e32 v65, 0x10001, v65
	v_pk_fma_f16 v49, v21, v66, v49
	v_mul_u32_u24_e32 v67, 0x10001, v17
	v_and_b32_e32 v17, 0xffff, v19
	v_pk_fma_f16 v48, v21, v62, v48
	v_pk_fma_f16 v30, v21, v63, v30
	;; [unrolled: 1-line block ×4, first 2 shown]
	v_mul_u32_u24_e32 v68, 0x10001, v17
	v_and_b32_e32 v17, 0xffff, v20
	v_pk_fma_f16 v26, v21, v65, v26
	s_delay_alu instid0(VALU_DEP_3) | instskip(NEXT) | instid1(VALU_DEP_3)
	v_pk_fma_f16 v29, v21, v68, v29
	v_mul_u32_u24_e32 v69, 0x10001, v17
	ds_load_b128 v[17:20], v106 offset:10944
	v_pk_fma_f16 v27, v21, v69, v27
	s_wait_dscnt 0x0
	v_lshrrev_b32_e32 v70, 16, v17
	v_lshrrev_b32_e32 v71, 16, v18
	v_lshrrev_b32_e32 v72, 16, v19
	v_lshrrev_b32_e32 v73, 16, v20
	v_and_b32_e32 v17, 0xffff, v17
	v_and_b32_e32 v18, 0xffff, v18
	;; [unrolled: 1-line block ×4, first 2 shown]
	v_mul_u32_u24_e32 v70, 0x10001, v70
	v_mul_u32_u24_e32 v17, 0x10001, v17
	;; [unrolled: 1-line block ×6, first 2 shown]
	v_pk_fma_f16 v25, v21, v17, v25
	v_pk_fma_f16 v23, v21, v18, v23
	;; [unrolled: 1-line block ×4, first 2 shown]
	ds_load_b128 v[17:20], v106 offset:9936
	v_mul_u32_u24_e32 v72, 0x10001, v72
	v_mul_u32_u24_e32 v73, 0x10001, v73
	v_pk_fma_f16 v24, v21, v70, v24
	v_pk_fma_f16 v60, v21, v71, v60
	s_delay_alu instid0(VALU_DEP_4) | instskip(NEXT) | instid1(VALU_DEP_4)
	v_pk_fma_f16 v58, v21, v72, v58
	v_pk_fma_f16 v21, v21, v73, v61
	s_wait_dscnt 0x0
	v_lshrrev_b32_e32 v61, 16, v17
	v_and_b32_e32 v17, 0xffff, v17
	v_lshrrev_b32_e32 v62, 16, v18
	v_lshrrev_b32_e32 v63, 16, v19
	;; [unrolled: 1-line block ×3, first 2 shown]
	v_mul_u32_u24_e32 v61, 0x10001, v61
	v_mul_u32_u24_e32 v65, 0x10001, v17
	v_and_b32_e32 v17, 0xffff, v18
	v_mul_u32_u24_e32 v62, 0x10001, v62
	v_mul_u32_u24_e32 v63, 0x10001, v63
	v_mul_u32_u24_e32 v64, 0x10001, v64
	v_pk_fma_f16 v49, v22, v65, v49
	v_mul_u32_u24_e32 v66, 0x10001, v17
	v_and_b32_e32 v17, 0xffff, v19
	v_pk_fma_f16 v48, v22, v61, v48
	v_pk_fma_f16 v30, v22, v62, v30
	;; [unrolled: 1-line block ×4, first 2 shown]
	v_mul_u32_u24_e32 v67, 0x10001, v17
	v_and_b32_e32 v17, 0xffff, v20
	v_pk_fma_f16 v26, v22, v64, v26
	s_delay_alu instid0(VALU_DEP_3) | instskip(NEXT) | instid1(VALU_DEP_3)
	v_pk_fma_f16 v29, v22, v67, v29
	v_mul_u32_u24_e32 v68, 0x10001, v17
	ds_load_b128 v[17:20], v106 offset:10960
	v_pk_fma_f16 v27, v22, v68, v27
	s_wait_dscnt 0x0
	v_lshrrev_b32_e32 v69, 16, v17
	v_lshrrev_b32_e32 v70, 16, v18
	;; [unrolled: 1-line block ×4, first 2 shown]
	v_and_b32_e32 v17, 0xffff, v17
	v_and_b32_e32 v18, 0xffff, v18
	;; [unrolled: 1-line block ×4, first 2 shown]
	v_mul_u32_u24_e32 v69, 0x10001, v69
	v_mul_u32_u24_e32 v17, 0x10001, v17
	;; [unrolled: 1-line block ×8, first 2 shown]
	v_pk_fma_f16 v25, v22, v17, v25
	v_pk_fma_f16 v24, v22, v69, v24
	;; [unrolled: 1-line block ×8, first 2 shown]
	ds_load_2addr_b32 v[20:21], v16 offset0:192 offset1:224
	ds_load_b128 v[16:19], v106 offset:9952
	s_wait_dscnt 0x0
	v_lshrrev_b32_e32 v61, 16, v16
	v_and_b32_e32 v16, 0xffff, v16
	v_lshrrev_b32_e32 v62, 16, v17
	v_lshrrev_b32_e32 v63, 16, v18
	v_lshrrev_b32_e32 v64, 16, v19
	v_mul_u32_u24_e32 v61, 0x10001, v61
	v_mul_u32_u24_e32 v65, 0x10001, v16
	v_and_b32_e32 v16, 0xffff, v17
	v_mul_u32_u24_e32 v62, 0x10001, v62
	v_mul_u32_u24_e32 v63, 0x10001, v63
	;; [unrolled: 1-line block ×3, first 2 shown]
	v_pk_fma_f16 v49, v20, v65, v49
	v_mul_u32_u24_e32 v66, 0x10001, v16
	v_and_b32_e32 v16, 0xffff, v18
	v_pk_fma_f16 v48, v20, v61, v48
	v_pk_fma_f16 v30, v20, v62, v30
	;; [unrolled: 1-line block ×4, first 2 shown]
	v_mul_u32_u24_e32 v67, 0x10001, v16
	v_and_b32_e32 v16, 0xffff, v19
	v_pk_fma_f16 v26, v20, v64, v26
	s_delay_alu instid0(VALU_DEP_3) | instskip(NEXT) | instid1(VALU_DEP_3)
	v_pk_fma_f16 v29, v20, v67, v29
	v_mul_u32_u24_e32 v68, 0x10001, v16
	ds_load_b128 v[16:19], v106 offset:10976
	v_pk_fma_f16 v27, v20, v68, v27
	s_wait_dscnt 0x0
	v_lshrrev_b32_e32 v69, 16, v16
	v_lshrrev_b32_e32 v70, 16, v17
	;; [unrolled: 1-line block ×4, first 2 shown]
	v_and_b32_e32 v16, 0xffff, v16
	v_and_b32_e32 v17, 0xffff, v17
	;; [unrolled: 1-line block ×4, first 2 shown]
	v_mul_u32_u24_e32 v69, 0x10001, v69
	v_mul_u32_u24_e32 v16, 0x10001, v16
	;; [unrolled: 1-line block ×6, first 2 shown]
	v_pk_fma_f16 v25, v20, v16, v25
	v_pk_fma_f16 v23, v20, v17, v23
	;; [unrolled: 1-line block ×4, first 2 shown]
	ds_load_b128 v[16:19], v106 offset:9968
	v_mul_u32_u24_e32 v71, 0x10001, v71
	v_mul_u32_u24_e32 v72, 0x10001, v72
	v_pk_fma_f16 v24, v20, v69, v24
	v_pk_fma_f16 v60, v20, v70, v60
	s_delay_alu instid0(VALU_DEP_4) | instskip(NEXT) | instid1(VALU_DEP_4)
	v_pk_fma_f16 v58, v20, v71, v58
	v_pk_fma_f16 v20, v20, v72, v22
	s_wait_dscnt 0x0
	v_lshrrev_b32_e32 v22, 16, v16
	v_and_b32_e32 v16, 0xffff, v16
	v_lshrrev_b32_e32 v61, 16, v17
	v_lshrrev_b32_e32 v62, 16, v18
	;; [unrolled: 1-line block ×3, first 2 shown]
	v_mul_u32_u24_e32 v22, 0x10001, v22
	v_mul_u32_u24_e32 v64, 0x10001, v16
	v_and_b32_e32 v16, 0xffff, v17
	v_mul_u32_u24_e32 v61, 0x10001, v61
	v_mul_u32_u24_e32 v62, 0x10001, v62
	;; [unrolled: 1-line block ×3, first 2 shown]
	v_pk_fma_f16 v49, v21, v64, v49
	v_mul_u32_u24_e32 v65, 0x10001, v16
	v_and_b32_e32 v16, 0xffff, v18
	v_pk_fma_f16 v48, v21, v22, v48
	v_pk_fma_f16 v30, v21, v61, v30
	;; [unrolled: 1-line block ×4, first 2 shown]
	v_mul_u32_u24_e32 v66, 0x10001, v16
	v_and_b32_e32 v16, 0xffff, v19
	v_pk_fma_f16 v26, v21, v63, v26
	s_delay_alu instid0(VALU_DEP_3) | instskip(NEXT) | instid1(VALU_DEP_3)
	v_pk_fma_f16 v29, v21, v66, v29
	v_mul_u32_u24_e32 v67, 0x10001, v16
	ds_load_b128 v[16:19], v106 offset:10992
	v_pk_fma_f16 v27, v21, v67, v27
	s_wait_dscnt 0x0
	v_lshrrev_b32_e32 v68, 16, v16
	v_and_b32_e32 v16, 0xffff, v16
	v_lshrrev_b32_e32 v69, 16, v17
	v_lshrrev_b32_e32 v70, 16, v18
	;; [unrolled: 1-line block ×3, first 2 shown]
	v_and_b32_e32 v17, 0xffff, v17
	v_mul_u32_u24_e32 v16, 0x10001, v16
	v_and_b32_e32 v18, 0xffff, v18
	v_and_b32_e32 v19, 0xffff, v19
	v_mul_u32_u24_e32 v68, 0x10001, v68
	v_mul_u32_u24_e32 v17, 0x10001, v17
	v_mul_u32_u24_e32 v69, 0x10001, v69
	v_mul_u32_u24_e32 v18, 0x10001, v18
	v_mul_u32_u24_e32 v70, 0x10001, v70
	v_mul_u32_u24_e32 v19, 0x10001, v19
	v_mul_u32_u24_e32 v71, 0x10001, v71
	v_pk_fma_f16 v25, v21, v16, v25
	v_add_nc_u32_e32 v16, 0x1800, v107
	v_pk_fma_f16 v24, v21, v68, v24
	v_pk_fma_f16 v23, v21, v17, v23
	;; [unrolled: 1-line block ×7, first 2 shown]
	ds_load_2addr_b32 v[21:22], v16 offset1:32
	ds_load_b128 v[17:20], v106 offset:9984
	s_wait_dscnt 0x0
	v_lshrrev_b32_e32 v62, 16, v17
	v_and_b32_e32 v17, 0xffff, v17
	v_lshrrev_b32_e32 v63, 16, v18
	v_lshrrev_b32_e32 v64, 16, v19
	;; [unrolled: 1-line block ×3, first 2 shown]
	v_mul_u32_u24_e32 v62, 0x10001, v62
	v_mul_u32_u24_e32 v66, 0x10001, v17
	v_and_b32_e32 v17, 0xffff, v18
	v_mul_u32_u24_e32 v63, 0x10001, v63
	v_mul_u32_u24_e32 v64, 0x10001, v64
	;; [unrolled: 1-line block ×3, first 2 shown]
	v_pk_fma_f16 v49, v21, v66, v49
	v_mul_u32_u24_e32 v67, 0x10001, v17
	v_and_b32_e32 v17, 0xffff, v19
	v_pk_fma_f16 v48, v21, v62, v48
	v_pk_fma_f16 v30, v21, v63, v30
	;; [unrolled: 1-line block ×4, first 2 shown]
	v_mul_u32_u24_e32 v68, 0x10001, v17
	v_and_b32_e32 v17, 0xffff, v20
	v_pk_fma_f16 v26, v21, v65, v26
	s_delay_alu instid0(VALU_DEP_3) | instskip(NEXT) | instid1(VALU_DEP_3)
	v_pk_fma_f16 v29, v21, v68, v29
	v_mul_u32_u24_e32 v69, 0x10001, v17
	ds_load_b128 v[17:20], v106 offset:11008
	v_pk_fma_f16 v27, v21, v69, v27
	s_wait_dscnt 0x0
	v_lshrrev_b32_e32 v70, 16, v17
	v_lshrrev_b32_e32 v71, 16, v18
	;; [unrolled: 1-line block ×4, first 2 shown]
	v_and_b32_e32 v17, 0xffff, v17
	v_and_b32_e32 v18, 0xffff, v18
	;; [unrolled: 1-line block ×4, first 2 shown]
	v_mul_u32_u24_e32 v70, 0x10001, v70
	v_mul_u32_u24_e32 v17, 0x10001, v17
	;; [unrolled: 1-line block ×6, first 2 shown]
	v_pk_fma_f16 v25, v21, v17, v25
	v_pk_fma_f16 v23, v21, v18, v23
	;; [unrolled: 1-line block ×4, first 2 shown]
	ds_load_b128 v[17:20], v106 offset:10000
	v_mul_u32_u24_e32 v72, 0x10001, v72
	v_mul_u32_u24_e32 v73, 0x10001, v73
	v_pk_fma_f16 v24, v21, v70, v24
	v_pk_fma_f16 v60, v21, v71, v60
	s_delay_alu instid0(VALU_DEP_4) | instskip(NEXT) | instid1(VALU_DEP_4)
	v_pk_fma_f16 v58, v21, v72, v58
	v_pk_fma_f16 v21, v21, v73, v61
	s_wait_dscnt 0x0
	v_lshrrev_b32_e32 v61, 16, v17
	v_and_b32_e32 v17, 0xffff, v17
	v_lshrrev_b32_e32 v62, 16, v18
	v_lshrrev_b32_e32 v63, 16, v19
	;; [unrolled: 1-line block ×3, first 2 shown]
	v_mul_u32_u24_e32 v61, 0x10001, v61
	v_mul_u32_u24_e32 v65, 0x10001, v17
	v_and_b32_e32 v17, 0xffff, v18
	v_mul_u32_u24_e32 v62, 0x10001, v62
	v_mul_u32_u24_e32 v63, 0x10001, v63
	;; [unrolled: 1-line block ×3, first 2 shown]
	v_pk_fma_f16 v49, v22, v65, v49
	v_mul_u32_u24_e32 v66, 0x10001, v17
	v_and_b32_e32 v17, 0xffff, v19
	v_pk_fma_f16 v48, v22, v61, v48
	v_pk_fma_f16 v30, v22, v62, v30
	;; [unrolled: 1-line block ×4, first 2 shown]
	v_mul_u32_u24_e32 v67, 0x10001, v17
	v_and_b32_e32 v17, 0xffff, v20
	v_pk_fma_f16 v26, v22, v64, v26
	s_delay_alu instid0(VALU_DEP_3) | instskip(NEXT) | instid1(VALU_DEP_3)
	v_pk_fma_f16 v29, v22, v67, v29
	v_mul_u32_u24_e32 v68, 0x10001, v17
	ds_load_b128 v[17:20], v106 offset:11024
	v_pk_fma_f16 v27, v22, v68, v27
	s_wait_dscnt 0x0
	v_lshrrev_b32_e32 v69, 16, v17
	v_lshrrev_b32_e32 v70, 16, v18
	;; [unrolled: 1-line block ×4, first 2 shown]
	v_and_b32_e32 v17, 0xffff, v17
	v_and_b32_e32 v18, 0xffff, v18
	v_and_b32_e32 v19, 0xffff, v19
	v_and_b32_e32 v20, 0xffff, v20
	v_mul_u32_u24_e32 v69, 0x10001, v69
	v_mul_u32_u24_e32 v17, 0x10001, v17
	;; [unrolled: 1-line block ×8, first 2 shown]
	v_pk_fma_f16 v25, v22, v17, v25
	v_pk_fma_f16 v24, v22, v69, v24
	;; [unrolled: 1-line block ×8, first 2 shown]
	ds_load_2addr_b32 v[21:22], v16 offset0:64 offset1:96
	ds_load_b128 v[17:20], v106 offset:10016
	s_wait_dscnt 0x0
	v_lshrrev_b32_e32 v62, 16, v17
	v_and_b32_e32 v17, 0xffff, v17
	v_lshrrev_b32_e32 v63, 16, v18
	v_lshrrev_b32_e32 v64, 16, v19
	;; [unrolled: 1-line block ×3, first 2 shown]
	v_mul_u32_u24_e32 v62, 0x10001, v62
	v_mul_u32_u24_e32 v66, 0x10001, v17
	v_and_b32_e32 v17, 0xffff, v18
	v_mul_u32_u24_e32 v63, 0x10001, v63
	v_mul_u32_u24_e32 v64, 0x10001, v64
	;; [unrolled: 1-line block ×3, first 2 shown]
	v_pk_fma_f16 v49, v21, v66, v49
	v_mul_u32_u24_e32 v67, 0x10001, v17
	v_and_b32_e32 v17, 0xffff, v19
	v_pk_fma_f16 v48, v21, v62, v48
	v_pk_fma_f16 v30, v21, v63, v30
	;; [unrolled: 1-line block ×4, first 2 shown]
	v_mul_u32_u24_e32 v68, 0x10001, v17
	v_and_b32_e32 v17, 0xffff, v20
	v_pk_fma_f16 v26, v21, v65, v26
	s_delay_alu instid0(VALU_DEP_3) | instskip(NEXT) | instid1(VALU_DEP_3)
	v_pk_fma_f16 v29, v21, v68, v29
	v_mul_u32_u24_e32 v69, 0x10001, v17
	ds_load_b128 v[17:20], v106 offset:11040
	v_pk_fma_f16 v27, v21, v69, v27
	s_wait_dscnt 0x0
	v_lshrrev_b32_e32 v70, 16, v17
	v_lshrrev_b32_e32 v71, 16, v18
	;; [unrolled: 1-line block ×4, first 2 shown]
	v_and_b32_e32 v17, 0xffff, v17
	v_and_b32_e32 v18, 0xffff, v18
	v_and_b32_e32 v19, 0xffff, v19
	v_and_b32_e32 v20, 0xffff, v20
	v_mul_u32_u24_e32 v70, 0x10001, v70
	v_mul_u32_u24_e32 v17, 0x10001, v17
	;; [unrolled: 1-line block ×6, first 2 shown]
	v_pk_fma_f16 v25, v21, v17, v25
	v_pk_fma_f16 v23, v21, v18, v23
	;; [unrolled: 1-line block ×4, first 2 shown]
	ds_load_b128 v[17:20], v106 offset:10032
	v_mul_u32_u24_e32 v72, 0x10001, v72
	v_mul_u32_u24_e32 v73, 0x10001, v73
	v_pk_fma_f16 v24, v21, v70, v24
	v_pk_fma_f16 v60, v21, v71, v60
	s_delay_alu instid0(VALU_DEP_4) | instskip(NEXT) | instid1(VALU_DEP_4)
	v_pk_fma_f16 v58, v21, v72, v58
	v_pk_fma_f16 v21, v21, v73, v61
	s_wait_dscnt 0x0
	v_lshrrev_b32_e32 v61, 16, v17
	v_and_b32_e32 v17, 0xffff, v17
	v_lshrrev_b32_e32 v62, 16, v18
	v_lshrrev_b32_e32 v63, 16, v19
	;; [unrolled: 1-line block ×3, first 2 shown]
	v_mul_u32_u24_e32 v61, 0x10001, v61
	v_mul_u32_u24_e32 v65, 0x10001, v17
	v_and_b32_e32 v17, 0xffff, v18
	v_mul_u32_u24_e32 v62, 0x10001, v62
	v_mul_u32_u24_e32 v63, 0x10001, v63
	;; [unrolled: 1-line block ×3, first 2 shown]
	v_pk_fma_f16 v49, v22, v65, v49
	v_mul_u32_u24_e32 v66, 0x10001, v17
	v_and_b32_e32 v17, 0xffff, v19
	v_pk_fma_f16 v48, v22, v61, v48
	v_pk_fma_f16 v30, v22, v62, v30
	;; [unrolled: 1-line block ×4, first 2 shown]
	v_mul_u32_u24_e32 v67, 0x10001, v17
	v_and_b32_e32 v17, 0xffff, v20
	v_pk_fma_f16 v26, v22, v64, v26
	s_delay_alu instid0(VALU_DEP_3) | instskip(NEXT) | instid1(VALU_DEP_3)
	v_pk_fma_f16 v29, v22, v67, v29
	v_mul_u32_u24_e32 v68, 0x10001, v17
	ds_load_b128 v[17:20], v106 offset:11056
	v_pk_fma_f16 v27, v22, v68, v27
	s_wait_dscnt 0x0
	v_lshrrev_b32_e32 v69, 16, v17
	v_lshrrev_b32_e32 v70, 16, v18
	;; [unrolled: 1-line block ×4, first 2 shown]
	v_and_b32_e32 v17, 0xffff, v17
	v_and_b32_e32 v18, 0xffff, v18
	;; [unrolled: 1-line block ×4, first 2 shown]
	v_mul_u32_u24_e32 v69, 0x10001, v69
	v_mul_u32_u24_e32 v17, 0x10001, v17
	;; [unrolled: 1-line block ×8, first 2 shown]
	v_pk_fma_f16 v25, v22, v17, v25
	v_pk_fma_f16 v24, v22, v69, v24
	;; [unrolled: 1-line block ×8, first 2 shown]
	ds_load_2addr_b32 v[21:22], v16 offset0:128 offset1:160
	ds_load_b128 v[17:20], v106 offset:10048
	s_wait_dscnt 0x0
	v_lshrrev_b32_e32 v62, 16, v17
	v_and_b32_e32 v17, 0xffff, v17
	v_lshrrev_b32_e32 v63, 16, v18
	v_lshrrev_b32_e32 v64, 16, v19
	;; [unrolled: 1-line block ×3, first 2 shown]
	v_mul_u32_u24_e32 v62, 0x10001, v62
	v_mul_u32_u24_e32 v66, 0x10001, v17
	v_and_b32_e32 v17, 0xffff, v18
	v_mul_u32_u24_e32 v63, 0x10001, v63
	v_mul_u32_u24_e32 v64, 0x10001, v64
	;; [unrolled: 1-line block ×3, first 2 shown]
	v_pk_fma_f16 v49, v21, v66, v49
	v_mul_u32_u24_e32 v67, 0x10001, v17
	v_and_b32_e32 v17, 0xffff, v19
	v_pk_fma_f16 v48, v21, v62, v48
	v_pk_fma_f16 v30, v21, v63, v30
	;; [unrolled: 1-line block ×4, first 2 shown]
	v_mul_u32_u24_e32 v68, 0x10001, v17
	v_and_b32_e32 v17, 0xffff, v20
	v_pk_fma_f16 v26, v21, v65, v26
	s_delay_alu instid0(VALU_DEP_3) | instskip(NEXT) | instid1(VALU_DEP_3)
	v_pk_fma_f16 v29, v21, v68, v29
	v_mul_u32_u24_e32 v69, 0x10001, v17
	ds_load_b128 v[17:20], v106 offset:11072
	v_pk_fma_f16 v27, v21, v69, v27
	s_wait_dscnt 0x0
	v_lshrrev_b32_e32 v70, 16, v17
	v_lshrrev_b32_e32 v71, 16, v18
	;; [unrolled: 1-line block ×4, first 2 shown]
	v_and_b32_e32 v17, 0xffff, v17
	v_and_b32_e32 v18, 0xffff, v18
	;; [unrolled: 1-line block ×4, first 2 shown]
	v_mul_u32_u24_e32 v70, 0x10001, v70
	v_mul_u32_u24_e32 v17, 0x10001, v17
	;; [unrolled: 1-line block ×6, first 2 shown]
	v_pk_fma_f16 v25, v21, v17, v25
	v_pk_fma_f16 v23, v21, v18, v23
	v_pk_fma_f16 v50, v21, v19, v50
	v_pk_fma_f16 v59, v21, v20, v59
	ds_load_b128 v[17:20], v106 offset:10064
	v_mul_u32_u24_e32 v72, 0x10001, v72
	v_mul_u32_u24_e32 v73, 0x10001, v73
	v_pk_fma_f16 v24, v21, v70, v24
	v_pk_fma_f16 v60, v21, v71, v60
	s_delay_alu instid0(VALU_DEP_4) | instskip(NEXT) | instid1(VALU_DEP_4)
	v_pk_fma_f16 v58, v21, v72, v58
	v_pk_fma_f16 v21, v21, v73, v61
	s_wait_dscnt 0x0
	v_lshrrev_b32_e32 v61, 16, v17
	v_and_b32_e32 v17, 0xffff, v17
	v_lshrrev_b32_e32 v62, 16, v18
	v_lshrrev_b32_e32 v63, 16, v19
	;; [unrolled: 1-line block ×3, first 2 shown]
	v_mul_u32_u24_e32 v61, 0x10001, v61
	v_mul_u32_u24_e32 v65, 0x10001, v17
	v_and_b32_e32 v17, 0xffff, v18
	v_mul_u32_u24_e32 v62, 0x10001, v62
	v_mul_u32_u24_e32 v63, 0x10001, v63
	;; [unrolled: 1-line block ×3, first 2 shown]
	v_pk_fma_f16 v49, v22, v65, v49
	v_mul_u32_u24_e32 v66, 0x10001, v17
	v_and_b32_e32 v17, 0xffff, v19
	v_pk_fma_f16 v48, v22, v61, v48
	v_pk_fma_f16 v30, v22, v62, v30
	;; [unrolled: 1-line block ×4, first 2 shown]
	v_mul_u32_u24_e32 v67, 0x10001, v17
	v_and_b32_e32 v17, 0xffff, v20
	v_pk_fma_f16 v26, v22, v64, v26
	s_delay_alu instid0(VALU_DEP_3) | instskip(NEXT) | instid1(VALU_DEP_3)
	v_pk_fma_f16 v29, v22, v67, v29
	v_mul_u32_u24_e32 v68, 0x10001, v17
	ds_load_b128 v[17:20], v106 offset:11088
	v_pk_fma_f16 v27, v22, v68, v27
	s_wait_dscnt 0x0
	v_lshrrev_b32_e32 v69, 16, v17
	v_lshrrev_b32_e32 v70, 16, v18
	;; [unrolled: 1-line block ×4, first 2 shown]
	v_and_b32_e32 v17, 0xffff, v17
	v_and_b32_e32 v18, 0xffff, v18
	;; [unrolled: 1-line block ×4, first 2 shown]
	v_mul_u32_u24_e32 v69, 0x10001, v69
	v_mul_u32_u24_e32 v17, 0x10001, v17
	;; [unrolled: 1-line block ×8, first 2 shown]
	v_pk_fma_f16 v25, v22, v17, v25
	v_pk_fma_f16 v24, v22, v69, v24
	;; [unrolled: 1-line block ×8, first 2 shown]
	ds_load_2addr_b32 v[20:21], v16 offset0:192 offset1:224
	ds_load_b128 v[16:19], v106 offset:10080
	s_wait_dscnt 0x0
	v_lshrrev_b32_e32 v61, 16, v16
	v_and_b32_e32 v16, 0xffff, v16
	v_lshrrev_b32_e32 v62, 16, v17
	v_lshrrev_b32_e32 v63, 16, v18
	;; [unrolled: 1-line block ×3, first 2 shown]
	v_mul_u32_u24_e32 v61, 0x10001, v61
	v_mul_u32_u24_e32 v65, 0x10001, v16
	v_and_b32_e32 v16, 0xffff, v17
	v_mul_u32_u24_e32 v62, 0x10001, v62
	v_mul_u32_u24_e32 v63, 0x10001, v63
	;; [unrolled: 1-line block ×3, first 2 shown]
	v_pk_fma_f16 v49, v20, v65, v49
	v_mul_u32_u24_e32 v66, 0x10001, v16
	v_and_b32_e32 v16, 0xffff, v18
	v_pk_fma_f16 v48, v20, v61, v48
	v_pk_fma_f16 v30, v20, v62, v30
	;; [unrolled: 1-line block ×4, first 2 shown]
	v_mul_u32_u24_e32 v67, 0x10001, v16
	v_and_b32_e32 v16, 0xffff, v19
	v_pk_fma_f16 v26, v20, v64, v26
	s_delay_alu instid0(VALU_DEP_3) | instskip(NEXT) | instid1(VALU_DEP_3)
	v_pk_fma_f16 v29, v20, v67, v29
	v_mul_u32_u24_e32 v68, 0x10001, v16
	ds_load_b128 v[16:19], v106 offset:11104
	v_pk_fma_f16 v27, v20, v68, v27
	s_wait_dscnt 0x0
	v_lshrrev_b32_e32 v69, 16, v16
	v_lshrrev_b32_e32 v70, 16, v17
	;; [unrolled: 1-line block ×4, first 2 shown]
	v_and_b32_e32 v16, 0xffff, v16
	v_and_b32_e32 v17, 0xffff, v17
	;; [unrolled: 1-line block ×4, first 2 shown]
	v_mul_u32_u24_e32 v69, 0x10001, v69
	v_mul_u32_u24_e32 v16, 0x10001, v16
	;; [unrolled: 1-line block ×6, first 2 shown]
	v_pk_fma_f16 v25, v20, v16, v25
	v_pk_fma_f16 v23, v20, v17, v23
	;; [unrolled: 1-line block ×4, first 2 shown]
	ds_load_b128 v[16:19], v106 offset:10096
	v_mul_u32_u24_e32 v71, 0x10001, v71
	v_mul_u32_u24_e32 v72, 0x10001, v72
	v_pk_fma_f16 v24, v20, v69, v24
	v_pk_fma_f16 v60, v20, v70, v60
	s_delay_alu instid0(VALU_DEP_4) | instskip(NEXT) | instid1(VALU_DEP_4)
	v_pk_fma_f16 v58, v20, v71, v58
	v_pk_fma_f16 v20, v20, v72, v22
	s_wait_dscnt 0x0
	v_lshrrev_b32_e32 v22, 16, v16
	v_and_b32_e32 v16, 0xffff, v16
	v_lshrrev_b32_e32 v61, 16, v17
	v_lshrrev_b32_e32 v62, 16, v18
	;; [unrolled: 1-line block ×3, first 2 shown]
	v_mul_u32_u24_e32 v22, 0x10001, v22
	v_mul_u32_u24_e32 v64, 0x10001, v16
	v_and_b32_e32 v16, 0xffff, v17
	v_mul_u32_u24_e32 v61, 0x10001, v61
	v_mul_u32_u24_e32 v62, 0x10001, v62
	v_mul_u32_u24_e32 v63, 0x10001, v63
	v_pk_fma_f16 v49, v21, v64, v49
	v_mul_u32_u24_e32 v65, 0x10001, v16
	v_and_b32_e32 v16, 0xffff, v18
	v_pk_fma_f16 v48, v21, v22, v48
	v_pk_fma_f16 v30, v21, v61, v30
	;; [unrolled: 1-line block ×4, first 2 shown]
	v_mul_u32_u24_e32 v66, 0x10001, v16
	v_and_b32_e32 v16, 0xffff, v19
	v_pk_fma_f16 v26, v21, v63, v26
	s_delay_alu instid0(VALU_DEP_3) | instskip(NEXT) | instid1(VALU_DEP_3)
	v_pk_fma_f16 v29, v21, v66, v29
	v_mul_u32_u24_e32 v67, 0x10001, v16
	ds_load_b128 v[16:19], v106 offset:11120
	v_pk_fma_f16 v27, v21, v67, v27
	s_wait_dscnt 0x0
	v_lshrrev_b32_e32 v68, 16, v16
	v_and_b32_e32 v16, 0xffff, v16
	v_lshrrev_b32_e32 v69, 16, v17
	v_lshrrev_b32_e32 v70, 16, v18
	;; [unrolled: 1-line block ×3, first 2 shown]
	v_and_b32_e32 v17, 0xffff, v17
	v_mul_u32_u24_e32 v16, 0x10001, v16
	v_and_b32_e32 v18, 0xffff, v18
	v_and_b32_e32 v19, 0xffff, v19
	v_mul_u32_u24_e32 v68, 0x10001, v68
	v_mul_u32_u24_e32 v17, 0x10001, v17
	v_mul_u32_u24_e32 v69, 0x10001, v69
	v_mul_u32_u24_e32 v18, 0x10001, v18
	v_mul_u32_u24_e32 v70, 0x10001, v70
	v_mul_u32_u24_e32 v19, 0x10001, v19
	v_mul_u32_u24_e32 v71, 0x10001, v71
	v_pk_fma_f16 v25, v21, v16, v25
	v_add_nc_u32_e32 v16, 0x1c00, v107
	v_pk_fma_f16 v24, v21, v68, v24
	v_pk_fma_f16 v23, v21, v17, v23
	;; [unrolled: 1-line block ×7, first 2 shown]
	ds_load_2addr_b32 v[21:22], v16 offset1:32
	ds_load_b128 v[17:20], v106 offset:10112
	s_wait_dscnt 0x0
	v_lshrrev_b32_e32 v62, 16, v17
	v_and_b32_e32 v17, 0xffff, v17
	v_lshrrev_b32_e32 v63, 16, v18
	v_lshrrev_b32_e32 v64, 16, v19
	v_lshrrev_b32_e32 v65, 16, v20
	v_mul_u32_u24_e32 v62, 0x10001, v62
	v_mul_u32_u24_e32 v66, 0x10001, v17
	v_and_b32_e32 v17, 0xffff, v18
	v_mul_u32_u24_e32 v63, 0x10001, v63
	v_mul_u32_u24_e32 v64, 0x10001, v64
	;; [unrolled: 1-line block ×3, first 2 shown]
	v_pk_fma_f16 v49, v21, v66, v49
	v_mul_u32_u24_e32 v67, 0x10001, v17
	v_and_b32_e32 v17, 0xffff, v19
	v_pk_fma_f16 v48, v21, v62, v48
	v_pk_fma_f16 v30, v21, v63, v30
	;; [unrolled: 1-line block ×4, first 2 shown]
	v_mul_u32_u24_e32 v68, 0x10001, v17
	v_and_b32_e32 v17, 0xffff, v20
	v_pk_fma_f16 v26, v21, v65, v26
	s_delay_alu instid0(VALU_DEP_3) | instskip(NEXT) | instid1(VALU_DEP_3)
	v_pk_fma_f16 v29, v21, v68, v29
	v_mul_u32_u24_e32 v69, 0x10001, v17
	ds_load_b128 v[17:20], v106 offset:11136
	v_pk_fma_f16 v27, v21, v69, v27
	s_wait_dscnt 0x0
	v_lshrrev_b32_e32 v70, 16, v17
	v_lshrrev_b32_e32 v71, 16, v18
	;; [unrolled: 1-line block ×4, first 2 shown]
	v_and_b32_e32 v17, 0xffff, v17
	v_and_b32_e32 v18, 0xffff, v18
	;; [unrolled: 1-line block ×4, first 2 shown]
	v_mul_u32_u24_e32 v70, 0x10001, v70
	v_mul_u32_u24_e32 v17, 0x10001, v17
	;; [unrolled: 1-line block ×6, first 2 shown]
	v_pk_fma_f16 v25, v21, v17, v25
	v_pk_fma_f16 v23, v21, v18, v23
	v_pk_fma_f16 v50, v21, v19, v50
	v_pk_fma_f16 v59, v21, v20, v59
	ds_load_b128 v[17:20], v106 offset:10128
	v_mul_u32_u24_e32 v72, 0x10001, v72
	v_mul_u32_u24_e32 v73, 0x10001, v73
	v_pk_fma_f16 v24, v21, v70, v24
	v_pk_fma_f16 v60, v21, v71, v60
	s_delay_alu instid0(VALU_DEP_4) | instskip(NEXT) | instid1(VALU_DEP_4)
	v_pk_fma_f16 v58, v21, v72, v58
	v_pk_fma_f16 v21, v21, v73, v61
	s_wait_dscnt 0x0
	v_lshrrev_b32_e32 v61, 16, v17
	v_and_b32_e32 v17, 0xffff, v17
	v_lshrrev_b32_e32 v62, 16, v18
	v_lshrrev_b32_e32 v63, 16, v19
	;; [unrolled: 1-line block ×3, first 2 shown]
	v_mul_u32_u24_e32 v61, 0x10001, v61
	v_mul_u32_u24_e32 v65, 0x10001, v17
	v_and_b32_e32 v17, 0xffff, v18
	v_mul_u32_u24_e32 v62, 0x10001, v62
	v_mul_u32_u24_e32 v63, 0x10001, v63
	;; [unrolled: 1-line block ×3, first 2 shown]
	v_pk_fma_f16 v49, v22, v65, v49
	v_mul_u32_u24_e32 v66, 0x10001, v17
	v_and_b32_e32 v17, 0xffff, v19
	v_pk_fma_f16 v48, v22, v61, v48
	v_pk_fma_f16 v30, v22, v62, v30
	;; [unrolled: 1-line block ×4, first 2 shown]
	v_mul_u32_u24_e32 v67, 0x10001, v17
	v_and_b32_e32 v17, 0xffff, v20
	v_pk_fma_f16 v26, v22, v64, v26
	s_delay_alu instid0(VALU_DEP_3) | instskip(NEXT) | instid1(VALU_DEP_3)
	v_pk_fma_f16 v29, v22, v67, v29
	v_mul_u32_u24_e32 v68, 0x10001, v17
	ds_load_b128 v[17:20], v106 offset:11152
	v_pk_fma_f16 v27, v22, v68, v27
	s_wait_dscnt 0x0
	v_lshrrev_b32_e32 v69, 16, v17
	v_lshrrev_b32_e32 v70, 16, v18
	;; [unrolled: 1-line block ×4, first 2 shown]
	v_and_b32_e32 v17, 0xffff, v17
	v_and_b32_e32 v18, 0xffff, v18
	;; [unrolled: 1-line block ×4, first 2 shown]
	v_mul_u32_u24_e32 v69, 0x10001, v69
	v_mul_u32_u24_e32 v17, 0x10001, v17
	;; [unrolled: 1-line block ×8, first 2 shown]
	v_pk_fma_f16 v25, v22, v17, v25
	v_pk_fma_f16 v24, v22, v69, v24
	;; [unrolled: 1-line block ×8, first 2 shown]
	ds_load_2addr_b32 v[21:22], v16 offset0:64 offset1:96
	ds_load_b128 v[17:20], v106 offset:10144
	s_wait_dscnt 0x0
	v_lshrrev_b32_e32 v62, 16, v17
	v_and_b32_e32 v17, 0xffff, v17
	v_lshrrev_b32_e32 v63, 16, v18
	v_lshrrev_b32_e32 v64, 16, v19
	;; [unrolled: 1-line block ×3, first 2 shown]
	v_mul_u32_u24_e32 v62, 0x10001, v62
	v_mul_u32_u24_e32 v66, 0x10001, v17
	v_and_b32_e32 v17, 0xffff, v18
	v_mul_u32_u24_e32 v63, 0x10001, v63
	v_mul_u32_u24_e32 v64, 0x10001, v64
	;; [unrolled: 1-line block ×3, first 2 shown]
	v_pk_fma_f16 v49, v21, v66, v49
	v_mul_u32_u24_e32 v67, 0x10001, v17
	v_and_b32_e32 v17, 0xffff, v19
	v_pk_fma_f16 v48, v21, v62, v48
	v_pk_fma_f16 v30, v21, v63, v30
	v_pk_fma_f16 v28, v21, v64, v28
	v_pk_fma_f16 v31, v21, v67, v31
	v_mul_u32_u24_e32 v68, 0x10001, v17
	v_and_b32_e32 v17, 0xffff, v20
	v_pk_fma_f16 v26, v21, v65, v26
	s_delay_alu instid0(VALU_DEP_3) | instskip(NEXT) | instid1(VALU_DEP_3)
	v_pk_fma_f16 v29, v21, v68, v29
	v_mul_u32_u24_e32 v69, 0x10001, v17
	ds_load_b128 v[17:20], v106 offset:11168
	v_pk_fma_f16 v27, v21, v69, v27
	s_wait_dscnt 0x0
	v_lshrrev_b32_e32 v70, 16, v17
	v_lshrrev_b32_e32 v71, 16, v18
	;; [unrolled: 1-line block ×4, first 2 shown]
	v_and_b32_e32 v17, 0xffff, v17
	v_and_b32_e32 v18, 0xffff, v18
	;; [unrolled: 1-line block ×4, first 2 shown]
	v_mul_u32_u24_e32 v70, 0x10001, v70
	v_mul_u32_u24_e32 v17, 0x10001, v17
	;; [unrolled: 1-line block ×6, first 2 shown]
	v_pk_fma_f16 v25, v21, v17, v25
	v_pk_fma_f16 v23, v21, v18, v23
	;; [unrolled: 1-line block ×4, first 2 shown]
	ds_load_b128 v[17:20], v106 offset:10160
	v_mul_u32_u24_e32 v72, 0x10001, v72
	v_mul_u32_u24_e32 v73, 0x10001, v73
	v_pk_fma_f16 v24, v21, v70, v24
	v_pk_fma_f16 v60, v21, v71, v60
	s_delay_alu instid0(VALU_DEP_4) | instskip(NEXT) | instid1(VALU_DEP_4)
	v_pk_fma_f16 v58, v21, v72, v58
	v_pk_fma_f16 v21, v21, v73, v61
	s_wait_dscnt 0x0
	v_lshrrev_b32_e32 v61, 16, v17
	v_and_b32_e32 v17, 0xffff, v17
	v_lshrrev_b32_e32 v62, 16, v18
	v_lshrrev_b32_e32 v63, 16, v19
	;; [unrolled: 1-line block ×3, first 2 shown]
	v_mul_u32_u24_e32 v61, 0x10001, v61
	v_mul_u32_u24_e32 v65, 0x10001, v17
	v_and_b32_e32 v17, 0xffff, v18
	v_mul_u32_u24_e32 v62, 0x10001, v62
	v_mul_u32_u24_e32 v63, 0x10001, v63
	;; [unrolled: 1-line block ×3, first 2 shown]
	v_pk_fma_f16 v49, v22, v65, v49
	v_mul_u32_u24_e32 v66, 0x10001, v17
	v_and_b32_e32 v17, 0xffff, v19
	v_pk_fma_f16 v48, v22, v61, v48
	v_pk_fma_f16 v30, v22, v62, v30
	;; [unrolled: 1-line block ×4, first 2 shown]
	v_mul_u32_u24_e32 v67, 0x10001, v17
	v_and_b32_e32 v17, 0xffff, v20
	v_pk_fma_f16 v26, v22, v64, v26
	s_delay_alu instid0(VALU_DEP_3) | instskip(NEXT) | instid1(VALU_DEP_3)
	v_pk_fma_f16 v29, v22, v67, v29
	v_mul_u32_u24_e32 v68, 0x10001, v17
	ds_load_b128 v[17:20], v106 offset:11184
	v_pk_fma_f16 v27, v22, v68, v27
	s_wait_dscnt 0x0
	v_lshrrev_b32_e32 v69, 16, v17
	v_lshrrev_b32_e32 v70, 16, v18
	v_lshrrev_b32_e32 v71, 16, v19
	v_lshrrev_b32_e32 v72, 16, v20
	v_and_b32_e32 v17, 0xffff, v17
	v_and_b32_e32 v18, 0xffff, v18
	;; [unrolled: 1-line block ×4, first 2 shown]
	v_mul_u32_u24_e32 v69, 0x10001, v69
	v_mul_u32_u24_e32 v17, 0x10001, v17
	;; [unrolled: 1-line block ×8, first 2 shown]
	v_pk_fma_f16 v25, v22, v17, v25
	v_pk_fma_f16 v24, v22, v69, v24
	v_pk_fma_f16 v23, v22, v18, v23
	v_pk_fma_f16 v60, v22, v70, v60
	v_pk_fma_f16 v50, v22, v19, v50
	v_pk_fma_f16 v58, v22, v71, v58
	v_pk_fma_f16 v59, v22, v20, v59
	v_pk_fma_f16 v61, v22, v72, v21
	ds_load_2addr_b32 v[21:22], v16 offset0:128 offset1:160
	ds_load_b128 v[17:20], v106 offset:10176
	s_wait_dscnt 0x0
	v_lshrrev_b32_e32 v62, 16, v17
	v_and_b32_e32 v17, 0xffff, v17
	v_lshrrev_b32_e32 v63, 16, v18
	v_lshrrev_b32_e32 v64, 16, v19
	;; [unrolled: 1-line block ×3, first 2 shown]
	v_mul_u32_u24_e32 v62, 0x10001, v62
	v_mul_u32_u24_e32 v66, 0x10001, v17
	v_and_b32_e32 v17, 0xffff, v18
	v_mul_u32_u24_e32 v63, 0x10001, v63
	v_mul_u32_u24_e32 v64, 0x10001, v64
	v_mul_u32_u24_e32 v65, 0x10001, v65
	v_pk_fma_f16 v49, v21, v66, v49
	v_mul_u32_u24_e32 v67, 0x10001, v17
	v_and_b32_e32 v17, 0xffff, v19
	v_pk_fma_f16 v48, v21, v62, v48
	v_pk_fma_f16 v30, v21, v63, v30
	;; [unrolled: 1-line block ×4, first 2 shown]
	v_mul_u32_u24_e32 v68, 0x10001, v17
	v_and_b32_e32 v17, 0xffff, v20
	v_pk_fma_f16 v26, v21, v65, v26
	s_delay_alu instid0(VALU_DEP_3) | instskip(NEXT) | instid1(VALU_DEP_3)
	v_pk_fma_f16 v29, v21, v68, v29
	v_mul_u32_u24_e32 v69, 0x10001, v17
	ds_load_b128 v[17:20], v106 offset:11200
	v_pk_fma_f16 v27, v21, v69, v27
	s_wait_dscnt 0x0
	v_lshrrev_b32_e32 v70, 16, v17
	v_lshrrev_b32_e32 v71, 16, v18
	;; [unrolled: 1-line block ×4, first 2 shown]
	v_and_b32_e32 v17, 0xffff, v17
	v_and_b32_e32 v18, 0xffff, v18
	;; [unrolled: 1-line block ×4, first 2 shown]
	v_mul_u32_u24_e32 v70, 0x10001, v70
	v_mul_u32_u24_e32 v17, 0x10001, v17
	;; [unrolled: 1-line block ×6, first 2 shown]
	v_pk_fma_f16 v25, v21, v17, v25
	v_pk_fma_f16 v23, v21, v18, v23
	;; [unrolled: 1-line block ×4, first 2 shown]
	ds_load_b128 v[17:20], v106 offset:10192
	v_mul_u32_u24_e32 v72, 0x10001, v72
	v_mul_u32_u24_e32 v73, 0x10001, v73
	v_pk_fma_f16 v24, v21, v70, v24
	v_pk_fma_f16 v60, v21, v71, v60
	s_delay_alu instid0(VALU_DEP_4) | instskip(NEXT) | instid1(VALU_DEP_4)
	v_pk_fma_f16 v58, v21, v72, v58
	v_pk_fma_f16 v21, v21, v73, v61
	s_wait_dscnt 0x0
	v_lshrrev_b32_e32 v61, 16, v17
	v_and_b32_e32 v17, 0xffff, v17
	v_lshrrev_b32_e32 v62, 16, v18
	v_lshrrev_b32_e32 v63, 16, v19
	;; [unrolled: 1-line block ×3, first 2 shown]
	v_mul_u32_u24_e32 v61, 0x10001, v61
	v_mul_u32_u24_e32 v65, 0x10001, v17
	v_and_b32_e32 v17, 0xffff, v18
	v_mul_u32_u24_e32 v62, 0x10001, v62
	v_mul_u32_u24_e32 v63, 0x10001, v63
	;; [unrolled: 1-line block ×3, first 2 shown]
	v_pk_fma_f16 v49, v22, v65, v49
	v_mul_u32_u24_e32 v66, 0x10001, v17
	v_and_b32_e32 v17, 0xffff, v19
	v_pk_fma_f16 v48, v22, v61, v48
	v_pk_fma_f16 v30, v22, v62, v30
	;; [unrolled: 1-line block ×4, first 2 shown]
	v_mul_u32_u24_e32 v67, 0x10001, v17
	v_and_b32_e32 v17, 0xffff, v20
	v_pk_fma_f16 v26, v22, v64, v26
	s_delay_alu instid0(VALU_DEP_3) | instskip(NEXT) | instid1(VALU_DEP_3)
	v_pk_fma_f16 v29, v22, v67, v29
	v_mul_u32_u24_e32 v68, 0x10001, v17
	ds_load_b128 v[17:20], v106 offset:11216
	v_pk_fma_f16 v27, v22, v68, v27
	s_wait_dscnt 0x0
	v_lshrrev_b32_e32 v69, 16, v17
	v_lshrrev_b32_e32 v70, 16, v18
	;; [unrolled: 1-line block ×4, first 2 shown]
	v_and_b32_e32 v17, 0xffff, v17
	v_and_b32_e32 v18, 0xffff, v18
	;; [unrolled: 1-line block ×4, first 2 shown]
	v_mul_u32_u24_e32 v69, 0x10001, v69
	v_mul_u32_u24_e32 v17, 0x10001, v17
	;; [unrolled: 1-line block ×8, first 2 shown]
	v_pk_fma_f16 v25, v22, v17, v25
	v_pk_fma_f16 v24, v22, v69, v24
	;; [unrolled: 1-line block ×8, first 2 shown]
	ds_load_2addr_b32 v[20:21], v16 offset0:192 offset1:224
	ds_load_b128 v[16:19], v106 offset:10208
	s_wait_dscnt 0x0
	v_lshrrev_b32_e32 v61, 16, v16
	v_and_b32_e32 v16, 0xffff, v16
	v_lshrrev_b32_e32 v62, 16, v17
	v_lshrrev_b32_e32 v63, 16, v18
	;; [unrolled: 1-line block ×3, first 2 shown]
	v_mul_u32_u24_e32 v61, 0x10001, v61
	v_mul_u32_u24_e32 v65, 0x10001, v16
	v_and_b32_e32 v16, 0xffff, v17
	v_mul_u32_u24_e32 v62, 0x10001, v62
	v_mul_u32_u24_e32 v63, 0x10001, v63
	;; [unrolled: 1-line block ×3, first 2 shown]
	v_pk_fma_f16 v49, v20, v65, v49
	v_mul_u32_u24_e32 v66, 0x10001, v16
	v_and_b32_e32 v16, 0xffff, v18
	v_pk_fma_f16 v48, v20, v61, v48
	v_pk_fma_f16 v30, v20, v62, v30
	;; [unrolled: 1-line block ×4, first 2 shown]
	v_mul_u32_u24_e32 v67, 0x10001, v16
	v_and_b32_e32 v16, 0xffff, v19
	v_pk_fma_f16 v26, v20, v64, v26
	s_delay_alu instid0(VALU_DEP_3) | instskip(NEXT) | instid1(VALU_DEP_3)
	v_pk_fma_f16 v29, v20, v67, v29
	v_mul_u32_u24_e32 v68, 0x10001, v16
	ds_load_b128 v[16:19], v106 offset:11232
	v_pk_fma_f16 v27, v20, v68, v27
	s_wait_dscnt 0x0
	v_lshrrev_b32_e32 v69, 16, v16
	v_lshrrev_b32_e32 v70, 16, v17
	;; [unrolled: 1-line block ×4, first 2 shown]
	v_and_b32_e32 v16, 0xffff, v16
	v_and_b32_e32 v17, 0xffff, v17
	;; [unrolled: 1-line block ×4, first 2 shown]
	v_mul_u32_u24_e32 v69, 0x10001, v69
	v_mul_u32_u24_e32 v16, 0x10001, v16
	;; [unrolled: 1-line block ×6, first 2 shown]
	v_pk_fma_f16 v25, v20, v16, v25
	v_pk_fma_f16 v23, v20, v17, v23
	;; [unrolled: 1-line block ×4, first 2 shown]
	ds_load_b128 v[16:19], v106 offset:10224
	v_mul_u32_u24_e32 v71, 0x10001, v71
	v_mul_u32_u24_e32 v72, 0x10001, v72
	v_pk_fma_f16 v24, v20, v69, v24
	v_pk_fma_f16 v60, v20, v70, v60
	s_delay_alu instid0(VALU_DEP_4) | instskip(NEXT) | instid1(VALU_DEP_4)
	v_pk_fma_f16 v58, v20, v71, v58
	v_pk_fma_f16 v20, v20, v72, v22
	s_wait_dscnt 0x0
	v_lshrrev_b32_e32 v22, 16, v16
	v_and_b32_e32 v16, 0xffff, v16
	v_lshrrev_b32_e32 v61, 16, v17
	v_lshrrev_b32_e32 v62, 16, v18
	;; [unrolled: 1-line block ×3, first 2 shown]
	v_mul_u32_u24_e32 v22, 0x10001, v22
	v_mul_u32_u24_e32 v64, 0x10001, v16
	v_and_b32_e32 v16, 0xffff, v17
	v_mul_u32_u24_e32 v61, 0x10001, v61
	v_mul_u32_u24_e32 v62, 0x10001, v62
	;; [unrolled: 1-line block ×3, first 2 shown]
	v_pk_fma_f16 v142, v21, v64, v49
	v_mul_u32_u24_e32 v65, 0x10001, v16
	v_and_b32_e32 v16, 0xffff, v18
	v_pk_fma_f16 v141, v21, v22, v48
	v_pk_fma_f16 v139, v21, v61, v30
	;; [unrolled: 1-line block ×4, first 2 shown]
	v_mul_u32_u24_e32 v66, 0x10001, v16
	v_and_b32_e32 v16, 0xffff, v19
	v_pk_fma_f16 v135, v21, v63, v26
	v_mov_b32_e32 v48, v47
	v_mov_b32_e32 v47, v46
	v_pk_fma_f16 v138, v21, v66, v29
	v_mul_u32_u24_e32 v67, 0x10001, v16
	ds_load_b128 v[16:19], v106 offset:11248
	v_mov_b32_e32 v46, v45
	v_mov_b32_e32 v45, v44
	;; [unrolled: 1-line block ×3, first 2 shown]
	v_pk_fma_f16 v136, v21, v67, v27
	v_mov_b32_e32 v43, v42
	v_mov_b32_e32 v42, v41
	v_mov_b32_e32 v41, v40
	v_mov_b32_e32 v40, v39
	v_mov_b32_e32 v39, v38
	v_mov_b32_e32 v38, v37
	v_mov_b32_e32 v37, v36
	v_mov_b32_e32 v36, v35
	v_mov_b32_e32 v35, v34
	v_mov_b32_e32 v34, v33
	v_mov_b32_e32 v33, v32
	s_wait_loadcnt_dscnt 0x0
	s_barrier_signal -1
	s_barrier_wait -1
	global_inv scope:SCOPE_SE
	v_lshrrev_b32_e32 v68, 16, v16
	v_lshrrev_b32_e32 v69, 16, v17
	;; [unrolled: 1-line block ×4, first 2 shown]
	v_and_b32_e32 v16, 0xffff, v16
	v_and_b32_e32 v17, 0xffff, v17
	;; [unrolled: 1-line block ×4, first 2 shown]
	v_mul_u32_u24_e32 v68, 0x10001, v68
	v_mul_u32_u24_e32 v16, 0x10001, v16
	;; [unrolled: 1-line block ×8, first 2 shown]
	v_pk_fma_f16 v134, v21, v16, v25
	v_pk_fma_f16 v133, v21, v68, v24
	;; [unrolled: 1-line block ×8, first 2 shown]
	v_dual_mov_b32 v31, v15 :: v_dual_mov_b32 v30, v14
	v_dual_mov_b32 v29, v13 :: v_dual_mov_b32 v28, v12
	;; [unrolled: 1-line block ×8, first 2 shown]
.LBB52_240:
	v_cmp_lt_i32_e32 vcc_lo, v51, v56
	s_cmp_eq_u64 s[12:13], 0
	s_cselect_b32 s2, -1, 0
	s_cmp_lg_u32 s8, 0
	s_wait_alu 0xfffd
	v_cndmask_b32_e32 v0, v105, v51, vcc_lo
	v_cmp_lt_i32_e32 vcc_lo, v52, v56
	s_cselect_b32 s3, -1, 0
	s_wait_alu 0xfffe
	s_or_b32 s2, s3, s2
	s_wait_alu 0xfffd
	v_cndmask_b32_e32 v1, v105, v52, vcc_lo
	v_cmp_lt_i32_e32 vcc_lo, v54, v56
	s_wait_alu 0xfffd
	v_cndmask_b32_e32 v2, v105, v54, vcc_lo
	v_cmp_lt_i32_e32 vcc_lo, v55, v56
	s_delay_alu instid0(VALU_DEP_2)
	v_lshlrev_b32_e32 v2, 2, v2
	v_lshlrev_b32_e32 v1, 2, v1
	s_wait_alu 0xfffd
	v_dual_cndmask_b32 v3, v105, v55 :: v_dual_lshlrev_b32 v0, 2, v0
	v_cmp_lt_i32_e32 vcc_lo, v53, v56
	ds_bpermute_b32 v5, v0, v34
	ds_bpermute_b32 v7, v0, v35
	;; [unrolled: 1-line block ×4, first 2 shown]
	s_wait_alu 0xfffd
	v_cndmask_b32_e32 v6, v105, v53, vcc_lo
	ds_bpermute_b32 v8, v0, v36
	ds_bpermute_b32 v9, v0, v37
	;; [unrolled: 1-line block ×10, first 2 shown]
	v_lshlrev_b32_e32 v3, 2, v3
	s_wait_alu 0xfffe
	s_and_b32 vcc_lo, exec_lo, s2
	s_wait_dscnt 0xd
	v_add_f32_e32 v5, v34, v5
	s_wait_dscnt 0xc
	v_dual_add_f32 v7, v35, v7 :: v_dual_lshlrev_b32 v6, 2, v6
	s_wait_dscnt 0xa
	v_dual_add_f32 v4, v33, v4 :: v_dual_add_f32 v11, v39, v11
	ds_bpermute_b32 v35, v1, v5
	s_wait_dscnt 0x9
	v_dual_add_f32 v8, v36, v8 :: v_dual_add_f32 v9, v37, v9
	ds_bpermute_b32 v34, v1, v4
	ds_bpermute_b32 v36, v1, v7
	s_wait_dscnt 0x6
	v_dual_add_f32 v10, v38, v10 :: v_dual_add_f32 v13, v41, v13
	v_dual_add_f32 v12, v40, v12 :: v_dual_add_f32 v15, v43, v15
	v_add_f32_e32 v14, v42, v14
	ds_bpermute_b32 v37, v1, v8
	ds_bpermute_b32 v33, v0, v47
	s_wait_dscnt 0x7
	v_add_f32_e32 v38, v45, v49
	ds_bpermute_b32 v39, v1, v9
	ds_bpermute_b32 v40, v1, v10
	;; [unrolled: 1-line block ×5, first 2 shown]
	s_wait_dscnt 0xb
	v_add_f32_e32 v32, v44, v32
	ds_bpermute_b32 v42, v1, v12
	s_wait_dscnt 0xa
	v_add_f32_e32 v5, v5, v35
	ds_bpermute_b32 v44, v1, v14
	v_add_f32_e32 v46, v46, v50
	s_wait_dscnt 0xa
	v_add_f32_e32 v4, v4, v34
	ds_bpermute_b32 v34, v1, v15
	ds_bpermute_b32 v45, v2, v5
	s_wait_dscnt 0xa
	v_dual_add_f32 v7, v7, v36 :: v_dual_add_f32 v8, v8, v37
	s_wait_dscnt 0x9
	v_add_f32_e32 v33, v47, v33
	ds_bpermute_b32 v47, v2, v7
	s_wait_dscnt 0x9
	v_add_f32_e32 v9, v9, v39
	ds_bpermute_b32 v36, v2, v4
	;; [unrolled: 3-line block ×3, first 2 shown]
	s_wait_dscnt 0x7
	v_dual_add_f32 v0, v48, v0 :: v_dual_add_f32 v13, v13, v43
	ds_bpermute_b32 v49, v1, v33
	v_add_f32_e32 v11, v11, v41
	ds_bpermute_b32 v37, v1, v46
	ds_bpermute_b32 v48, v1, v38
	ds_bpermute_b32 v1, v1, v0
	s_wait_dscnt 0x8
	v_add_f32_e32 v15, v15, v34
	ds_bpermute_b32 v39, v2, v8
	s_wait_dscnt 0x8
	v_add_f32_e32 v5, v5, v45
	ds_bpermute_b32 v34, v2, v9
	v_add_f32_e32 v12, v12, v42
	v_add_f32_e32 v14, v14, v44
	ds_bpermute_b32 v41, v2, v11
	ds_bpermute_b32 v40, v3, v5
	s_wait_dscnt 0xa
	v_add_f32_e32 v7, v7, v47
	ds_bpermute_b32 v45, v2, v15
	s_wait_dscnt 0xa
	v_add_f32_e32 v4, v4, v36
	s_wait_dscnt 0x9
	v_add_f32_e32 v32, v32, v35
	ds_bpermute_b32 v42, v3, v7
	ds_bpermute_b32 v35, v2, v10
	s_wait_dscnt 0xa
	v_add_f32_e32 v33, v33, v49
	ds_bpermute_b32 v43, v2, v14
	s_wait_dscnt 0xa
	v_add_f32_e32 v37, v46, v37
	;; [unrolled: 3-line block ×3, first 2 shown]
	s_wait_dscnt 0x9
	v_add_f32_e32 v0, v0, v1
	s_wait_dscnt 0x8
	v_add_f32_e32 v8, v8, v39
	ds_bpermute_b32 v39, v2, v13
	s_wait_dscnt 0x8
	v_add_f32_e32 v9, v9, v34
	ds_bpermute_b32 v36, v3, v4
	ds_bpermute_b32 v1, v2, v12
	;; [unrolled: 1-line block ×3, first 2 shown]
	s_wait_dscnt 0x9
	v_add_f32_e32 v5, v5, v40
	ds_bpermute_b32 v44, v3, v8
	ds_bpermute_b32 v49, v2, v33
	v_add_f32_e32 v11, v11, v41
	ds_bpermute_b32 v47, v2, v38
	ds_bpermute_b32 v34, v3, v9
	s_wait_dscnt 0xb
	v_add_f32_e32 v7, v7, v42
	ds_bpermute_b32 v2, v2, v0
	s_wait_dscnt 0xb
	v_add_f32_e32 v10, v10, v35
	;; [unrolled: 3-line block ×3, first 2 shown]
	s_wait_dscnt 0xa
	v_dual_add_f32 v32, v32, v46 :: v_dual_add_f32 v15, v15, v45
	s_wait_dscnt 0x8
	v_dual_add_f32 v13, v13, v39 :: v_dual_add_f32 v4, v4, v36
	s_wait_dscnt 0x7
	v_add_f32_e32 v1, v12, v1
	ds_bpermute_b32 v40, v3, v10
	ds_bpermute_b32 v42, v3, v13
	s_wait_dscnt 0x7
	v_add_f32_e32 v8, v8, v44
	ds_bpermute_b32 v44, v3, v15
	v_add_f32_e32 v37, v37, v48
	ds_bpermute_b32 v43, v3, v14
	s_wait_dscnt 0x8
	v_add_f32_e32 v33, v33, v49
	ds_bpermute_b32 v45, v3, v32
	s_wait_dscnt 0x7
	v_dual_add_f32 v38, v38, v47 :: v_dual_add_f32 v9, v9, v34
	s_wait_dscnt 0x5
	v_dual_add_f32 v0, v0, v2 :: v_dual_add_f32 v11, v11, v41
	ds_bpermute_b32 v39, v3, v1
	ds_bpermute_b32 v46, v3, v38
	;; [unrolled: 1-line block ×8, first 2 shown]
	s_wait_dscnt 0xb
	v_dual_add_f32 v10, v10, v40 :: v_dual_add_f32 v13, v13, v42
	ds_bpermute_b32 v40, v6, v8
	s_wait_dscnt 0xb
	v_add_f32_e32 v15, v15, v44
	ds_bpermute_b32 v47, v6, v11
	s_wait_dscnt 0xb
	v_add_f32_e32 v14, v14, v43
	;; [unrolled: 3-line block ×4, first 2 shown]
	s_wait_dscnt 0xa
	v_add_f32_e32 v45, v38, v46
	s_wait_dscnt 0x9
	v_add_f32_e32 v2, v37, v2
	s_wait_dscnt 0x7
	v_dual_add_f32 v33, v33, v34 :: v_dual_add_f32 v0, v0, v3
	ds_bpermute_b32 v39, v6, v9
	ds_bpermute_b32 v41, v6, v10
	;; [unrolled: 1-line block ×6, first 2 shown]
	s_wait_dscnt 0xc
	v_add_f32_e32 v56, v4, v35
	ds_bpermute_b32 v34, v6, v33
	ds_bpermute_b32 v4, v6, v0
	s_wait_dscnt 0xb
	v_add_f32_e32 v50, v8, v40
	s_wait_dscnt 0x8
	v_dual_add_f32 v40, v13, v43 :: v_dual_add_f32 v13, v15, v49
	ds_bpermute_b32 v3, v6, v2
	v_add_f32_e32 v54, v5, v36
	v_add_f32_e32 v52, v7, v12
	;; [unrolled: 1-line block ×3, first 2 shown]
	s_wait_dscnt 0x8
	v_add_f32_e32 v48, v9, v39
	s_wait_dscnt 0x7
	v_add_f32_e32 v46, v10, v41
	;; [unrolled: 2-line block ×9, first 2 shown]
	s_wait_alu 0xfffe
	s_cbranch_vccnz .LBB52_242
; %bb.241:
	v_dual_mov_b32 v0, 0 :: v_dual_max_num_f32 v1, v17, v17
	s_lshl_b64 s[2:3], s[34:35], 2
	v_dual_max_num_f32 v2, v18, v18 :: v_dual_max_num_f32 v5, v21, v21
	s_wait_alu 0xfffe
	s_add_nc_u64 s[2:3], s[12:13], s[2:3]
	v_dual_max_num_f32 v4, v20, v20 :: v_dual_max_num_f32 v7, v23, v23
	global_load_b32 v33, v0, s[2:3]
	v_max_num_f32_e32 v6, v22, v22
	v_dual_max_num_f32 v0, v16, v16 :: v_dual_max_num_f32 v3, v19, v19
	v_dual_max_num_f32 v8, v24, v24 :: v_dual_max_num_f32 v9, v25, v25
	;; [unrolled: 1-line block ×3, first 2 shown]
	s_wait_loadcnt 0x0
	v_max_num_f32_e32 v15, v33, v33
	s_delay_alu instid0(VALU_DEP_1) | instskip(SKIP_3) | instid1(VALU_DEP_4)
	v_dual_max_num_f32 v35, v28, v28 :: v_dual_max_num_f32 v2, v2, v15
	v_max_num_f32_e32 v1, v1, v15
	v_max_num_f32_e32 v0, v0, v15
	;; [unrolled: 1-line block ×3, first 2 shown]
	v_dual_max_num_f32 v3, v3, v15 :: v_dual_sub_f32 v18, v18, v2
	s_delay_alu instid0(VALU_DEP_4) | instskip(NEXT) | instid1(VALU_DEP_4)
	v_dual_sub_f32 v17, v17, v1 :: v_dual_max_num_f32 v4, v4, v15
	v_sub_f32_e32 v37, v33, v0
	v_dual_max_num_f32 v5, v5, v15 :: v_dual_sub_f32 v16, v16, v0
	v_dual_max_num_f32 v6, v6, v15 :: v_dual_sub_f32 v39, v33, v1
	v_max_num_f32_e32 v7, v7, v15
	v_sub_f32_e32 v41, v33, v2
	v_dual_max_num_f32 v9, v9, v15 :: v_dual_sub_f32 v24, v24, v8
	v_sub_f32_e32 v20, v20, v4
	v_dual_max_num_f32 v10, v10, v15 :: v_dual_sub_f32 v45, v33, v4
	v_dual_max_num_f32 v11, v11, v15 :: v_dual_sub_f32 v22, v22, v6
	s_delay_alu instid0(VALU_DEP_3) | instskip(SKIP_3) | instid1(VALU_DEP_4)
	v_dual_sub_f32 v23, v23, v7 :: v_dual_mul_f32 v68, 0x3fb8aa3b, v20
	v_sub_f32_e32 v25, v25, v9
	v_dual_sub_f32 v43, v33, v3 :: v_dual_mul_f32 v60, 0x3fb8aa3b, v16
	v_sub_f32_e32 v26, v26, v10
	v_mul_f32_e32 v74, 0x3fb8aa3b, v23
	s_delay_alu instid0(VALU_DEP_4) | instskip(SKIP_3) | instid1(VALU_DEP_4)
	v_dual_sub_f32 v27, v27, v11 :: v_dual_mul_f32 v78, 0x3fb8aa3b, v25
	v_mul_f32_e32 v61, 0x3fb8aa3b, v37
	v_fma_f32 v84, 0x3fb8aa3b, v16, -v60
	v_rndne_f32_e32 v85, v60
	v_dual_mul_f32 v82, 0x3fb8aa3b, v27 :: v_dual_sub_f32 v49, v33, v6
	v_mul_f32_e32 v62, 0x3fb8aa3b, v17
	v_rndne_f32_e32 v87, v61
	s_delay_alu instid0(VALU_DEP_4) | instskip(SKIP_1) | instid1(VALU_DEP_3)
	v_dual_mul_f32 v63, 0x3fb8aa3b, v39 :: v_dual_sub_f32 v60, v60, v85
	v_fma_f32 v86, 0x3fb8aa3b, v37, -v61
	v_dual_fmac_f32 v84, 0x32a5705f, v16 :: v_dual_sub_f32 v61, v61, v87
	v_mul_f32_e32 v65, 0x3fb8aa3b, v41
	v_dual_sub_f32 v19, v19, v3 :: v_dual_sub_f32 v58, v33, v10
	v_dual_sub_f32 v21, v21, v5 :: v_dual_mul_f32 v64, 0x3fb8aa3b, v18
	s_delay_alu instid0(VALU_DEP_2)
	v_dual_sub_f32 v47, v33, v5 :: v_dual_mul_f32 v66, 0x3fb8aa3b, v19
	v_fma_f32 v88, 0x3fb8aa3b, v17, -v62
	v_rndne_f32_e32 v89, v62
	v_add_f32_e32 v60, v60, v84
	v_rndne_f32_e32 v95, v65
	v_mul_f32_e32 v67, 0x3fb8aa3b, v43
	v_fma_f32 v90, 0x3fb8aa3b, v39, -v63
	v_rndne_f32_e32 v91, v63
	v_rndne_f32_e32 v93, v64
	v_mul_f32_e32 v71, 0x3fb8aa3b, v47
	v_fma_f32 v94, 0x3fb8aa3b, v41, -v65
	s_delay_alu instid0(VALU_DEP_4)
	v_dual_fmac_f32 v86, 0x32a5705f, v37 :: v_dual_sub_f32 v63, v63, v91
	v_dual_fmac_f32 v88, 0x32a5705f, v17 :: v_dual_sub_f32 v65, v65, v95
	v_sub_f32_e32 v62, v62, v89
	v_mul_f32_e32 v69, 0x3fb8aa3b, v45
	v_dual_sub_f32 v55, v33, v9 :: v_dual_mul_f32 v76, 0x3fb8aa3b, v24
	v_fma_f32 v92, 0x3fb8aa3b, v18, -v64
	v_rndne_f32_e32 v107, v67
	v_dual_fmac_f32 v90, 0x32a5705f, v39 :: v_dual_add_f32 v61, v61, v86
	v_sub_f32_e32 v64, v64, v93
	v_fma_f32 v114, 0x3fb8aa3b, v47, -v71
	v_rndne_f32_e32 v115, v71
	v_add_f32_e32 v62, v62, v88
	v_fma_f32 v110, 0x3fb8aa3b, v45, -v69
	v_exp_f32_e32 v60, v60
	v_fma_f32 v106, 0x3fb8aa3b, v43, -v67
	v_rndne_f32_e32 v125, v76
	v_cvt_i32_f32_e32 v85, v85
	v_dual_fmac_f32 v94, 0x32a5705f, v41 :: v_dual_sub_f32 v67, v67, v107
	v_dual_fmac_f32 v110, 0x32a5705f, v45 :: v_dual_sub_f32 v71, v71, v115
	s_delay_alu instid0(VALU_DEP_2)
	v_dual_fmac_f32 v114, 0x32a5705f, v47 :: v_dual_add_f32 v65, v65, v94
	v_exp_f32_e32 v61, v61
	v_dual_sub_f32 v59, v33, v11 :: v_dual_mul_f32 v80, 0x3fb8aa3b, v26
	v_fma_f32 v97, 0x3fb8aa3b, v19, -v66
	v_fma_f32 v124, 0x3fb8aa3b, v24, -v76
	v_cvt_i32_f32_e32 v87, v87
	v_fmac_f32_e32 v92, 0x32a5705f, v18
	v_dual_fmac_f32 v106, 0x32a5705f, v43 :: v_dual_add_f32 v63, v63, v90
	v_dual_sub_f32 v76, v76, v125 :: v_dual_add_f32 v71, v71, v114
	v_exp_f32_e32 v62, v62
	v_ldexp_f32 v60, v60, v85
	v_cmp_ngt_f32_e32 vcc_lo, 0xc2ce8ed0, v16
	v_dual_sub_f32 v51, v33, v7 :: v_dual_mul_f32 v70, 0x3fb8aa3b, v21
	v_dual_sub_f32 v53, v33, v8 :: v_dual_mul_f32 v72, 0x3fb8aa3b, v22
	v_rndne_f32_e32 v105, v66
	v_fma_f32 v108, 0x3fb8aa3b, v20, -v68
	v_rndne_f32_e32 v109, v68
	v_rndne_f32_e32 v111, v69
	v_fma_f32 v148, 0x3fb8aa3b, v26, -v80
	v_cvt_i32_f32_e32 v89, v89
	v_fmac_f32_e32 v97, 0x32a5705f, v19
	v_dual_mul_f32 v73, 0x3fb8aa3b, v49 :: v_dual_add_f32 v64, v64, v92
	v_exp_f32_e32 v63, v63
	v_exp_f32_e32 v71, v71
	v_ldexp_f32 v61, v61, v87
	s_wait_alu 0xfffd
	v_cndmask_b32_e32 v60, 0, v60, vcc_lo
	v_cmp_ngt_f32_e32 vcc_lo, 0xc2ce8ed0, v37
	v_dual_mul_f32 v75, 0x3fb8aa3b, v51 :: v_dual_sub_f32 v66, v66, v105
	v_dual_mul_f32 v79, 0x3fb8aa3b, v55 :: v_dual_sub_f32 v68, v68, v109
	v_fma_f32 v112, 0x3fb8aa3b, v21, -v70
	v_rndne_f32_e32 v113, v70
	v_mul_f32_e32 v81, 0x3fb8aa3b, v58
	v_fma_f32 v118, 0x3fb8aa3b, v49, -v73
	v_rndne_f32_e32 v119, v73
	v_cvt_i32_f32_e32 v91, v91
	v_dual_fmac_f32 v108, 0x32a5705f, v20 :: v_dual_sub_f32 v69, v69, v111
	v_mul_f32_e32 v77, 0x3fb8aa3b, v53
	v_cvt_i32_f32_e32 v115, v115
	s_wait_alu 0xfffd
	v_dual_fmac_f32 v148, 0x32a5705f, v26 :: v_dual_cndmask_b32 v61, 0, v61
	v_exp_f32_e32 v64, v64
	v_ldexp_f32 v62, v62, v89
	v_cmp_ngt_f32_e32 vcc_lo, 0xc2ce8ed0, v17
	v_fma_f32 v120, 0x3fb8aa3b, v23, -v74
	v_cvt_i32_f32_e32 v93, v93
	v_dual_fmac_f32 v112, 0x32a5705f, v21 :: v_dual_sub_f32 v73, v73, v119
	v_sub_f32_e32 v70, v70, v113
	v_fma_f32 v150, 0x3fb8aa3b, v58, -v81
	v_add_f32_e32 v68, v68, v108
	v_fma_f32 v126, 0x3fb8aa3b, v53, -v77
	v_rndne_f32_e32 v143, v77
	v_fmac_f32_e32 v118, 0x32a5705f, v49
	v_exp_f32_e32 v65, v65
	v_ldexp_f32 v63, v63, v91
	v_ldexp_f32 v71, v71, v115
	v_add_f32_e32 v66, v66, v97
	s_wait_alu 0xfffd
	v_cndmask_b32_e32 v62, 0, v62, vcc_lo
	v_cmp_ngt_f32_e32 vcc_lo, 0xc2ce8ed0, v39
	v_fma_f32 v116, 0x3fb8aa3b, v22, -v72
	v_fma_f32 v122, 0x3fb8aa3b, v51, -v75
	v_rndne_f32_e32 v123, v75
	v_cvt_i32_f32_e32 v95, v95
	v_dual_fmac_f32 v120, 0x32a5705f, v23 :: v_dual_add_f32 v67, v67, v106
	v_dual_sub_f32 v77, v77, v143 :: v_dual_fmac_f32 v126, 0x32a5705f, v53
	v_add_f32_e32 v73, v73, v118
	s_wait_alu 0xfffd
	v_dual_fmac_f32 v150, 0x32a5705f, v58 :: v_dual_cndmask_b32 v63, 0, v63
	v_exp_f32_e32 v66, v66
	v_ldexp_f32 v64, v64, v93
	v_cmp_ngt_f32_e32 vcc_lo, 0xc2ce8ed0, v18
	v_fma_f32 v144, 0x3fb8aa3b, v25, -v78
	v_fma_f32 v152, 0x3fb8aa3b, v27, -v82
	v_cvt_i32_f32_e32 v105, v105
	v_dual_fmac_f32 v116, 0x32a5705f, v22 :: v_dual_sub_f32 v75, v75, v123
	v_dual_fmac_f32 v122, 0x32a5705f, v51 :: v_dual_add_f32 v69, v69, v110
	v_exp_f32_e32 v67, v67
	v_exp_f32_e32 v73, v73
	v_ldexp_f32 v65, v65, v95
	s_wait_alu 0xfffd
	v_cndmask_b32_e32 v64, 0, v64, vcc_lo
	v_cmp_ngt_f32_e32 vcc_lo, 0xc2ce8ed0, v41
	v_cvt_i32_f32_e32 v107, v107
	v_cvt_i32_f32_e32 v119, v119
	v_dual_fmac_f32 v144, 0x32a5705f, v25 :: v_dual_add_f32 v75, v75, v122
	s_wait_alu 0xfffd
	v_dual_fmac_f32 v152, 0x32a5705f, v27 :: v_dual_cndmask_b32 v65, 0, v65
	v_exp_f32_e32 v68, v68
	v_ldexp_f32 v66, v66, v105
	v_cmp_ngt_f32_e32 vcc_lo, 0xc2ce8ed0, v19
	v_rndne_f32_e32 v117, v72
	v_rndne_f32_e32 v145, v78
	v_rndne_f32_e32 v153, v82
	v_cvt_i32_f32_e32 v109, v109
	v_exp_f32_e32 v69, v69
	v_exp_f32_e32 v75, v75
	v_ldexp_f32 v67, v67, v107
	v_ldexp_f32 v73, v73, v119
	v_add_f32_e32 v70, v70, v112
	s_wait_alu 0xfffd
	v_cndmask_b32_e32 v66, 0, v66, vcc_lo
	v_cmp_ngt_f32_e32 vcc_lo, 0xc2ce8ed0, v43
	v_dual_mul_f32 v83, 0x3fb8aa3b, v59 :: v_dual_sub_f32 v72, v72, v117
	v_rndne_f32_e32 v121, v74
	v_fma_f32 v146, 0x3fb8aa3b, v55, -v79
	v_rndne_f32_e32 v147, v79
	v_rndne_f32_e32 v151, v81
	v_cvt_i32_f32_e32 v111, v111
	v_cvt_i32_f32_e32 v123, v123
	v_dual_sub_f32 v78, v78, v145 :: v_dual_add_f32 v77, v77, v126
	s_wait_alu 0xfffd
	v_dual_sub_f32 v82, v82, v153 :: v_dual_cndmask_b32 v67, 0, v67
	v_exp_f32_e32 v70, v70
	v_ldexp_f32 v68, v68, v109
	v_cmp_ngt_f32_e32 vcc_lo, 0xc2ce8ed0, v20
	v_rndne_f32_e32 v149, v80
	v_fma_f32 v154, 0x3fb8aa3b, v59, -v83
	v_cvt_i32_f32_e32 v113, v113
	v_dual_sub_f32 v74, v74, v121 :: v_dual_sub_f32 v79, v79, v147
	v_dual_fmac_f32 v124, 0x32a5705f, v24 :: v_dual_sub_f32 v81, v81, v151
	v_fmac_f32_e32 v146, 0x32a5705f, v55
	v_exp_f32_e32 v77, v77
	v_ldexp_f32 v69, v69, v111
	v_ldexp_f32 v75, v75, v123
	v_add_f32_e32 v72, v72, v116
	s_wait_alu 0xfffd
	v_cndmask_b32_e32 v68, 0, v68, vcc_lo
	v_cmp_ngt_f32_e32 vcc_lo, 0xc2ce8ed0, v45
	v_cvt_i32_f32_e32 v143, v143
	v_dual_fmac_f32 v154, 0x32a5705f, v59 :: v_dual_add_f32 v81, v81, v150
	v_dual_sub_f32 v80, v80, v149 :: v_dual_add_f32 v79, v79, v146
	v_exp_f32_e32 v72, v72
	v_ldexp_f32 v70, v70, v113
	s_wait_alu 0xfffd
	v_cndmask_b32_e32 v69, 0, v69, vcc_lo
	v_cmp_ngt_f32_e32 vcc_lo, 0xc2ce8ed0, v21
	v_cvt_i32_f32_e32 v117, v117
	v_exp_f32_e32 v79, v79
	v_ldexp_f32 v77, v77, v143
	v_add_f32_e32 v74, v74, v120
	s_wait_alu 0xfffd
	v_cndmask_b32_e32 v70, 0, v70, vcc_lo
	v_cmp_ngt_f32_e32 vcc_lo, 0xc2ce8ed0, v47
	v_cvt_i32_f32_e32 v147, v147
	v_ldexp_f32 v72, v72, v117
	v_exp_f32_e32 v74, v74
	v_cvt_i32_f32_e32 v121, v121
	s_wait_alu 0xfffd
	v_cndmask_b32_e32 v71, 0, v71, vcc_lo
	v_cmp_ngt_f32_e32 vcc_lo, 0xc2ce8ed0, v22
	v_exp_f32_e32 v81, v81
	v_ldexp_f32 v79, v79, v147
	v_add_f32_e32 v76, v76, v124
	v_cvt_i32_f32_e32 v151, v151
	s_wait_alu 0xfffd
	v_cndmask_b32_e32 v72, 0, v72, vcc_lo
	v_cmp_ngt_f32_e32 vcc_lo, 0xc2ce8ed0, v49
	v_ldexp_f32 v74, v74, v121
	v_exp_f32_e32 v76, v76
	v_cvt_i32_f32_e32 v125, v125
	v_cvt_i32_f32_e32 v145, v145
	s_wait_alu 0xfffd
	v_cndmask_b32_e32 v73, 0, v73, vcc_lo
	v_cmp_ngt_f32_e32 vcc_lo, 0xc2ce8ed0, v23
	v_ldexp_f32 v81, v81, v151
	v_add_f32_e32 v78, v78, v144
	v_add_f32_e32 v80, v80, v148
	v_cvt_i32_f32_e32 v149, v149
	s_wait_alu 0xfffd
	v_cndmask_b32_e32 v74, 0, v74, vcc_lo
	v_cmp_ngt_f32_e32 vcc_lo, 0xc2ce8ed0, v51
	v_exp_f32_e32 v78, v78
	v_ldexp_f32 v76, v76, v125
	v_exp_f32_e32 v80, v80
	v_rndne_f32_e32 v155, v83
	s_wait_alu 0xfffd
	v_cndmask_b32_e32 v75, 0, v75, vcc_lo
	v_cmp_ngt_f32_e32 vcc_lo, 0xc2ce8ed0, v24
	s_wait_alu 0xfffd
	v_cndmask_b32_e32 v76, 0, v76, vcc_lo
	v_cmp_ngt_f32_e32 vcc_lo, 0xc2ce8ed0, v53
	v_ldexp_f32 v78, v78, v145
	s_delay_alu instid0(TRANS32_DEP_1)
	v_ldexp_f32 v80, v80, v149
	s_wait_alu 0xfffd
	v_cndmask_b32_e32 v77, 0, v77, vcc_lo
	v_cmp_ngt_f32_e32 vcc_lo, 0xc2ce8ed0, v25
	s_wait_alu 0xfffd
	v_cndmask_b32_e32 v78, 0, v78, vcc_lo
	v_cmp_ngt_f32_e32 vcc_lo, 0xc2ce8ed0, v55
	;; [unrolled: 3-line block ×4, first 2 shown]
	s_wait_alu 0xfffd
	v_cndmask_b32_e32 v81, 0, v81, vcc_lo
	v_cmp_nlt_f32_e32 vcc_lo, 0x42b17218, v16
	s_wait_alu 0xfffd
	v_cndmask_b32_e32 v16, 0x7f800000, v60, vcc_lo
	v_cmp_nlt_f32_e32 vcc_lo, 0x42b17218, v37
	s_wait_alu 0xfffd
	v_cndmask_b32_e32 v37, 0x7f800000, v61, vcc_lo
	v_cmp_nlt_f32_e32 vcc_lo, 0x42b17218, v17
	s_delay_alu instid0(VALU_DEP_2) | instskip(SKIP_3) | instid1(VALU_DEP_3)
	v_fmac_f32_e32 v37, v56, v16
	s_wait_alu 0xfffd
	v_dual_add_f32 v82, v82, v152 :: v_dual_cndmask_b32 v17, 0x7f800000, v62
	v_cmp_nlt_f32_e32 vcc_lo, 0x42b17218, v39
	v_mov_b32_e32 v56, v37
	s_delay_alu instid0(VALU_DEP_3) | instskip(SKIP_4) | instid1(VALU_DEP_2)
	v_exp_f32_e32 v82, v82
	s_wait_alu 0xfffd
	v_cndmask_b32_e32 v39, 0x7f800000, v63, vcc_lo
	v_cmp_nlt_f32_e32 vcc_lo, 0x42b17218, v18
	s_wait_alu 0xfffd
	v_dual_fmac_f32 v39, v54, v17 :: v_dual_cndmask_b32 v18, 0x7f800000, v64
	v_cmp_nlt_f32_e32 vcc_lo, 0x42b17218, v41
	v_cvt_f16_f32_e32 v17, v17
	s_wait_alu 0xfffd
	s_delay_alu instid0(VALU_DEP_3) | instskip(SKIP_1) | instid1(VALU_DEP_3)
	v_dual_mov_b32 v54, v39 :: v_dual_cndmask_b32 v41, 0x7f800000, v65
	v_cmp_nlt_f32_e32 vcc_lo, 0x42b17218, v19
	v_and_b32_e32 v17, 0xffff, v17
	s_wait_alu 0xfffd
	v_cndmask_b32_e32 v19, 0x7f800000, v66, vcc_lo
	v_cmp_nlt_f32_e32 vcc_lo, 0x42b17218, v43
	s_delay_alu instid0(VALU_DEP_3) | instskip(SKIP_3) | instid1(VALU_DEP_3)
	v_mul_u32_u24_e32 v17, 0x10001, v17
	s_wait_alu 0xfffd
	v_cndmask_b32_e32 v43, 0x7f800000, v67, vcc_lo
	v_cmp_nlt_f32_e32 vcc_lo, 0x42b17218, v20
	v_pk_mul_f16 v141, v141, v17
	v_cvt_i32_f32_e32 v17, v153
	s_wait_alu 0xfffd
	v_cndmask_b32_e32 v20, 0x7f800000, v68, vcc_lo
	v_cmp_nlt_f32_e32 vcc_lo, 0x42b17218, v45
	s_wait_alu 0xfffd
	v_cndmask_b32_e32 v45, 0x7f800000, v69, vcc_lo
	v_cmp_nlt_f32_e32 vcc_lo, 0x42b17218, v21
	s_delay_alu instid0(VALU_DEP_2)
	v_fmac_f32_e32 v45, v48, v20
	s_wait_alu 0xfffd
	v_cndmask_b32_e32 v21, 0x7f800000, v70, vcc_lo
	v_cmp_nlt_f32_e32 vcc_lo, 0x42b17218, v47
	s_wait_alu 0xfffd
	v_dual_mov_b32 v48, v45 :: v_dual_cndmask_b32 v47, 0x7f800000, v71
	v_cmp_nlt_f32_e32 vcc_lo, 0x42b17218, v22
	s_wait_alu 0xfffd
	s_delay_alu instid0(VALU_DEP_2) | instskip(SKIP_3) | instid1(VALU_DEP_3)
	v_dual_fmac_f32 v47, v46, v21 :: v_dual_cndmask_b32 v22, 0x7f800000, v72
	v_cmp_nlt_f32_e32 vcc_lo, 0x42b17218, v49
	v_cvt_f16_f32_e32 v21, v21
	s_wait_alu 0xfffd
	v_dual_mov_b32 v46, v47 :: v_dual_cndmask_b32 v49, 0x7f800000, v73
	v_cmp_nlt_f32_e32 vcc_lo, 0x42b17218, v23
	s_delay_alu instid0(VALU_DEP_3) | instskip(SKIP_3) | instid1(VALU_DEP_3)
	v_and_b32_e32 v21, 0xffff, v21
	s_wait_alu 0xfffd
	v_cndmask_b32_e32 v23, 0x7f800000, v74, vcc_lo
	v_cmp_nlt_f32_e32 vcc_lo, 0x42b17218, v51
	v_mul_u32_u24_e32 v21, 0x10001, v21
	s_wait_alu 0xfffd
	v_cndmask_b32_e32 v51, 0x7f800000, v75, vcc_lo
	v_cmp_nlt_f32_e32 vcc_lo, 0x42b17218, v24
	s_delay_alu instid0(VALU_DEP_3) | instskip(SKIP_1) | instid1(VALU_DEP_3)
	v_pk_mul_f16 v137, v137, v21
	s_wait_alu 0xfffd
	v_dual_fmac_f32 v51, v42, v23 :: v_dual_cndmask_b32 v24, 0x7f800000, v76
	v_cmp_nlt_f32_e32 vcc_lo, 0x42b17218, v53
	v_cvt_f16_f32_e32 v23, v23
	s_wait_alu 0xfffd
	s_delay_alu instid0(VALU_DEP_3) | instskip(SKIP_1) | instid1(VALU_DEP_3)
	v_dual_mov_b32 v42, v51 :: v_dual_cndmask_b32 v53, 0x7f800000, v77
	v_cmp_nlt_f32_e32 vcc_lo, 0x42b17218, v25
	v_and_b32_e32 v23, 0xffff, v23
	s_delay_alu instid0(VALU_DEP_3)
	v_fmac_f32_e32 v53, v40, v24
	s_wait_alu 0xfffd
	v_cndmask_b32_e32 v25, 0x7f800000, v78, vcc_lo
	v_cmp_nlt_f32_e32 vcc_lo, 0x42b17218, v55
	v_mul_u32_u24_e32 v23, 0x10001, v23
	v_cvt_f16_f32_e32 v24, v24
	s_wait_alu 0xfffd
	v_cndmask_b32_e32 v55, 0x7f800000, v79, vcc_lo
	v_cmp_nlt_f32_e32 vcc_lo, 0x42b17218, v26
	v_pk_mul_f16 v135, v135, v23
	s_delay_alu instid0(VALU_DEP_3) | instskip(SKIP_4) | instid1(VALU_DEP_3)
	v_fmac_f32_e32 v55, v12, v25
	v_cvt_f16_f32_e32 v12, v25
	s_wait_alu 0xfffd
	v_cndmask_b32_e32 v26, 0x7f800000, v80, vcc_lo
	v_cmp_nlt_f32_e32 vcc_lo, 0x42b17218, v58
	v_and_b32_e32 v12, 0xffff, v12
	s_delay_alu instid0(VALU_DEP_3) | instskip(NEXT) | instid1(VALU_DEP_2)
	v_cvt_f16_f32_e32 v25, v26
	v_mul_u32_u24_e32 v12, 0x10001, v12
	s_delay_alu instid0(VALU_DEP_2) | instskip(NEXT) | instid1(VALU_DEP_2)
	v_and_b32_e32 v25, 0xffff, v25
	v_pk_mul_f16 v133, v133, v12
	s_wait_alu 0xfffd
	v_dual_max_num_f32 v12, v35, v15 :: v_dual_cndmask_b32 v35, 0x7f800000, v81
	v_cmp_ngt_f32_e32 vcc_lo, 0xc2ce8ed0, v27
	v_fmac_f32_e32 v43, v50, v19
	v_cvt_f16_f32_e32 v19, v19
	s_delay_alu instid0(VALU_DEP_4) | instskip(SKIP_2) | instid1(VALU_DEP_4)
	v_fmac_f32_e32 v35, v13, v26
	v_cvt_f16_f32_e32 v16, v16
	v_ldexp_f32 v13, v82, v17
	v_dual_mov_b32 v50, v43 :: v_dual_and_b32 v19, 0xffff, v19
	v_mov_b32_e32 v40, v53
	s_wait_alu 0xfffd
	s_delay_alu instid0(VALU_DEP_3) | instskip(NEXT) | instid1(VALU_DEP_3)
	v_dual_cndmask_b32 v13, 0, v13 :: v_dual_and_b32 v16, 0xffff, v16
	v_mul_u32_u24_e32 v19, 0x10001, v19
	v_cmp_nlt_f32_e32 vcc_lo, 0x42b17218, v27
	s_delay_alu instid0(VALU_DEP_3) | instskip(NEXT) | instid1(VALU_DEP_3)
	v_mul_u32_u24_e32 v16, 0x10001, v16
	v_pk_mul_f16 v139, v139, v19
	v_mul_u32_u24_e32 v19, 0x10001, v25
	s_wait_alu 0xfffd
	v_cndmask_b32_e32 v23, 0x7f800000, v13, vcc_lo
	v_pk_mul_f16 v142, v142, v16
	v_sub_f32_e32 v16, v83, v155
	v_cmp_ngt_f32_e32 vcc_lo, 0xc2ce8ed0, v59
	v_pk_mul_f16 v132, v132, v19
	v_cvt_i32_f32_e32 v19, v155
	s_delay_alu instid0(VALU_DEP_4) | instskip(NEXT) | instid1(VALU_DEP_1)
	v_add_f32_e32 v16, v16, v154
	v_exp_f32_e32 v16, v16
	s_delay_alu instid0(TRANS32_DEP_1) | instskip(SKIP_1) | instid1(VALU_DEP_1)
	v_ldexp_f32 v13, v16, v19
	s_wait_alu 0xfffd
	v_dual_cndmask_b32 v19, 0, v13 :: v_dual_and_b32 v24, 0xffff, v24
	v_max_num_f32_e32 v13, v29, v29
	v_fmac_f32_e32 v41, v52, v18
	v_cvt_f16_f32_e32 v18, v18
	v_cmp_nlt_f32_e32 vcc_lo, 0x42b17218, v59
	v_mul_u32_u24_e32 v24, 0x10001, v24
	v_max_num_f32_e32 v13, v13, v15
	v_cvt_f16_f32_e32 v20, v20
	v_and_b32_e32 v18, 0xffff, v18
	s_wait_alu 0xfffd
	v_cndmask_b32_e32 v58, 0x7f800000, v19, vcc_lo
	v_pk_mul_f16 v134, v134, v24
	v_cvt_f16_f32_e32 v24, v23
	v_and_b32_e32 v20, 0xffff, v20
	v_mul_u32_u24_e32 v18, 0x10001, v18
	v_dual_fmac_f32 v58, v38, v23 :: v_dual_fmac_f32 v49, v44, v22
	v_cvt_f16_f32_e32 v22, v22
	s_delay_alu instid0(VALU_DEP_4) | instskip(NEXT) | instid1(VALU_DEP_4)
	v_mul_u32_u24_e32 v20, 0x10001, v20
	v_pk_mul_f16 v140, v140, v18
	v_sub_f32_e32 v18, v28, v12
	v_and_b32_e32 v24, 0xffff, v24
	v_sub_f32_e32 v26, v29, v13
	v_pk_mul_f16 v138, v138, v20
	v_sub_f32_e32 v23, v33, v13
	v_mul_f32_e32 v17, 0x3fb8aa3b, v18
	v_cmp_ngt_f32_e32 vcc_lo, 0xc2ce8ed0, v18
	v_mul_u32_u24_e32 v19, 0x10001, v24
	v_mov_b32_e32 v52, v41
	v_mov_b32_e32 v44, v49
	v_fma_f32 v20, 0x3fb8aa3b, v18, -v17
	v_rndne_f32_e32 v21, v17
	v_pk_mul_f16 v131, v131, v19
	v_mov_b32_e32 v38, v58
	s_delay_alu instid0(VALU_DEP_4) | instskip(NEXT) | instid1(VALU_DEP_4)
	v_fmac_f32_e32 v20, 0x32a5705f, v18
	v_sub_f32_e32 v16, v17, v21
	v_cvt_i32_f32_e32 v21, v21
	s_delay_alu instid0(VALU_DEP_2) | instskip(NEXT) | instid1(VALU_DEP_1)
	v_add_f32_e32 v16, v16, v20
	v_exp_f32_e32 v16, v16
	s_delay_alu instid0(TRANS32_DEP_1) | instskip(SKIP_1) | instid1(VALU_DEP_1)
	v_ldexp_f32 v16, v16, v21
	s_wait_alu 0xfffd
	v_cndmask_b32_e32 v16, 0, v16, vcc_lo
	v_cmp_nlt_f32_e32 vcc_lo, 0x42b17218, v18
	s_wait_alu 0xfffd
	s_delay_alu instid0(VALU_DEP_2) | instskip(SKIP_1) | instid1(VALU_DEP_1)
	v_cndmask_b32_e32 v16, 0x7f800000, v16, vcc_lo
	v_and_b32_e32 v22, 0xffff, v22
	v_mul_u32_u24_e32 v22, 0x10001, v22
	s_delay_alu instid0(VALU_DEP_1) | instskip(SKIP_1) | instid1(VALU_DEP_1)
	v_pk_mul_f16 v136, v136, v22
	v_sub_f32_e32 v22, v33, v12
	v_mul_f32_e32 v17, 0x3fb8aa3b, v22
	v_cmp_ngt_f32_e32 vcc_lo, 0xc2ce8ed0, v22
	s_delay_alu instid0(VALU_DEP_2) | instskip(SKIP_1) | instid1(VALU_DEP_1)
	v_fma_f32 v20, 0x3fb8aa3b, v22, -v17
	v_rndne_f32_e32 v25, v17
	v_dual_fmac_f32 v20, 0x32a5705f, v22 :: v_dual_sub_f32 v17, v17, v25
	v_cvt_i32_f32_e32 v24, v25
	v_mul_f32_e32 v25, 0x3fb8aa3b, v23
	s_delay_alu instid0(VALU_DEP_3) | instskip(NEXT) | instid1(VALU_DEP_2)
	v_dual_add_f32 v17, v17, v20 :: v_dual_mul_f32 v20, 0x3fb8aa3b, v26
	v_fma_f32 v18, 0x3fb8aa3b, v23, -v25
	s_delay_alu instid0(VALU_DEP_2) | instskip(NEXT) | instid1(VALU_DEP_2)
	v_exp_f32_e32 v17, v17
	v_fma_f32 v19, 0x3fb8aa3b, v26, -v20
	v_rndne_f32_e32 v21, v20
	s_delay_alu instid0(VALU_DEP_2) | instskip(NEXT) | instid1(VALU_DEP_2)
	v_dual_fmac_f32 v18, 0x32a5705f, v23 :: v_dual_fmac_f32 v19, 0x32a5705f, v26
	v_sub_f32_e32 v20, v20, v21
	v_cvt_i32_f32_e32 v21, v21
	s_delay_alu instid0(TRANS32_DEP_1) | instskip(SKIP_1) | instid1(VALU_DEP_4)
	v_ldexp_f32 v17, v17, v24
	v_rndne_f32_e32 v24, v25
	v_add_f32_e32 v19, v20, v19
	s_wait_alu 0xfffd
	s_delay_alu instid0(VALU_DEP_2) | instskip(NEXT) | instid1(VALU_DEP_2)
	v_dual_cndmask_b32 v17, 0, v17 :: v_dual_sub_f32 v20, v25, v24
	v_exp_f32_e32 v19, v19
	v_cmp_nlt_f32_e32 vcc_lo, 0x42b17218, v22
	v_cvt_f16_f32_e32 v25, v16
	s_wait_alu 0xfffd
	v_cndmask_b32_e32 v59, 0x7f800000, v17, vcc_lo
	v_add_f32_e32 v17, v20, v18
	v_max_num_f32_e32 v18, v30, v30
	v_cmp_ngt_f32_e32 vcc_lo, 0xc2ce8ed0, v26
	s_delay_alu instid0(VALU_DEP_4) | instskip(NEXT) | instid1(VALU_DEP_4)
	v_fmac_f32_e32 v59, v14, v16
	v_exp_f32_e32 v16, v17
	s_delay_alu instid0(VALU_DEP_3) | instskip(SKIP_2) | instid1(VALU_DEP_3)
	v_max_num_f32_e32 v14, v18, v15
	v_ldexp_f32 v18, v19, v21
	v_max_num_f32_e32 v19, v31, v31
	v_sub_f32_e32 v21, v30, v14
	s_wait_alu 0xfffd
	s_delay_alu instid0(VALU_DEP_2) | instskip(SKIP_3) | instid1(VALU_DEP_3)
	v_dual_cndmask_b32 v18, 0, v18 :: v_dual_max_num_f32 v15, v19, v15
	v_and_b32_e32 v20, 0xffff, v25
	v_cmp_nlt_f32_e32 vcc_lo, 0x42b17218, v26
	v_mul_f32_e32 v19, 0x3fb8aa3b, v21
	v_mul_u32_u24_e32 v17, 0x10001, v20
	v_cvt_i32_f32_e32 v20, v24
	s_wait_alu 0xfffd
	v_cndmask_b32_e32 v18, 0x7f800000, v18, vcc_lo
	v_cmp_ngt_f32_e32 vcc_lo, 0xc2ce8ed0, v23
	v_fma_f32 v22, 0x3fb8aa3b, v21, -v19
	v_rndne_f32_e32 v24, v19
	v_ldexp_f32 v16, v16, v20
	v_sub_f32_e32 v20, v31, v15
	v_pk_mul_f16 v130, v130, v17
	v_fmac_f32_e32 v22, 0x32a5705f, v21
	s_wait_alu 0xfffd
	v_cndmask_b32_e32 v16, 0, v16, vcc_lo
	v_cmp_nlt_f32_e32 vcc_lo, 0x42b17218, v23
	s_wait_alu 0xfffd
	s_delay_alu instid0(VALU_DEP_2) | instskip(SKIP_3) | instid1(VALU_DEP_3)
	v_cndmask_b32_e32 v60, 0x7f800000, v16, vcc_lo
	v_sub_f32_e32 v16, v19, v24
	v_cvt_i32_f32_e32 v24, v24
	v_cmp_ngt_f32_e32 vcc_lo, 0xc2ce8ed0, v21
	v_add_f32_e32 v16, v16, v22
	v_dual_sub_f32 v22, v33, v14 :: v_dual_mul_f32 v25, 0x3fb8aa3b, v20
	s_delay_alu instid0(VALU_DEP_2) | instskip(NEXT) | instid1(VALU_DEP_1)
	v_exp_f32_e32 v16, v16
	v_mul_f32_e32 v26, 0x3fb8aa3b, v22
	s_delay_alu instid0(VALU_DEP_2) | instskip(SKIP_1) | instid1(VALU_DEP_3)
	v_fma_f32 v17, 0x3fb8aa3b, v20, -v25
	v_rndne_f32_e32 v19, v25
	v_fma_f32 v27, 0x3fb8aa3b, v22, -v26
	s_delay_alu instid0(VALU_DEP_3) | instskip(NEXT) | instid1(VALU_DEP_3)
	v_fmac_f32_e32 v17, 0x32a5705f, v20
	v_sub_f32_e32 v23, v25, v19
	v_sub_f32_e32 v25, v33, v15
	s_delay_alu instid0(TRANS32_DEP_1)
	v_ldexp_f32 v16, v16, v24
	v_cvt_i32_f32_e32 v19, v19
	v_rndne_f32_e32 v28, v26
	v_add_f32_e32 v17, v23, v17
	s_wait_alu 0xfffd
	v_dual_mul_f32 v23, 0x3fb8aa3b, v25 :: v_dual_cndmask_b32 v16, 0, v16
	v_cmp_ngt_f32_e32 vcc_lo, 0xc2ce8ed0, v20
	v_sub_f32_e32 v26, v26, v28
	v_exp_f32_e32 v17, v17
	s_delay_alu instid0(VALU_DEP_3) | instskip(SKIP_1) | instid1(VALU_DEP_2)
	v_fma_f32 v29, 0x3fb8aa3b, v25, -v23
	v_rndne_f32_e32 v30, v23
	v_fmac_f32_e32 v29, 0x32a5705f, v25
	s_delay_alu instid0(VALU_DEP_2) | instskip(NEXT) | instid1(TRANS32_DEP_1)
	v_sub_f32_e32 v23, v23, v30
	v_ldexp_f32 v17, v17, v19
	s_delay_alu instid0(VALU_DEP_2) | instskip(SKIP_2) | instid1(VALU_DEP_3)
	v_dual_add_f32 v19, v23, v29 :: v_dual_fmac_f32 v60, v36, v18
	v_cvt_f16_f32_e32 v18, v18
	s_wait_alu 0xfffd
	v_cndmask_b32_e32 v17, 0, v17, vcc_lo
	v_cmp_nlt_f32_e32 vcc_lo, 0x42b17218, v21
	v_exp_f32_e32 v19, v19
	v_cvt_i32_f32_e32 v21, v28
	v_and_b32_e32 v18, 0xffff, v18
	v_mov_b32_e32 v36, v60
	s_wait_alu 0xfffd
	v_cndmask_b32_e32 v16, 0x7f800000, v16, vcc_lo
	v_cmp_nlt_f32_e32 vcc_lo, 0x42b17218, v20
	v_mul_u32_u24_e32 v18, 0x10001, v18
	s_wait_alu 0xfffd
	v_cndmask_b32_e32 v17, 0x7f800000, v17, vcc_lo
	v_cmp_ngt_f32_e32 vcc_lo, 0xc2ce8ed0, v22
	v_fmac_f32_e32 v27, 0x32a5705f, v22
	v_pk_mul_f16 v129, v129, v18
	s_delay_alu instid0(VALU_DEP_2) | instskip(NEXT) | instid1(VALU_DEP_1)
	v_add_f32_e32 v24, v26, v27
	v_exp_f32_e32 v23, v24
	v_cvt_i32_f32_e32 v24, v30
	s_delay_alu instid0(VALU_DEP_1) | instskip(NEXT) | instid1(TRANS32_DEP_1)
	v_ldexp_f32 v19, v19, v24
	v_ldexp_f32 v20, v23, v21
	v_cvt_f16_f32_e32 v23, v17
	s_wait_alu 0xfffd
	s_delay_alu instid0(VALU_DEP_2) | instskip(SKIP_1) | instid1(VALU_DEP_3)
	v_cndmask_b32_e32 v20, 0, v20, vcc_lo
	v_cmp_ngt_f32_e32 vcc_lo, 0xc2ce8ed0, v25
	v_and_b32_e32 v23, 0xffff, v23
	s_wait_alu 0xfffd
	v_cndmask_b32_e32 v19, 0, v19, vcc_lo
	v_cmp_nlt_f32_e32 vcc_lo, 0x42b17218, v22
	s_wait_alu 0xfffd
	v_cndmask_b32_e32 v33, 0x7f800000, v20, vcc_lo
	v_cmp_nlt_f32_e32 vcc_lo, 0x42b17218, v25
	s_wait_alu 0xfffd
	v_cndmask_b32_e32 v61, 0x7f800000, v19, vcc_lo
	v_mul_u32_u24_e32 v19, 0x10001, v23
	s_delay_alu instid0(VALU_DEP_2) | instskip(SKIP_2) | instid1(VALU_DEP_4)
	v_fmac_f32_e32 v61, v32, v17
	v_cvt_f16_f32_e32 v21, v16
	v_fmac_f32_e32 v33, v34, v16
	v_pk_mul_f16 v127, v127, v19
	s_delay_alu instid0(VALU_DEP_3) | instskip(NEXT) | instid1(VALU_DEP_1)
	v_dual_mov_b32 v32, v61 :: v_dual_and_b32 v21, 0xffff, v21
	v_mul_u32_u24_e32 v20, 0x10001, v21
	s_delay_alu instid0(VALU_DEP_1)
	v_pk_mul_f16 v128, v128, v20
	v_dual_mov_b32 v31, v15 :: v_dual_mov_b32 v30, v14
	v_dual_mov_b32 v29, v13 :: v_dual_mov_b32 v28, v12
	;; [unrolled: 1-line block ×9, first 2 shown]
	v_mov_b32_e32 v14, v59
	v_mov_b32_e32 v34, v33
.LBB52_242:
	s_mov_b32 s2, exec_lo
	v_cmpx_gt_i32_e64 s22, v104
	s_cbranch_execz .LBB52_322
; %bb.243:
	s_load_b32 s1, s[0:1], 0xd4
	v_mov_b32_e32 v2, 1.0
	s_wait_kmcnt 0x0
	s_cmp_lg_u32 s1, 1
	s_cselect_b32 s4, -1, 0
	s_cmp_eq_u32 s1, 1
	s_cselect_b32 s3, -1, 0
	s_wait_alu 0xfffe
	s_and_b32 vcc_lo, exec_lo, s4
	s_wait_alu 0xfffe
	s_cbranch_vccnz .LBB52_245
; %bb.244:
	v_div_scale_f32 v0, null, v56, v56, 1.0
	s_delay_alu instid0(VALU_DEP_1) | instskip(NEXT) | instid1(TRANS32_DEP_1)
	v_rcp_f32_e32 v1, v0
	v_fma_f32 v2, -v0, v1, 1.0
	s_delay_alu instid0(VALU_DEP_1) | instskip(SKIP_1) | instid1(VALU_DEP_1)
	v_fmac_f32_e32 v1, v2, v1
	v_div_scale_f32 v2, vcc_lo, 1.0, v56, 1.0
	v_mul_f32_e32 v3, v2, v1
	s_delay_alu instid0(VALU_DEP_1) | instskip(NEXT) | instid1(VALU_DEP_1)
	v_fma_f32 v4, -v0, v3, v2
	v_fmac_f32_e32 v3, v4, v1
	s_delay_alu instid0(VALU_DEP_1) | instskip(SKIP_1) | instid1(VALU_DEP_1)
	v_fma_f32 v0, -v0, v3, v2
	s_wait_alu 0xfffd
	v_div_fmas_f32 v0, v0, v1, v3
	s_delay_alu instid0(VALU_DEP_1)
	v_div_fixup_f32 v2, v0, v56, 1.0
.LBB52_245:
	s_mul_i32 s2, s36, s22
	v_cvt_f32_f16_e64 v5, v142
	s_wait_alu 0xfffe
	s_add_co_i32 s2, s2, s33
	v_mov_b32_e32 v4, 0
	s_wait_alu 0xfffe
	v_add_nc_u32_e32 v0, s2, v103
	v_cmp_eq_u32_e32 vcc_lo, 0, v100
	s_delay_alu instid0(VALU_DEP_2) | instskip(NEXT) | instid1(VALU_DEP_1)
	v_mad_co_u64_u32 v[0:1], null, v0, s23, s[34:35]
	v_mad_co_u64_u32 v[0:1], null, s1, v0, s[8:9]
	v_lshrrev_b32_e32 v1, 16, v142
	s_delay_alu instid0(VALU_DEP_1) | instskip(NEXT) | instid1(VALU_DEP_3)
	v_cvt_f32_f16_e32 v6, v1
	v_lshl_add_u32 v3, v0, 6, v57
	v_mul_f32_e32 v1, v2, v5
	s_delay_alu instid0(VALU_DEP_3) | instskip(NEXT) | instid1(VALU_DEP_3)
	v_mul_f32_e32 v2, v2, v6
	v_lshlrev_b64_e32 v[3:4], 2, v[3:4]
	s_delay_alu instid0(VALU_DEP_1) | instskip(SKIP_1) | instid1(VALU_DEP_2)
	v_add_co_u32 v3, s0, s16, v3
	s_wait_alu 0xf1ff
	v_add_co_ci_u32_e64 v4, null, s17, v4, s0
	s_and_b32 s0, vcc_lo, s4
	global_store_b64 v[3:4], v[1:2], off
	s_wait_alu 0xfffe
	s_and_saveexec_b32 s4, s0
	s_cbranch_execz .LBB52_247
; %bb.246:
	v_ashrrev_i32_e32 v1, 31, v0
	v_mov_b32_e32 v55, v16
	s_delay_alu instid0(VALU_DEP_2) | instskip(NEXT) | instid1(VALU_DEP_1)
	v_lshlrev_b64_e32 v[0:1], 3, v[0:1]
	v_add_co_u32 v0, vcc_lo, s18, v0
	s_wait_alu 0xfffd
	s_delay_alu instid0(VALU_DEP_2)
	v_add_co_ci_u32_e64 v1, null, s19, v1, vcc_lo
	global_store_b64 v[0:1], v[55:56], off
.LBB52_247:
	s_wait_alu 0xfffe
	s_or_b32 exec_lo, exec_lo, s4
	v_cmp_gt_i32_e32 vcc_lo, s22, v102
	s_and_b32 exec_lo, exec_lo, vcc_lo
	s_cbranch_execz .LBB52_322
; %bb.248:
	v_cndmask_b32_e64 v2, 0, 1, s3
	v_mov_b32_e32 v3, 1.0
	s_and_not1_b32 vcc_lo, exec_lo, s3
	s_wait_alu 0xfffe
	s_cbranch_vccnz .LBB52_250
; %bb.249:
	v_div_scale_f32 v0, null, v54, v54, 1.0
	s_delay_alu instid0(VALU_DEP_1) | instskip(NEXT) | instid1(TRANS32_DEP_1)
	v_rcp_f32_e32 v1, v0
	v_fma_f32 v3, -v0, v1, 1.0
	s_delay_alu instid0(VALU_DEP_1) | instskip(SKIP_1) | instid1(VALU_DEP_1)
	v_fmac_f32_e32 v1, v3, v1
	v_div_scale_f32 v3, vcc_lo, 1.0, v54, 1.0
	v_mul_f32_e32 v4, v3, v1
	s_delay_alu instid0(VALU_DEP_1) | instskip(NEXT) | instid1(VALU_DEP_1)
	v_fma_f32 v5, -v0, v4, v3
	v_fmac_f32_e32 v4, v5, v1
	s_delay_alu instid0(VALU_DEP_1) | instskip(SKIP_1) | instid1(VALU_DEP_1)
	v_fma_f32 v0, -v0, v4, v3
	s_wait_alu 0xfffd
	v_div_fmas_f32 v0, v0, v1, v4
	s_delay_alu instid0(VALU_DEP_1)
	v_div_fixup_f32 v3, v0, v54, 1.0
.LBB52_250:
	v_dual_mov_b32 v5, 0 :: v_dual_add_nc_u32 v0, s2, v218
	v_cvt_f32_f16_e64 v6, v141
	s_delay_alu instid0(VALU_DEP_2) | instskip(NEXT) | instid1(VALU_DEP_2)
	v_mad_co_u64_u32 v[0:1], null, v0, s23, s[34:35]
	v_mul_f32_e32 v6, v3, v6
	s_delay_alu instid0(VALU_DEP_2) | instskip(SKIP_1) | instid1(VALU_DEP_1)
	v_mad_co_u64_u32 v[0:1], null, s1, v0, s[8:9]
	v_lshrrev_b32_e32 v1, 16, v141
	v_cvt_f32_f16_e32 v1, v1
	s_delay_alu instid0(VALU_DEP_3) | instskip(NEXT) | instid1(VALU_DEP_2)
	v_lshl_add_u32 v4, v0, 6, v57
	v_mul_f32_e32 v7, v3, v1
	s_delay_alu instid0(VALU_DEP_2) | instskip(NEXT) | instid1(VALU_DEP_1)
	v_lshlrev_b64_e32 v[4:5], 2, v[4:5]
	v_add_co_u32 v3, vcc_lo, s16, v4
	s_wait_alu 0xfffd
	s_delay_alu instid0(VALU_DEP_2)
	v_add_co_ci_u32_e64 v4, null, s17, v5, vcc_lo
	global_store_b64 v[3:4], v[6:7], off
	s_and_saveexec_b32 s3, s0
	s_cbranch_execz .LBB52_252
; %bb.251:
	v_ashrrev_i32_e32 v1, 31, v0
	v_mov_b32_e32 v53, v17
	s_delay_alu instid0(VALU_DEP_2) | instskip(NEXT) | instid1(VALU_DEP_1)
	v_lshlrev_b64_e32 v[0:1], 3, v[0:1]
	v_add_co_u32 v0, vcc_lo, s18, v0
	s_wait_alu 0xfffd
	s_delay_alu instid0(VALU_DEP_2)
	v_add_co_ci_u32_e64 v1, null, s19, v1, vcc_lo
	global_store_b64 v[0:1], v[53:54], off
.LBB52_252:
	s_wait_alu 0xfffe
	s_or_b32 exec_lo, exec_lo, s3
	v_cmp_gt_i32_e32 vcc_lo, s22, v101
	s_and_b32 exec_lo, exec_lo, vcc_lo
	s_cbranch_execz .LBB52_322
; %bb.253:
	v_cmp_ne_u32_e32 vcc_lo, 1, v2
	v_mov_b32_e32 v3, 1.0
	s_cbranch_vccnz .LBB52_255
; %bb.254:
	v_div_scale_f32 v0, null, v52, v52, 1.0
	s_delay_alu instid0(VALU_DEP_1) | instskip(NEXT) | instid1(TRANS32_DEP_1)
	v_rcp_f32_e32 v1, v0
	v_fma_f32 v3, -v0, v1, 1.0
	s_delay_alu instid0(VALU_DEP_1) | instskip(SKIP_1) | instid1(VALU_DEP_1)
	v_fmac_f32_e32 v1, v3, v1
	v_div_scale_f32 v3, vcc_lo, 1.0, v52, 1.0
	v_mul_f32_e32 v4, v3, v1
	s_delay_alu instid0(VALU_DEP_1) | instskip(NEXT) | instid1(VALU_DEP_1)
	v_fma_f32 v5, -v0, v4, v3
	v_fmac_f32_e32 v4, v5, v1
	s_delay_alu instid0(VALU_DEP_1) | instskip(SKIP_1) | instid1(VALU_DEP_1)
	v_fma_f32 v0, -v0, v4, v3
	s_wait_alu 0xfffd
	v_div_fmas_f32 v0, v0, v1, v4
	s_delay_alu instid0(VALU_DEP_1)
	v_div_fixup_f32 v3, v0, v52, 1.0
.LBB52_255:
	v_dual_mov_b32 v5, 0 :: v_dual_add_nc_u32 v0, s2, v217
	v_cvt_f32_f16_e64 v6, v140
	s_delay_alu instid0(VALU_DEP_2) | instskip(NEXT) | instid1(VALU_DEP_2)
	v_mad_co_u64_u32 v[0:1], null, v0, s23, s[34:35]
	v_mul_f32_e32 v6, v3, v6
	s_delay_alu instid0(VALU_DEP_2) | instskip(SKIP_1) | instid1(VALU_DEP_1)
	v_mad_co_u64_u32 v[0:1], null, s1, v0, s[8:9]
	v_lshrrev_b32_e32 v1, 16, v140
	v_cvt_f32_f16_e32 v1, v1
	s_delay_alu instid0(VALU_DEP_3) | instskip(NEXT) | instid1(VALU_DEP_2)
	v_lshl_add_u32 v4, v0, 6, v57
	v_mul_f32_e32 v7, v3, v1
	s_delay_alu instid0(VALU_DEP_2) | instskip(NEXT) | instid1(VALU_DEP_1)
	v_lshlrev_b64_e32 v[4:5], 2, v[4:5]
	v_add_co_u32 v3, vcc_lo, s16, v4
	s_wait_alu 0xfffd
	s_delay_alu instid0(VALU_DEP_2)
	v_add_co_ci_u32_e64 v4, null, s17, v5, vcc_lo
	global_store_b64 v[3:4], v[6:7], off
	s_and_saveexec_b32 s3, s0
	s_cbranch_execz .LBB52_257
; %bb.256:
	v_ashrrev_i32_e32 v1, 31, v0
	v_mov_b32_e32 v51, v18
	s_delay_alu instid0(VALU_DEP_2) | instskip(NEXT) | instid1(VALU_DEP_1)
	v_lshlrev_b64_e32 v[0:1], 3, v[0:1]
	v_add_co_u32 v0, vcc_lo, s18, v0
	s_wait_alu 0xfffd
	s_delay_alu instid0(VALU_DEP_2)
	v_add_co_ci_u32_e64 v1, null, s19, v1, vcc_lo
	global_store_b64 v[0:1], v[51:52], off
.LBB52_257:
	s_wait_alu 0xfffe
	s_or_b32 exec_lo, exec_lo, s3
	v_cmp_gt_i32_e32 vcc_lo, s22, v98
	s_and_b32 exec_lo, exec_lo, vcc_lo
	s_cbranch_execz .LBB52_322
; %bb.258:
	v_cmp_ne_u32_e32 vcc_lo, 1, v2
	v_mov_b32_e32 v3, 1.0
	;; [unrolled: 60-line block ×5, first 2 shown]
	s_cbranch_vccnz .LBB52_275
; %bb.274:
	v_div_scale_f32 v0, null, v44, v44, 1.0
	s_delay_alu instid0(VALU_DEP_1) | instskip(NEXT) | instid1(TRANS32_DEP_1)
	v_rcp_f32_e32 v1, v0
	v_fma_f32 v3, -v0, v1, 1.0
	s_delay_alu instid0(VALU_DEP_1) | instskip(SKIP_1) | instid1(VALU_DEP_1)
	v_fmac_f32_e32 v1, v3, v1
	v_div_scale_f32 v3, vcc_lo, 1.0, v44, 1.0
	v_mul_f32_e32 v4, v3, v1
	s_delay_alu instid0(VALU_DEP_1) | instskip(NEXT) | instid1(VALU_DEP_1)
	v_fma_f32 v5, -v0, v4, v3
	v_fmac_f32_e32 v4, v5, v1
	s_delay_alu instid0(VALU_DEP_1) | instskip(SKIP_1) | instid1(VALU_DEP_1)
	v_fma_f32 v0, -v0, v4, v3
	s_wait_alu 0xfffd
	v_div_fmas_f32 v0, v0, v1, v4
	s_delay_alu instid0(VALU_DEP_1)
	v_div_fixup_f32 v3, v0, v44, 1.0
.LBB52_275:
	v_dual_mov_b32 v5, 0 :: v_dual_add_nc_u32 v0, s2, v214
	v_cvt_f32_f16_e64 v6, v136
	s_delay_alu instid0(VALU_DEP_2) | instskip(NEXT) | instid1(VALU_DEP_2)
	v_mad_co_u64_u32 v[0:1], null, v0, s23, s[34:35]
	v_mul_f32_e32 v6, v3, v6
	s_delay_alu instid0(VALU_DEP_2) | instskip(SKIP_1) | instid1(VALU_DEP_1)
	v_mad_co_u64_u32 v[0:1], null, s1, v0, s[8:9]
	v_lshrrev_b32_e32 v1, 16, v136
	v_cvt_f32_f16_e32 v1, v1
	s_delay_alu instid0(VALU_DEP_3) | instskip(NEXT) | instid1(VALU_DEP_2)
	v_lshl_add_u32 v4, v0, 6, v57
	v_mul_f32_e32 v7, v3, v1
	s_delay_alu instid0(VALU_DEP_2) | instskip(NEXT) | instid1(VALU_DEP_1)
	v_lshlrev_b64_e32 v[4:5], 2, v[4:5]
	v_add_co_u32 v3, vcc_lo, s16, v4
	s_wait_alu 0xfffd
	s_delay_alu instid0(VALU_DEP_2)
	v_add_co_ci_u32_e64 v4, null, s17, v5, vcc_lo
	global_store_b64 v[3:4], v[6:7], off
	s_and_saveexec_b32 s3, s0
	s_cbranch_execz .LBB52_277
; %bb.276:
	v_ashrrev_i32_e32 v1, 31, v0
	v_mov_b32_e32 v43, v22
	s_delay_alu instid0(VALU_DEP_2) | instskip(NEXT) | instid1(VALU_DEP_1)
	v_lshlrev_b64_e32 v[0:1], 3, v[0:1]
	v_add_co_u32 v0, vcc_lo, s18, v0
	s_wait_alu 0xfffd
	s_delay_alu instid0(VALU_DEP_2)
	v_add_co_ci_u32_e64 v1, null, s19, v1, vcc_lo
	global_store_b64 v[0:1], v[43:44], off
.LBB52_277:
	s_wait_alu 0xfffe
	s_or_b32 exec_lo, exec_lo, s3
	s_wait_loadcnt 0x0
	v_cmp_gt_i32_e32 vcc_lo, s22, v212
	s_and_b32 exec_lo, exec_lo, vcc_lo
	s_cbranch_execz .LBB52_322
; %bb.278:
	v_cmp_ne_u32_e32 vcc_lo, 1, v2
	v_mov_b32_e32 v3, 1.0
	s_cbranch_vccnz .LBB52_280
; %bb.279:
	v_div_scale_f32 v0, null, v42, v42, 1.0
	s_delay_alu instid0(VALU_DEP_1) | instskip(NEXT) | instid1(TRANS32_DEP_1)
	v_rcp_f32_e32 v1, v0
	v_fma_f32 v3, -v0, v1, 1.0
	s_delay_alu instid0(VALU_DEP_1) | instskip(SKIP_1) | instid1(VALU_DEP_1)
	v_fmac_f32_e32 v1, v3, v1
	v_div_scale_f32 v3, vcc_lo, 1.0, v42, 1.0
	v_mul_f32_e32 v4, v3, v1
	s_delay_alu instid0(VALU_DEP_1) | instskip(NEXT) | instid1(VALU_DEP_1)
	v_fma_f32 v5, -v0, v4, v3
	v_fmac_f32_e32 v4, v5, v1
	s_delay_alu instid0(VALU_DEP_1) | instskip(SKIP_1) | instid1(VALU_DEP_1)
	v_fma_f32 v0, -v0, v4, v3
	s_wait_alu 0xfffd
	v_div_fmas_f32 v0, v0, v1, v4
	s_delay_alu instid0(VALU_DEP_1)
	v_div_fixup_f32 v3, v0, v42, 1.0
.LBB52_280:
	v_dual_mov_b32 v5, 0 :: v_dual_add_nc_u32 v0, s2, v210
	v_cvt_f32_f16_e64 v6, v135
	s_delay_alu instid0(VALU_DEP_2) | instskip(NEXT) | instid1(VALU_DEP_2)
	v_mad_co_u64_u32 v[0:1], null, v0, s23, s[34:35]
	v_mul_f32_e32 v6, v3, v6
	s_delay_alu instid0(VALU_DEP_2) | instskip(SKIP_1) | instid1(VALU_DEP_1)
	v_mad_co_u64_u32 v[0:1], null, s1, v0, s[8:9]
	v_lshrrev_b32_e32 v1, 16, v135
	v_cvt_f32_f16_e32 v1, v1
	s_delay_alu instid0(VALU_DEP_3) | instskip(NEXT) | instid1(VALU_DEP_2)
	v_lshl_add_u32 v4, v0, 6, v57
	v_mul_f32_e32 v7, v3, v1
	s_delay_alu instid0(VALU_DEP_2) | instskip(NEXT) | instid1(VALU_DEP_1)
	v_lshlrev_b64_e32 v[4:5], 2, v[4:5]
	v_add_co_u32 v3, vcc_lo, s16, v4
	s_wait_alu 0xfffd
	s_delay_alu instid0(VALU_DEP_2)
	v_add_co_ci_u32_e64 v4, null, s17, v5, vcc_lo
	global_store_b64 v[3:4], v[6:7], off
	s_and_saveexec_b32 s3, s0
	s_cbranch_execz .LBB52_282
; %bb.281:
	v_ashrrev_i32_e32 v1, 31, v0
	v_mov_b32_e32 v41, v23
	s_delay_alu instid0(VALU_DEP_2) | instskip(NEXT) | instid1(VALU_DEP_1)
	v_lshlrev_b64_e32 v[0:1], 3, v[0:1]
	v_add_co_u32 v0, vcc_lo, s18, v0
	s_wait_alu 0xfffd
	s_delay_alu instid0(VALU_DEP_2)
	v_add_co_ci_u32_e64 v1, null, s19, v1, vcc_lo
	global_store_b64 v[0:1], v[41:42], off
.LBB52_282:
	s_wait_alu 0xfffe
	s_or_b32 exec_lo, exec_lo, s3
	v_cmp_gt_i32_e32 vcc_lo, s22, v211
	s_and_b32 exec_lo, exec_lo, vcc_lo
	s_cbranch_execz .LBB52_322
; %bb.283:
	v_cmp_ne_u32_e32 vcc_lo, 1, v2
	v_mov_b32_e32 v3, 1.0
	s_cbranch_vccnz .LBB52_285
; %bb.284:
	v_div_scale_f32 v0, null, v40, v40, 1.0
	s_delay_alu instid0(VALU_DEP_1) | instskip(NEXT) | instid1(TRANS32_DEP_1)
	v_rcp_f32_e32 v1, v0
	v_fma_f32 v3, -v0, v1, 1.0
	s_delay_alu instid0(VALU_DEP_1) | instskip(SKIP_1) | instid1(VALU_DEP_1)
	v_fmac_f32_e32 v1, v3, v1
	v_div_scale_f32 v3, vcc_lo, 1.0, v40, 1.0
	v_mul_f32_e32 v4, v3, v1
	s_delay_alu instid0(VALU_DEP_1) | instskip(NEXT) | instid1(VALU_DEP_1)
	v_fma_f32 v5, -v0, v4, v3
	v_fmac_f32_e32 v4, v5, v1
	s_delay_alu instid0(VALU_DEP_1) | instskip(SKIP_1) | instid1(VALU_DEP_1)
	v_fma_f32 v0, -v0, v4, v3
	s_wait_alu 0xfffd
	v_div_fmas_f32 v0, v0, v1, v4
	s_delay_alu instid0(VALU_DEP_1)
	v_div_fixup_f32 v3, v0, v40, 1.0
.LBB52_285:
	v_dual_mov_b32 v5, 0 :: v_dual_add_nc_u32 v0, s2, v209
	v_cvt_f32_f16_e64 v6, v134
	s_delay_alu instid0(VALU_DEP_2) | instskip(NEXT) | instid1(VALU_DEP_2)
	v_mad_co_u64_u32 v[0:1], null, v0, s23, s[34:35]
	v_mul_f32_e32 v6, v3, v6
	s_delay_alu instid0(VALU_DEP_2) | instskip(SKIP_1) | instid1(VALU_DEP_1)
	v_mad_co_u64_u32 v[0:1], null, s1, v0, s[8:9]
	v_lshrrev_b32_e32 v1, 16, v134
	v_cvt_f32_f16_e32 v1, v1
	s_delay_alu instid0(VALU_DEP_3) | instskip(NEXT) | instid1(VALU_DEP_2)
	v_lshl_add_u32 v4, v0, 6, v57
	v_mul_f32_e32 v7, v3, v1
	s_delay_alu instid0(VALU_DEP_2) | instskip(NEXT) | instid1(VALU_DEP_1)
	v_lshlrev_b64_e32 v[4:5], 2, v[4:5]
	v_add_co_u32 v3, vcc_lo, s16, v4
	s_wait_alu 0xfffd
	s_delay_alu instid0(VALU_DEP_2)
	v_add_co_ci_u32_e64 v4, null, s17, v5, vcc_lo
	global_store_b64 v[3:4], v[6:7], off
	s_and_saveexec_b32 s3, s0
	s_cbranch_execz .LBB52_287
; %bb.286:
	v_ashrrev_i32_e32 v1, 31, v0
	v_mov_b32_e32 v39, v24
	s_delay_alu instid0(VALU_DEP_2) | instskip(NEXT) | instid1(VALU_DEP_1)
	v_lshlrev_b64_e32 v[0:1], 3, v[0:1]
	v_add_co_u32 v0, vcc_lo, s18, v0
	s_wait_alu 0xfffd
	s_delay_alu instid0(VALU_DEP_2)
	v_add_co_ci_u32_e64 v1, null, s19, v1, vcc_lo
	global_store_b64 v[0:1], v[39:40], off
.LBB52_287:
	s_wait_alu 0xfffe
	s_or_b32 exec_lo, exec_lo, s3
	;; [unrolled: 60-line block ×7, first 2 shown]
	scratch_load_b32 v0, off, off offset:16 th:TH_LOAD_LU ; 4-byte Folded Reload
	s_wait_loadcnt 0x0
	v_cmp_gt_i32_e32 vcc_lo, s22, v0
	s_and_b32 exec_lo, exec_lo, vcc_lo
	s_cbranch_execz .LBB52_322
; %bb.313:
	v_cmp_ne_u32_e32 vcc_lo, 1, v2
	v_mov_b32_e32 v3, 1.0
	s_cbranch_vccnz .LBB52_315
; %bb.314:
	v_div_scale_f32 v0, null, v34, v34, 1.0
	s_delay_alu instid0(VALU_DEP_1) | instskip(NEXT) | instid1(TRANS32_DEP_1)
	v_rcp_f32_e32 v1, v0
	v_fma_f32 v3, -v0, v1, 1.0
	s_delay_alu instid0(VALU_DEP_1) | instskip(SKIP_1) | instid1(VALU_DEP_1)
	v_fmac_f32_e32 v1, v3, v1
	v_div_scale_f32 v3, vcc_lo, 1.0, v34, 1.0
	v_mul_f32_e32 v4, v3, v1
	s_delay_alu instid0(VALU_DEP_1) | instskip(NEXT) | instid1(VALU_DEP_1)
	v_fma_f32 v5, -v0, v4, v3
	v_fmac_f32_e32 v4, v5, v1
	s_delay_alu instid0(VALU_DEP_1) | instskip(SKIP_1) | instid1(VALU_DEP_1)
	v_fma_f32 v0, -v0, v4, v3
	s_wait_alu 0xfffd
	v_div_fmas_f32 v0, v0, v1, v4
	s_delay_alu instid0(VALU_DEP_1)
	v_div_fixup_f32 v3, v0, v34, 1.0
.LBB52_315:
	scratch_load_b32 v0, off, off offset:24 th:TH_LOAD_LU ; 4-byte Folded Reload
	v_cvt_f32_f16_e64 v6, v128
	s_delay_alu instid0(VALU_DEP_1) | instskip(SKIP_2) | instid1(VALU_DEP_1)
	v_dual_mov_b32 v5, 0 :: v_dual_mul_f32 v6, v3, v6
	s_wait_loadcnt 0x0
	v_add_nc_u32_e32 v0, s2, v0
	v_mad_co_u64_u32 v[0:1], null, v0, s23, s[34:35]
	s_delay_alu instid0(VALU_DEP_1) | instskip(SKIP_1) | instid1(VALU_DEP_1)
	v_mad_co_u64_u32 v[0:1], null, s1, v0, s[8:9]
	v_lshrrev_b32_e32 v1, 16, v128
	v_cvt_f32_f16_e32 v1, v1
	s_delay_alu instid0(VALU_DEP_3) | instskip(NEXT) | instid1(VALU_DEP_2)
	v_lshl_add_u32 v4, v0, 6, v57
	v_mul_f32_e32 v7, v3, v1
	s_delay_alu instid0(VALU_DEP_2) | instskip(NEXT) | instid1(VALU_DEP_1)
	v_lshlrev_b64_e32 v[4:5], 2, v[4:5]
	v_add_co_u32 v3, vcc_lo, s16, v4
	s_wait_alu 0xfffd
	s_delay_alu instid0(VALU_DEP_2)
	v_add_co_ci_u32_e64 v4, null, s17, v5, vcc_lo
	global_store_b64 v[3:4], v[6:7], off
	s_and_saveexec_b32 s3, s0
	s_cbranch_execz .LBB52_317
; %bb.316:
	v_ashrrev_i32_e32 v1, 31, v0
	v_mov_b32_e32 v33, v30
	s_delay_alu instid0(VALU_DEP_2) | instskip(NEXT) | instid1(VALU_DEP_1)
	v_lshlrev_b64_e32 v[0:1], 3, v[0:1]
	v_add_co_u32 v0, vcc_lo, s18, v0
	s_wait_alu 0xfffd
	s_delay_alu instid0(VALU_DEP_2)
	v_add_co_ci_u32_e64 v1, null, s19, v1, vcc_lo
	global_store_b64 v[0:1], v[33:34], off
.LBB52_317:
	s_wait_alu 0xfffe
	s_or_b32 exec_lo, exec_lo, s3
	scratch_load_b32 v0, off, off offset:20 th:TH_LOAD_LU ; 4-byte Folded Reload
	s_wait_loadcnt 0x0
	v_cmp_gt_i32_e32 vcc_lo, s22, v0
	s_and_b32 exec_lo, exec_lo, vcc_lo
	s_cbranch_execz .LBB52_322
; %bb.318:
	v_cmp_ne_u32_e32 vcc_lo, 1, v2
	v_mov_b32_e32 v2, 1.0
	s_cbranch_vccnz .LBB52_320
; %bb.319:
	v_div_scale_f32 v0, null, v32, v32, 1.0
	s_delay_alu instid0(VALU_DEP_1) | instskip(NEXT) | instid1(TRANS32_DEP_1)
	v_rcp_f32_e32 v1, v0
	v_fma_f32 v2, -v0, v1, 1.0
	s_delay_alu instid0(VALU_DEP_1) | instskip(SKIP_1) | instid1(VALU_DEP_1)
	v_fmac_f32_e32 v1, v2, v1
	v_div_scale_f32 v2, vcc_lo, 1.0, v32, 1.0
	v_mul_f32_e32 v3, v2, v1
	s_delay_alu instid0(VALU_DEP_1) | instskip(NEXT) | instid1(VALU_DEP_1)
	v_fma_f32 v4, -v0, v3, v2
	v_fmac_f32_e32 v3, v4, v1
	s_delay_alu instid0(VALU_DEP_1) | instskip(SKIP_1) | instid1(VALU_DEP_1)
	v_fma_f32 v0, -v0, v3, v2
	s_wait_alu 0xfffd
	v_div_fmas_f32 v0, v0, v1, v3
	s_delay_alu instid0(VALU_DEP_1)
	v_div_fixup_f32 v2, v0, v32, 1.0
.LBB52_320:
	scratch_load_b32 v0, off, off offset:28 th:TH_LOAD_LU ; 4-byte Folded Reload
	v_cvt_f32_f16_e32 v5, v127
	v_mov_b32_e32 v4, 0
	s_wait_loadcnt 0x0
	v_add_nc_u32_e32 v0, s2, v0
	s_delay_alu instid0(VALU_DEP_1) | instskip(NEXT) | instid1(VALU_DEP_1)
	v_mad_co_u64_u32 v[0:1], null, v0, s23, s[34:35]
	v_mad_co_u64_u32 v[0:1], null, s1, v0, s[8:9]
	v_lshrrev_b32_e32 v1, 16, v127
	s_delay_alu instid0(VALU_DEP_1) | instskip(NEXT) | instid1(VALU_DEP_3)
	v_cvt_f32_f16_e32 v6, v1
	v_lshl_add_u32 v3, v0, 6, v57
	v_mul_f32_e32 v1, v2, v5
	s_delay_alu instid0(VALU_DEP_3) | instskip(NEXT) | instid1(VALU_DEP_3)
	v_mul_f32_e32 v2, v2, v6
	v_lshlrev_b64_e32 v[3:4], 2, v[3:4]
	s_delay_alu instid0(VALU_DEP_1) | instskip(SKIP_1) | instid1(VALU_DEP_2)
	v_add_co_u32 v3, vcc_lo, s16, v3
	s_wait_alu 0xfffd
	v_add_co_ci_u32_e64 v4, null, s17, v4, vcc_lo
	global_store_b64 v[3:4], v[1:2], off
	s_and_b32 exec_lo, exec_lo, s0
	s_cbranch_execz .LBB52_322
; %bb.321:
	v_ashrrev_i32_e32 v1, 31, v0
	s_delay_alu instid0(VALU_DEP_1) | instskip(NEXT) | instid1(VALU_DEP_1)
	v_lshlrev_b64_e32 v[0:1], 3, v[0:1]
	v_add_co_u32 v0, vcc_lo, s18, v0
	s_wait_alu 0xfffd
	s_delay_alu instid0(VALU_DEP_2)
	v_add_co_ci_u32_e64 v1, null, s19, v1, vcc_lo
	global_store_b64 v[0:1], v[31:32], off
.LBB52_322:
	s_nop 0
	s_sendmsg sendmsg(MSG_DEALLOC_VGPRS)
	s_endpgm
	.section	.rodata,"a",@progbits
	.p2align	6, 0x0
	.amdhsa_kernel _ZL15flash_attn_tileILi64ELi64ELi64ELi1ELb0EEvPKcS1_S1_S1_S1_PKiPfP15HIP_vector_typeIfLj2EEffffjfiS5_IjLj3EEiiiiiiiiiiiliiliiiiil
		.amdhsa_group_segment_fixed_size 25600
		.amdhsa_private_segment_fixed_size 64
		.amdhsa_kernarg_size 464
		.amdhsa_user_sgpr_count 2
		.amdhsa_user_sgpr_dispatch_ptr 0
		.amdhsa_user_sgpr_queue_ptr 0
		.amdhsa_user_sgpr_kernarg_segment_ptr 1
		.amdhsa_user_sgpr_dispatch_id 0
		.amdhsa_user_sgpr_private_segment_size 0
		.amdhsa_wavefront_size32 1
		.amdhsa_uses_dynamic_stack 0
		.amdhsa_enable_private_segment 1
		.amdhsa_system_sgpr_workgroup_id_x 1
		.amdhsa_system_sgpr_workgroup_id_y 1
		.amdhsa_system_sgpr_workgroup_id_z 1
		.amdhsa_system_sgpr_workgroup_info 0
		.amdhsa_system_vgpr_workitem_id 1
		.amdhsa_next_free_vgpr 256
		.amdhsa_next_free_sgpr 47
		.amdhsa_reserve_vcc 1
		.amdhsa_float_round_mode_32 0
		.amdhsa_float_round_mode_16_64 0
		.amdhsa_float_denorm_mode_32 3
		.amdhsa_float_denorm_mode_16_64 3
		.amdhsa_fp16_overflow 0
		.amdhsa_workgroup_processor_mode 1
		.amdhsa_memory_ordered 1
		.amdhsa_forward_progress 1
		.amdhsa_inst_pref_size 255
		.amdhsa_round_robin_scheduling 0
		.amdhsa_exception_fp_ieee_invalid_op 0
		.amdhsa_exception_fp_denorm_src 0
		.amdhsa_exception_fp_ieee_div_zero 0
		.amdhsa_exception_fp_ieee_overflow 0
		.amdhsa_exception_fp_ieee_underflow 0
		.amdhsa_exception_fp_ieee_inexact 0
		.amdhsa_exception_int_div_zero 0
	.end_amdhsa_kernel
	.section	.text._ZL15flash_attn_tileILi64ELi64ELi64ELi1ELb0EEvPKcS1_S1_S1_S1_PKiPfP15HIP_vector_typeIfLj2EEffffjfiS5_IjLj3EEiiiiiiiiiiiliiliiiiil,"axG",@progbits,_ZL15flash_attn_tileILi64ELi64ELi64ELi1ELb0EEvPKcS1_S1_S1_S1_PKiPfP15HIP_vector_typeIfLj2EEffffjfiS5_IjLj3EEiiiiiiiiiiiliiliiiiil,comdat
.Lfunc_end52:
	.size	_ZL15flash_attn_tileILi64ELi64ELi64ELi1ELb0EEvPKcS1_S1_S1_S1_PKiPfP15HIP_vector_typeIfLj2EEffffjfiS5_IjLj3EEiiiiiiiiiiiliiliiiiil, .Lfunc_end52-_ZL15flash_attn_tileILi64ELi64ELi64ELi1ELb0EEvPKcS1_S1_S1_S1_PKiPfP15HIP_vector_typeIfLj2EEffffjfiS5_IjLj3EEiiiiiiiiiiiliiliiiiil
                                        ; -- End function
	.set _ZL15flash_attn_tileILi64ELi64ELi64ELi1ELb0EEvPKcS1_S1_S1_S1_PKiPfP15HIP_vector_typeIfLj2EEffffjfiS5_IjLj3EEiiiiiiiiiiiliiliiiiil.num_vgpr, 256
	.set _ZL15flash_attn_tileILi64ELi64ELi64ELi1ELb0EEvPKcS1_S1_S1_S1_PKiPfP15HIP_vector_typeIfLj2EEffffjfiS5_IjLj3EEiiiiiiiiiiiliiliiiiil.num_agpr, 0
	.set _ZL15flash_attn_tileILi64ELi64ELi64ELi1ELb0EEvPKcS1_S1_S1_S1_PKiPfP15HIP_vector_typeIfLj2EEffffjfiS5_IjLj3EEiiiiiiiiiiiliiliiiiil.numbered_sgpr, 47
	.set _ZL15flash_attn_tileILi64ELi64ELi64ELi1ELb0EEvPKcS1_S1_S1_S1_PKiPfP15HIP_vector_typeIfLj2EEffffjfiS5_IjLj3EEiiiiiiiiiiiliiliiiiil.num_named_barrier, 0
	.set _ZL15flash_attn_tileILi64ELi64ELi64ELi1ELb0EEvPKcS1_S1_S1_S1_PKiPfP15HIP_vector_typeIfLj2EEffffjfiS5_IjLj3EEiiiiiiiiiiiliiliiiiil.private_seg_size, 64
	.set _ZL15flash_attn_tileILi64ELi64ELi64ELi1ELb0EEvPKcS1_S1_S1_S1_PKiPfP15HIP_vector_typeIfLj2EEffffjfiS5_IjLj3EEiiiiiiiiiiiliiliiiiil.uses_vcc, 1
	.set _ZL15flash_attn_tileILi64ELi64ELi64ELi1ELb0EEvPKcS1_S1_S1_S1_PKiPfP15HIP_vector_typeIfLj2EEffffjfiS5_IjLj3EEiiiiiiiiiiiliiliiiiil.uses_flat_scratch, 1
	.set _ZL15flash_attn_tileILi64ELi64ELi64ELi1ELb0EEvPKcS1_S1_S1_S1_PKiPfP15HIP_vector_typeIfLj2EEffffjfiS5_IjLj3EEiiiiiiiiiiiliiliiiiil.has_dyn_sized_stack, 0
	.set _ZL15flash_attn_tileILi64ELi64ELi64ELi1ELb0EEvPKcS1_S1_S1_S1_PKiPfP15HIP_vector_typeIfLj2EEffffjfiS5_IjLj3EEiiiiiiiiiiiliiliiiiil.has_recursion, 0
	.set _ZL15flash_attn_tileILi64ELi64ELi64ELi1ELb0EEvPKcS1_S1_S1_S1_PKiPfP15HIP_vector_typeIfLj2EEffffjfiS5_IjLj3EEiiiiiiiiiiiliiliiiiil.has_indirect_call, 0
	.section	.AMDGPU.csdata,"",@progbits
; Kernel info:
; codeLenInByte = 97132
; TotalNumSgprs: 49
; NumVgprs: 256
; ScratchSize: 64
; MemoryBound: 0
; FloatMode: 240
; IeeeMode: 1
; LDSByteSize: 25600 bytes/workgroup (compile time only)
; SGPRBlocks: 0
; VGPRBlocks: 31
; NumSGPRsForWavesPerEU: 49
; NumVGPRsForWavesPerEU: 256
; Occupancy: 5
; WaveLimiterHint : 0
; COMPUTE_PGM_RSRC2:SCRATCH_EN: 1
; COMPUTE_PGM_RSRC2:USER_SGPR: 2
; COMPUTE_PGM_RSRC2:TRAP_HANDLER: 0
; COMPUTE_PGM_RSRC2:TGID_X_EN: 1
; COMPUTE_PGM_RSRC2:TGID_Y_EN: 1
; COMPUTE_PGM_RSRC2:TGID_Z_EN: 1
; COMPUTE_PGM_RSRC2:TIDIG_COMP_CNT: 1
	.section	.text._ZL25flash_attn_mask_to_KV_maxILi64EEvPK7__half2Piiii,"axG",@progbits,_ZL25flash_attn_mask_to_KV_maxILi64EEvPK7__half2Piiii,comdat
	.globl	_ZL25flash_attn_mask_to_KV_maxILi64EEvPK7__half2Piiii ; -- Begin function _ZL25flash_attn_mask_to_KV_maxILi64EEvPK7__half2Piiii
	.p2align	8
	.type	_ZL25flash_attn_mask_to_KV_maxILi64EEvPK7__half2Piiii,@function
_ZL25flash_attn_mask_to_KV_maxILi64EEvPK7__half2Piiii: ; @_ZL25flash_attn_mask_to_KV_maxILi64EEvPK7__half2Piiii
; %bb.0:
	s_load_b64 s[8:9], s[0:1], 0x0
	s_mov_b32 s2, exec_lo
	v_cmpx_gt_u32_e32 32, v0
; %bb.1:
	v_dual_mov_b32 v2, 1 :: v_dual_lshlrev_b32 v1, 2, v0
	ds_store_b32 v1, v2
; %bb.2:
	s_or_b32 exec_lo, exec_lo, s2
	s_clause 0x2
	s_load_b96 s[4:6], s[0:1], 0x10
	s_load_b64 s[2:3], s[0:1], 0x8
	s_load_b32 s1, s[0:1], 0x20
	v_dual_mov_b32 v2, 0 :: v_dual_and_b32 v1, 31, v0
	v_lshrrev_b32_e32 v5, 3, v0
	s_wait_dscnt 0x0
	s_barrier_signal -1
	s_delay_alu instid0(VALU_DEP_2)
	v_lshlrev_b32_e32 v6, 2, v1
	s_barrier_wait -1
	global_inv scope:SCOPE_SE
	s_wait_kmcnt 0x0
	s_mul_i32 s0, ttmp9, s5
	s_mul_i32 s6, s6, ttmp7
	s_lshl_b32 s0, s0, 6
	s_delay_alu instid0(SALU_CYCLE_1) | instskip(SKIP_2) | instid1(SALU_CYCLE_1)
	s_add_co_i32 s6, s6, s0
	v_cmp_eq_u32_e64 s0, 0, v1
	s_ashr_i32 s7, s6, 31
	s_lshl_b64 s[6:7], s[6:7], 2
	s_delay_alu instid0(SALU_CYCLE_1)
	s_add_nc_u64 s[6:7], s[8:9], s[6:7]
	s_lshl_b32 s8, s4, 8
	s_branch .LBB53_4
.LBB53_3:                               ;   in Loop: Header=BB53_4 Depth=1
	s_wait_alu 0xfffe
	s_or_b32 exec_lo, exec_lo, s9
	s_wait_dscnt 0x0
	s_barrier_signal -1
	s_barrier_wait -1
	global_inv scope:SCOPE_SE
	ds_load_b32 v1, v6
	s_wait_loadcnt_dscnt 0x0
	s_barrier_signal -1
	s_barrier_wait -1
	global_inv scope:SCOPE_SE
	v_cmp_ne_u32_e32 vcc_lo, 0, v1
	s_cmp_lg_u32 vcc_lo, exec_lo
	s_cselect_b32 s9, -1, 0
	s_wait_alu 0xfffe
	s_and_b32 vcc_lo, exec_lo, s9
	s_wait_alu 0xfffe
	s_cbranch_vccnz .LBB53_260
.LBB53_4:                               ; =>This Inner Loop Header: Depth=1
	s_mov_b32 s4, s8
	s_addk_co_i32 s8, 0xff00
	s_wait_alu 0xfffe
	s_cmp_lt_i32 s8, 0
	s_cbranch_scc1 .LBB53_259
; %bb.5:                                ;   in Loop: Header=BB53_4 Depth=1
	s_lshr_b32 s9, s8, 1
	s_wait_alu 0xfffe
	v_add_nc_u32_e32 v1, s9, v0
	s_delay_alu instid0(VALU_DEP_1) | instskip(NEXT) | instid1(VALU_DEP_1)
	v_lshlrev_b64_e32 v[3:4], 2, v[1:2]
	v_add_co_u32 v3, vcc_lo, s6, v3
	s_wait_alu 0xfffd
	s_delay_alu instid0(VALU_DEP_2) | instskip(SKIP_4) | instid1(VALU_DEP_2)
	v_add_co_ci_u32_e64 v4, null, s7, v4, vcc_lo
	global_load_b32 v3, v[3:4], off
	s_wait_loadcnt 0x0
	v_lshrrev_b32_e32 v4, 16, v3
	v_cmp_class_f16_e64 s9, v3, 0x204
	v_cmp_class_f16_e64 s10, v4, 0x204
	s_and_b32 s11, s9, s10
	s_mov_b32 s10, 0
	s_wait_alu 0xfffe
	s_and_saveexec_b32 s9, s11
	s_cbranch_execz .LBB53_257
; %bb.6:                                ;   in Loop: Header=BB53_4 Depth=1
	v_add_nc_u32_e32 v3, s5, v1
	s_mov_b32 s11, 0
	s_delay_alu instid0(VALU_DEP_1) | instskip(NEXT) | instid1(VALU_DEP_1)
	v_ashrrev_i32_e32 v4, 31, v3
	v_lshlrev_b64_e32 v[7:8], 2, v[3:4]
	s_delay_alu instid0(VALU_DEP_1) | instskip(SKIP_1) | instid1(VALU_DEP_2)
	v_add_co_u32 v7, vcc_lo, s6, v7
	s_wait_alu 0xfffd
	v_add_co_ci_u32_e64 v8, null, s7, v8, vcc_lo
	global_load_b32 v1, v[7:8], off
	s_wait_loadcnt 0x0
	v_cmp_class_f16_e64 s12, v1, 0x204
	s_and_saveexec_b32 s10, s12
	s_cbranch_execz .LBB53_256
; %bb.7:                                ;   in Loop: Header=BB53_4 Depth=1
	v_lshrrev_b32_e32 v1, 16, v1
	s_mov_b32 s12, 0
	s_delay_alu instid0(VALU_DEP_1)
	v_cmp_class_f16_e64 s13, v1, 0x204
	s_and_saveexec_b32 s11, s13
	s_cbranch_execz .LBB53_255
; %bb.8:                                ;   in Loop: Header=BB53_4 Depth=1
	v_add_nc_u32_e32 v3, s5, v3
	s_mov_b32 s13, 0
	s_delay_alu instid0(VALU_DEP_1) | instskip(NEXT) | instid1(VALU_DEP_1)
	v_ashrrev_i32_e32 v4, 31, v3
	v_lshlrev_b64_e32 v[7:8], 2, v[3:4]
	s_delay_alu instid0(VALU_DEP_1) | instskip(SKIP_1) | instid1(VALU_DEP_2)
	v_add_co_u32 v7, vcc_lo, s6, v7
	s_wait_alu 0xfffd
	v_add_co_ci_u32_e64 v8, null, s7, v8, vcc_lo
	global_load_b32 v1, v[7:8], off
	s_wait_loadcnt 0x0
	v_cmp_class_f16_e64 s14, v1, 0x204
	s_and_saveexec_b32 s12, s14
	s_cbranch_execz .LBB53_254
; %bb.9:                                ;   in Loop: Header=BB53_4 Depth=1
	v_lshrrev_b32_e32 v1, 16, v1
	s_mov_b32 s14, 0
	s_delay_alu instid0(VALU_DEP_1)
	v_cmp_class_f16_e64 s15, v1, 0x204
	s_and_saveexec_b32 s13, s15
	s_cbranch_execz .LBB53_253
; %bb.10:                               ;   in Loop: Header=BB53_4 Depth=1
	v_add_nc_u32_e32 v3, s5, v3
	s_mov_b32 s15, 0
	s_delay_alu instid0(VALU_DEP_1) | instskip(NEXT) | instid1(VALU_DEP_1)
	v_ashrrev_i32_e32 v4, 31, v3
	v_lshlrev_b64_e32 v[7:8], 2, v[3:4]
	s_delay_alu instid0(VALU_DEP_1) | instskip(SKIP_1) | instid1(VALU_DEP_2)
	v_add_co_u32 v7, vcc_lo, s6, v7
	s_wait_alu 0xfffd
	v_add_co_ci_u32_e64 v8, null, s7, v8, vcc_lo
	global_load_b32 v1, v[7:8], off
	s_wait_loadcnt 0x0
	v_cmp_class_f16_e64 s16, v1, 0x204
	s_and_saveexec_b32 s14, s16
	s_cbranch_execz .LBB53_252
; %bb.11:                               ;   in Loop: Header=BB53_4 Depth=1
	v_lshrrev_b32_e32 v1, 16, v1
	s_mov_b32 s16, 0
	s_delay_alu instid0(VALU_DEP_1)
	v_cmp_class_f16_e64 s17, v1, 0x204
	s_and_saveexec_b32 s15, s17
	s_cbranch_execz .LBB53_251
; %bb.12:                               ;   in Loop: Header=BB53_4 Depth=1
	v_add_nc_u32_e32 v3, s5, v3
	s_mov_b32 s17, 0
	s_delay_alu instid0(VALU_DEP_1) | instskip(NEXT) | instid1(VALU_DEP_1)
	v_ashrrev_i32_e32 v4, 31, v3
	v_lshlrev_b64_e32 v[7:8], 2, v[3:4]
	s_delay_alu instid0(VALU_DEP_1) | instskip(SKIP_1) | instid1(VALU_DEP_2)
	v_add_co_u32 v7, vcc_lo, s6, v7
	s_wait_alu 0xfffd
	v_add_co_ci_u32_e64 v8, null, s7, v8, vcc_lo
	global_load_b32 v1, v[7:8], off
	s_wait_loadcnt 0x0
	v_cmp_class_f16_e64 s18, v1, 0x204
	s_and_saveexec_b32 s16, s18
	s_cbranch_execz .LBB53_250
; %bb.13:                               ;   in Loop: Header=BB53_4 Depth=1
	;; [unrolled: 22-line block ×24, first 2 shown]
	v_lshrrev_b32_e32 v1, 16, v1
	s_mov_b32 s63, 0
	s_delay_alu instid0(VALU_DEP_1)
	v_cmp_class_f16_e64 s64, v1, 0x204
	s_and_saveexec_b32 s62, s64
	s_cbranch_execz .LBB53_205
; %bb.58:                               ;   in Loop: Header=BB53_4 Depth=1
	v_add_nc_u32_e32 v3, s5, v3
	s_delay_alu instid0(VALU_DEP_1) | instskip(NEXT) | instid1(VALU_DEP_1)
	v_ashrrev_i32_e32 v4, 31, v3
	v_lshlrev_b64_e32 v[7:8], 2, v[3:4]
	s_delay_alu instid0(VALU_DEP_1) | instskip(SKIP_1) | instid1(VALU_DEP_2)
	v_add_co_u32 v7, vcc_lo, s6, v7
	s_wait_alu 0xfffd
	v_add_co_ci_u32_e64 v8, null, s7, v8, vcc_lo
	global_load_b32 v1, v[7:8], off
	s_wait_loadcnt 0x0
	v_cmp_class_f16_e64 s64, v1, 0x204
	s_mov_b32 s65, exec_lo
	s_wait_alu 0xfffe
	s_and_b32 s64, s65, s64
                                        ; implicit-def: $vgpr9 : SGPR spill to VGPR lane
	v_writelane_b32 v9, s65, 0
	s_wait_alu 0xfffe
	s_mov_b32 exec_lo, s64
	s_cbranch_execz .LBB53_204
; %bb.59:                               ;   in Loop: Header=BB53_4 Depth=1
	v_lshrrev_b32_e32 v1, 16, v1
	s_delay_alu instid0(VALU_DEP_1)
	v_cmp_class_f16_e64 s64, v1, 0x204
	s_mov_b32 s65, exec_lo
	s_wait_alu 0xfffe
	s_and_b32 s64, s65, s64
	v_writelane_b32 v9, s65, 1
	s_wait_alu 0xfffe
	s_mov_b32 exec_lo, s64
	s_cbranch_execz .LBB53_203
; %bb.60:                               ;   in Loop: Header=BB53_4 Depth=1
	v_add_nc_u32_e32 v3, s5, v3
	s_delay_alu instid0(VALU_DEP_1) | instskip(NEXT) | instid1(VALU_DEP_1)
	v_ashrrev_i32_e32 v4, 31, v3
	v_lshlrev_b64_e32 v[7:8], 2, v[3:4]
	s_delay_alu instid0(VALU_DEP_1) | instskip(SKIP_1) | instid1(VALU_DEP_2)
	v_add_co_u32 v7, vcc_lo, s6, v7
	s_wait_alu 0xfffd
	v_add_co_ci_u32_e64 v8, null, s7, v8, vcc_lo
	global_load_b32 v1, v[7:8], off
	s_wait_loadcnt 0x0
	v_cmp_class_f16_e64 s64, v1, 0x204
	s_mov_b32 s65, exec_lo
	s_wait_alu 0xfffe
	s_and_b32 s64, s65, s64
	v_writelane_b32 v9, s65, 2
	s_wait_alu 0xfffe
	s_mov_b32 exec_lo, s64
	s_cbranch_execz .LBB53_202
; %bb.61:                               ;   in Loop: Header=BB53_4 Depth=1
	v_lshrrev_b32_e32 v1, 16, v1
	s_delay_alu instid0(VALU_DEP_1)
	v_cmp_class_f16_e64 s64, v1, 0x204
	s_mov_b32 s65, exec_lo
	s_wait_alu 0xfffe
	s_and_b32 s64, s65, s64
	v_writelane_b32 v9, s65, 3
	s_wait_alu 0xfffe
	s_mov_b32 exec_lo, s64
	s_cbranch_execz .LBB53_201
; %bb.62:                               ;   in Loop: Header=BB53_4 Depth=1
	v_add_nc_u32_e32 v3, s5, v3
	s_delay_alu instid0(VALU_DEP_1) | instskip(NEXT) | instid1(VALU_DEP_1)
	v_ashrrev_i32_e32 v4, 31, v3
	v_lshlrev_b64_e32 v[7:8], 2, v[3:4]
	s_delay_alu instid0(VALU_DEP_1) | instskip(SKIP_1) | instid1(VALU_DEP_2)
	v_add_co_u32 v7, vcc_lo, s6, v7
	s_wait_alu 0xfffd
	v_add_co_ci_u32_e64 v8, null, s7, v8, vcc_lo
	global_load_b32 v1, v[7:8], off
	s_wait_loadcnt 0x0
	v_cmp_class_f16_e64 s64, v1, 0x204
	s_mov_b32 s65, exec_lo
	s_wait_alu 0xfffe
	s_and_b32 s64, s65, s64
	;; [unrolled: 30-line block ×15, first 2 shown]
	v_writelane_b32 v9, s65, 30
	s_wait_alu 0xfffe
	s_mov_b32 exec_lo, s64
	s_cbranch_execz .LBB53_174
; %bb.89:                               ;   in Loop: Header=BB53_4 Depth=1
	v_lshrrev_b32_e32 v1, 16, v1
	s_delay_alu instid0(VALU_DEP_1)
	v_cmp_class_f16_e64 s64, v1, 0x204
	s_and_saveexec_b32 s94, s64
	s_cbranch_execz .LBB53_173
; %bb.90:                               ;   in Loop: Header=BB53_4 Depth=1
	v_add_nc_u32_e32 v3, s5, v3
	s_delay_alu instid0(VALU_DEP_1) | instskip(NEXT) | instid1(VALU_DEP_1)
	v_ashrrev_i32_e32 v4, 31, v3
	v_lshlrev_b64_e32 v[7:8], 2, v[3:4]
	s_delay_alu instid0(VALU_DEP_1) | instskip(SKIP_1) | instid1(VALU_DEP_2)
	v_add_co_u32 v7, vcc_lo, s6, v7
	s_wait_alu 0xfffd
	v_add_co_ci_u32_e64 v8, null, s7, v8, vcc_lo
	global_load_b32 v1, v[7:8], off
	s_wait_loadcnt 0x0
	v_cmp_class_f16_e64 s64, v1, 0x204
	s_and_saveexec_b32 s95, s64
	s_cbranch_execz .LBB53_172
; %bb.91:                               ;   in Loop: Header=BB53_4 Depth=1
	v_lshrrev_b32_e32 v1, 16, v1
	s_delay_alu instid0(VALU_DEP_1)
	v_cmp_class_f16_e64 s64, v1, 0x204
	s_and_saveexec_b32 s96, s64
	s_cbranch_execz .LBB53_171
; %bb.92:                               ;   in Loop: Header=BB53_4 Depth=1
	v_add_nc_u32_e32 v3, s5, v3
	s_delay_alu instid0(VALU_DEP_1) | instskip(NEXT) | instid1(VALU_DEP_1)
	v_ashrrev_i32_e32 v4, 31, v3
	v_lshlrev_b64_e32 v[7:8], 2, v[3:4]
	s_delay_alu instid0(VALU_DEP_1) | instskip(SKIP_1) | instid1(VALU_DEP_2)
	v_add_co_u32 v7, vcc_lo, s6, v7
	s_wait_alu 0xfffd
	v_add_co_ci_u32_e64 v8, null, s7, v8, vcc_lo
	global_load_b32 v1, v[7:8], off
	s_wait_loadcnt 0x0
	v_cmp_class_f16_e64 s64, v1, 0x204
	s_and_saveexec_b32 s97, s64
	;; [unrolled: 20-line block ×5, first 2 shown]
	s_cbranch_execz .LBB53_164
; %bb.99:                               ;   in Loop: Header=BB53_4 Depth=1
	v_lshrrev_b32_e32 v1, 16, v1
	s_delay_alu instid0(VALU_DEP_1)
	v_cmp_class_f16_e64 s64, v1, 0x204
	s_and_saveexec_b32 s104, s64
	s_cbranch_execz .LBB53_163
; %bb.100:                              ;   in Loop: Header=BB53_4 Depth=1
	v_add_nc_u32_e32 v3, s5, v3
	s_delay_alu instid0(VALU_DEP_1) | instskip(NEXT) | instid1(VALU_DEP_1)
	v_ashrrev_i32_e32 v4, 31, v3
	v_lshlrev_b64_e32 v[7:8], 2, v[3:4]
	s_delay_alu instid0(VALU_DEP_1) | instskip(SKIP_1) | instid1(VALU_DEP_2)
	v_add_co_u32 v7, vcc_lo, s6, v7
	s_wait_alu 0xfffd
	v_add_co_ci_u32_e64 v8, null, s7, v8, vcc_lo
	global_load_b32 v1, v[7:8], off
	s_wait_loadcnt 0x0
	v_cmp_class_f16_e64 s64, v1, 0x204
	s_and_saveexec_b32 vcc_hi, s64
	s_cbranch_execz .LBB53_162
; %bb.101:                              ;   in Loop: Header=BB53_4 Depth=1
	v_lshrrev_b32_e32 v1, 16, v1
	s_mov_b32 s64, 0
	s_delay_alu instid0(VALU_DEP_1)
	v_cmp_class_f16_e64 s65, v1, 0x204
	s_and_saveexec_b32 s63, s65
	s_cbranch_execz .LBB53_161
; %bb.102:                              ;   in Loop: Header=BB53_4 Depth=1
	v_add_nc_u32_e32 v3, s5, v3
	s_mov_b32 s65, 0
	s_delay_alu instid0(VALU_DEP_1) | instskip(NEXT) | instid1(VALU_DEP_1)
	v_ashrrev_i32_e32 v4, 31, v3
	v_lshlrev_b64_e32 v[7:8], 2, v[3:4]
	s_delay_alu instid0(VALU_DEP_1) | instskip(SKIP_1) | instid1(VALU_DEP_2)
	v_add_co_u32 v7, vcc_lo, s6, v7
	s_wait_alu 0xfffd
	v_add_co_ci_u32_e64 v8, null, s7, v8, vcc_lo
	global_load_b32 v1, v[7:8], off
	s_wait_loadcnt 0x0
	v_cmp_class_f16_e64 s66, v1, 0x204
	s_and_saveexec_b32 s64, s66
	s_cbranch_execz .LBB53_160
; %bb.103:                              ;   in Loop: Header=BB53_4 Depth=1
	v_lshrrev_b32_e32 v1, 16, v1
	s_mov_b32 s66, 0
	s_delay_alu instid0(VALU_DEP_1)
	v_cmp_class_f16_e64 s67, v1, 0x204
	s_and_saveexec_b32 s65, s67
	s_cbranch_execz .LBB53_159
; %bb.104:                              ;   in Loop: Header=BB53_4 Depth=1
	v_add_nc_u32_e32 v3, s5, v3
	s_mov_b32 s67, 0
	s_delay_alu instid0(VALU_DEP_1) | instskip(NEXT) | instid1(VALU_DEP_1)
	v_ashrrev_i32_e32 v4, 31, v3
	v_lshlrev_b64_e32 v[7:8], 2, v[3:4]
	s_delay_alu instid0(VALU_DEP_1) | instskip(SKIP_1) | instid1(VALU_DEP_2)
	v_add_co_u32 v7, vcc_lo, s6, v7
	s_wait_alu 0xfffd
	v_add_co_ci_u32_e64 v8, null, s7, v8, vcc_lo
	global_load_b32 v1, v[7:8], off
	s_wait_loadcnt 0x0
	v_cmp_class_f16_e64 s68, v1, 0x204
	s_and_saveexec_b32 s66, s68
	;; [unrolled: 22-line block ×14, first 2 shown]
	s_cbranch_execz .LBB53_134
; %bb.129:                              ;   in Loop: Header=BB53_4 Depth=1
	v_lshrrev_b32_e32 v1, 16, v1
	s_mov_b32 vcc_lo, 0
	s_delay_alu instid0(VALU_DEP_1)
	v_cmp_class_f16_e64 s92, v1, 0x204
	s_and_saveexec_b32 s91, s92
	s_cbranch_execz .LBB53_133
; %bb.130:                              ;   in Loop: Header=BB53_4 Depth=1
	v_add_nc_u32_e32 v3, s5, v3
	s_delay_alu instid0(VALU_DEP_1) | instskip(NEXT) | instid1(VALU_DEP_1)
	v_ashrrev_i32_e32 v4, 31, v3
	v_lshlrev_b64_e32 v[3:4], 2, v[3:4]
	s_delay_alu instid0(VALU_DEP_1) | instskip(SKIP_1) | instid1(VALU_DEP_2)
	v_add_co_u32 v3, vcc_lo, s6, v3
	s_wait_alu 0xfffd
	v_add_co_ci_u32_e64 v4, null, s7, v4, vcc_lo
	s_mov_b32 vcc_lo, 0
	global_load_b32 v1, v[3:4], off
	s_wait_loadcnt 0x0
	v_cmp_class_f16_e64 s93, v1, 0x204
	s_and_saveexec_b32 s92, s93
; %bb.131:                              ;   in Loop: Header=BB53_4 Depth=1
	v_lshrrev_b32_e32 v1, 16, v1
	s_delay_alu instid0(VALU_DEP_1)
	v_cmp_class_f16_e64 s93, v1, 0x204
	s_and_b32 vcc_lo, s93, exec_lo
; %bb.132:                              ;   in Loop: Header=BB53_4 Depth=1
	s_or_b32 exec_lo, exec_lo, s92
	s_wait_alu 0xfffe
	s_and_b32 vcc_lo, vcc_lo, exec_lo
.LBB53_133:                             ;   in Loop: Header=BB53_4 Depth=1
	s_or_b32 exec_lo, exec_lo, s91
	s_wait_alu 0xfffe
	s_and_b32 s91, vcc_lo, exec_lo
.LBB53_134:                             ;   in Loop: Header=BB53_4 Depth=1
	s_or_b32 exec_lo, exec_lo, s90
	s_delay_alu instid0(SALU_CYCLE_1)
	s_and_b32 s90, s91, exec_lo
.LBB53_135:                             ;   in Loop: Header=BB53_4 Depth=1
	s_or_b32 exec_lo, exec_lo, s89
	s_delay_alu instid0(SALU_CYCLE_1)
	s_and_b32 s89, s90, exec_lo
.LBB53_136:                             ;   in Loop: Header=BB53_4 Depth=1
	s_or_b32 exec_lo, exec_lo, s88
	s_delay_alu instid0(SALU_CYCLE_1)
	s_and_b32 s88, s89, exec_lo
.LBB53_137:                             ;   in Loop: Header=BB53_4 Depth=1
	s_or_b32 exec_lo, exec_lo, s87
	s_delay_alu instid0(SALU_CYCLE_1)
	s_and_b32 s87, s88, exec_lo
.LBB53_138:                             ;   in Loop: Header=BB53_4 Depth=1
	s_or_b32 exec_lo, exec_lo, s86
	s_delay_alu instid0(SALU_CYCLE_1)
	s_and_b32 s86, s87, exec_lo
.LBB53_139:                             ;   in Loop: Header=BB53_4 Depth=1
	s_or_b32 exec_lo, exec_lo, s85
	s_delay_alu instid0(SALU_CYCLE_1)
	s_and_b32 s85, s86, exec_lo
.LBB53_140:                             ;   in Loop: Header=BB53_4 Depth=1
	s_or_b32 exec_lo, exec_lo, s84
	s_delay_alu instid0(SALU_CYCLE_1)
	s_and_b32 s84, s85, exec_lo
.LBB53_141:                             ;   in Loop: Header=BB53_4 Depth=1
	s_or_b32 exec_lo, exec_lo, s83
	s_delay_alu instid0(SALU_CYCLE_1)
	s_and_b32 s83, s84, exec_lo
.LBB53_142:                             ;   in Loop: Header=BB53_4 Depth=1
	s_or_b32 exec_lo, exec_lo, s82
	s_delay_alu instid0(SALU_CYCLE_1)
	s_and_b32 s82, s83, exec_lo
.LBB53_143:                             ;   in Loop: Header=BB53_4 Depth=1
	s_or_b32 exec_lo, exec_lo, s81
	s_delay_alu instid0(SALU_CYCLE_1)
	s_and_b32 s81, s82, exec_lo
.LBB53_144:                             ;   in Loop: Header=BB53_4 Depth=1
	s_or_b32 exec_lo, exec_lo, s80
	s_delay_alu instid0(SALU_CYCLE_1)
	s_and_b32 s80, s81, exec_lo
.LBB53_145:                             ;   in Loop: Header=BB53_4 Depth=1
	s_or_b32 exec_lo, exec_lo, s79
	s_delay_alu instid0(SALU_CYCLE_1)
	s_and_b32 s79, s80, exec_lo
.LBB53_146:                             ;   in Loop: Header=BB53_4 Depth=1
	s_or_b32 exec_lo, exec_lo, s78
	s_delay_alu instid0(SALU_CYCLE_1)
	s_and_b32 s78, s79, exec_lo
.LBB53_147:                             ;   in Loop: Header=BB53_4 Depth=1
	s_or_b32 exec_lo, exec_lo, s77
	s_delay_alu instid0(SALU_CYCLE_1)
	s_and_b32 s77, s78, exec_lo
.LBB53_148:                             ;   in Loop: Header=BB53_4 Depth=1
	s_or_b32 exec_lo, exec_lo, s76
	s_delay_alu instid0(SALU_CYCLE_1)
	s_and_b32 s76, s77, exec_lo
.LBB53_149:                             ;   in Loop: Header=BB53_4 Depth=1
	s_or_b32 exec_lo, exec_lo, s75
	s_delay_alu instid0(SALU_CYCLE_1)
	s_and_b32 s75, s76, exec_lo
.LBB53_150:                             ;   in Loop: Header=BB53_4 Depth=1
	s_or_b32 exec_lo, exec_lo, s74
	s_delay_alu instid0(SALU_CYCLE_1)
	s_and_b32 s74, s75, exec_lo
.LBB53_151:                             ;   in Loop: Header=BB53_4 Depth=1
	s_or_b32 exec_lo, exec_lo, s73
	s_delay_alu instid0(SALU_CYCLE_1)
	s_and_b32 s73, s74, exec_lo
.LBB53_152:                             ;   in Loop: Header=BB53_4 Depth=1
	s_or_b32 exec_lo, exec_lo, s72
	s_delay_alu instid0(SALU_CYCLE_1)
	s_and_b32 s72, s73, exec_lo
.LBB53_153:                             ;   in Loop: Header=BB53_4 Depth=1
	s_or_b32 exec_lo, exec_lo, s71
	s_delay_alu instid0(SALU_CYCLE_1)
	s_and_b32 s71, s72, exec_lo
.LBB53_154:                             ;   in Loop: Header=BB53_4 Depth=1
	s_or_b32 exec_lo, exec_lo, s70
	s_delay_alu instid0(SALU_CYCLE_1)
	s_and_b32 s70, s71, exec_lo
.LBB53_155:                             ;   in Loop: Header=BB53_4 Depth=1
	s_or_b32 exec_lo, exec_lo, s69
	s_delay_alu instid0(SALU_CYCLE_1)
	s_and_b32 s69, s70, exec_lo
.LBB53_156:                             ;   in Loop: Header=BB53_4 Depth=1
	s_or_b32 exec_lo, exec_lo, s68
	s_delay_alu instid0(SALU_CYCLE_1)
	s_and_b32 s68, s69, exec_lo
.LBB53_157:                             ;   in Loop: Header=BB53_4 Depth=1
	s_or_b32 exec_lo, exec_lo, s67
	s_delay_alu instid0(SALU_CYCLE_1)
	s_and_b32 s67, s68, exec_lo
.LBB53_158:                             ;   in Loop: Header=BB53_4 Depth=1
	s_or_b32 exec_lo, exec_lo, s66
	s_delay_alu instid0(SALU_CYCLE_1)
	s_and_b32 s66, s67, exec_lo
.LBB53_159:                             ;   in Loop: Header=BB53_4 Depth=1
	s_wait_alu 0xfffe
	s_or_b32 exec_lo, exec_lo, s65
	s_delay_alu instid0(SALU_CYCLE_1)
	s_and_b32 s65, s66, exec_lo
.LBB53_160:                             ;   in Loop: Header=BB53_4 Depth=1
	s_wait_alu 0xfffe
	s_or_b32 exec_lo, exec_lo, s64
	s_delay_alu instid0(SALU_CYCLE_1)
	s_and_b32 s64, s65, exec_lo
.LBB53_161:                             ;   in Loop: Header=BB53_4 Depth=1
	s_or_b32 exec_lo, exec_lo, s63
	s_wait_alu 0xfffe
	s_and_b32 s63, s64, exec_lo
.LBB53_162:                             ;   in Loop: Header=BB53_4 Depth=1
	s_wait_alu 0xfffe
	s_or_b32 exec_lo, exec_lo, vcc_hi
	s_delay_alu instid0(SALU_CYCLE_1)
	s_and_b32 s63, s63, exec_lo
.LBB53_163:                             ;   in Loop: Header=BB53_4 Depth=1
	s_or_b32 exec_lo, exec_lo, s104
	s_delay_alu instid0(SALU_CYCLE_1)
	s_and_b32 s63, s63, exec_lo
.LBB53_164:                             ;   in Loop: Header=BB53_4 Depth=1
	s_or_b32 exec_lo, exec_lo, s103
	s_delay_alu instid0(SALU_CYCLE_1)
	s_and_b32 s63, s63, exec_lo
.LBB53_165:                             ;   in Loop: Header=BB53_4 Depth=1
	s_or_b32 exec_lo, exec_lo, s102
	s_delay_alu instid0(SALU_CYCLE_1)
	s_and_b32 s63, s63, exec_lo
.LBB53_166:                             ;   in Loop: Header=BB53_4 Depth=1
	s_or_b32 exec_lo, exec_lo, s101
	s_delay_alu instid0(SALU_CYCLE_1)
	s_and_b32 s63, s63, exec_lo
.LBB53_167:                             ;   in Loop: Header=BB53_4 Depth=1
	s_or_b32 exec_lo, exec_lo, s100
	s_delay_alu instid0(SALU_CYCLE_1)
	s_and_b32 s63, s63, exec_lo
.LBB53_168:                             ;   in Loop: Header=BB53_4 Depth=1
	s_or_b32 exec_lo, exec_lo, s99
	s_delay_alu instid0(SALU_CYCLE_1)
	s_and_b32 s63, s63, exec_lo
.LBB53_169:                             ;   in Loop: Header=BB53_4 Depth=1
	s_or_b32 exec_lo, exec_lo, s98
	s_delay_alu instid0(SALU_CYCLE_1)
	s_and_b32 s63, s63, exec_lo
.LBB53_170:                             ;   in Loop: Header=BB53_4 Depth=1
	s_or_b32 exec_lo, exec_lo, s97
	s_delay_alu instid0(SALU_CYCLE_1)
	s_and_b32 s63, s63, exec_lo
.LBB53_171:                             ;   in Loop: Header=BB53_4 Depth=1
	s_or_b32 exec_lo, exec_lo, s96
	s_delay_alu instid0(SALU_CYCLE_1)
	s_and_b32 s63, s63, exec_lo
.LBB53_172:                             ;   in Loop: Header=BB53_4 Depth=1
	s_or_b32 exec_lo, exec_lo, s95
	s_delay_alu instid0(SALU_CYCLE_1)
	s_and_b32 s63, s63, exec_lo
.LBB53_173:                             ;   in Loop: Header=BB53_4 Depth=1
	s_or_b32 exec_lo, exec_lo, s94
	s_delay_alu instid0(SALU_CYCLE_1)
	s_and_b32 s63, s63, exec_lo
.LBB53_174:                             ;   in Loop: Header=BB53_4 Depth=1
	s_delay_alu instid0(VALU_DEP_1) | instskip(SKIP_1) | instid1(SALU_CYCLE_1)
	v_readlane_b32 s64, v9, 30
	s_or_b32 exec_lo, exec_lo, s64
	s_and_b32 s63, s63, exec_lo
.LBB53_175:                             ;   in Loop: Header=BB53_4 Depth=1
	s_delay_alu instid0(VALU_DEP_1) | instskip(SKIP_1) | instid1(SALU_CYCLE_1)
	v_readlane_b32 s64, v9, 29
	s_or_b32 exec_lo, exec_lo, s64
	s_and_b32 s63, s63, exec_lo
.LBB53_176:                             ;   in Loop: Header=BB53_4 Depth=1
	s_delay_alu instid0(VALU_DEP_1) | instskip(SKIP_1) | instid1(SALU_CYCLE_1)
	v_readlane_b32 s64, v9, 28
	s_or_b32 exec_lo, exec_lo, s64
	s_and_b32 s63, s63, exec_lo
.LBB53_177:                             ;   in Loop: Header=BB53_4 Depth=1
	s_delay_alu instid0(VALU_DEP_1) | instskip(SKIP_1) | instid1(SALU_CYCLE_1)
	v_readlane_b32 s64, v9, 27
	s_or_b32 exec_lo, exec_lo, s64
	s_and_b32 s63, s63, exec_lo
.LBB53_178:                             ;   in Loop: Header=BB53_4 Depth=1
	s_delay_alu instid0(VALU_DEP_1) | instskip(SKIP_1) | instid1(SALU_CYCLE_1)
	v_readlane_b32 s64, v9, 26
	s_or_b32 exec_lo, exec_lo, s64
	s_and_b32 s63, s63, exec_lo
.LBB53_179:                             ;   in Loop: Header=BB53_4 Depth=1
	s_delay_alu instid0(VALU_DEP_1) | instskip(SKIP_1) | instid1(SALU_CYCLE_1)
	v_readlane_b32 s64, v9, 25
	s_or_b32 exec_lo, exec_lo, s64
	s_and_b32 s63, s63, exec_lo
.LBB53_180:                             ;   in Loop: Header=BB53_4 Depth=1
	s_delay_alu instid0(VALU_DEP_1) | instskip(SKIP_1) | instid1(SALU_CYCLE_1)
	v_readlane_b32 s64, v9, 24
	s_or_b32 exec_lo, exec_lo, s64
	s_and_b32 s63, s63, exec_lo
.LBB53_181:                             ;   in Loop: Header=BB53_4 Depth=1
	s_delay_alu instid0(VALU_DEP_1) | instskip(SKIP_1) | instid1(SALU_CYCLE_1)
	v_readlane_b32 s64, v9, 23
	s_or_b32 exec_lo, exec_lo, s64
	s_and_b32 s63, s63, exec_lo
.LBB53_182:                             ;   in Loop: Header=BB53_4 Depth=1
	s_delay_alu instid0(VALU_DEP_1) | instskip(SKIP_1) | instid1(SALU_CYCLE_1)
	v_readlane_b32 s64, v9, 22
	s_or_b32 exec_lo, exec_lo, s64
	s_and_b32 s63, s63, exec_lo
.LBB53_183:                             ;   in Loop: Header=BB53_4 Depth=1
	s_delay_alu instid0(VALU_DEP_1) | instskip(SKIP_1) | instid1(SALU_CYCLE_1)
	v_readlane_b32 s64, v9, 21
	s_or_b32 exec_lo, exec_lo, s64
	s_and_b32 s63, s63, exec_lo
.LBB53_184:                             ;   in Loop: Header=BB53_4 Depth=1
	s_delay_alu instid0(VALU_DEP_1) | instskip(SKIP_1) | instid1(SALU_CYCLE_1)
	v_readlane_b32 s64, v9, 20
	s_or_b32 exec_lo, exec_lo, s64
	s_and_b32 s63, s63, exec_lo
.LBB53_185:                             ;   in Loop: Header=BB53_4 Depth=1
	s_delay_alu instid0(VALU_DEP_1) | instskip(SKIP_1) | instid1(SALU_CYCLE_1)
	v_readlane_b32 s64, v9, 19
	s_or_b32 exec_lo, exec_lo, s64
	s_and_b32 s63, s63, exec_lo
.LBB53_186:                             ;   in Loop: Header=BB53_4 Depth=1
	s_delay_alu instid0(VALU_DEP_1) | instskip(SKIP_1) | instid1(SALU_CYCLE_1)
	v_readlane_b32 s64, v9, 18
	s_or_b32 exec_lo, exec_lo, s64
	s_and_b32 s63, s63, exec_lo
.LBB53_187:                             ;   in Loop: Header=BB53_4 Depth=1
	s_delay_alu instid0(VALU_DEP_1) | instskip(SKIP_1) | instid1(SALU_CYCLE_1)
	v_readlane_b32 s64, v9, 17
	s_or_b32 exec_lo, exec_lo, s64
	s_and_b32 s63, s63, exec_lo
.LBB53_188:                             ;   in Loop: Header=BB53_4 Depth=1
	s_delay_alu instid0(VALU_DEP_1) | instskip(SKIP_1) | instid1(SALU_CYCLE_1)
	v_readlane_b32 s64, v9, 16
	s_or_b32 exec_lo, exec_lo, s64
	s_and_b32 s63, s63, exec_lo
.LBB53_189:                             ;   in Loop: Header=BB53_4 Depth=1
	s_delay_alu instid0(VALU_DEP_1) | instskip(SKIP_1) | instid1(SALU_CYCLE_1)
	v_readlane_b32 s64, v9, 15
	s_or_b32 exec_lo, exec_lo, s64
	s_and_b32 s63, s63, exec_lo
.LBB53_190:                             ;   in Loop: Header=BB53_4 Depth=1
	s_delay_alu instid0(VALU_DEP_1) | instskip(SKIP_1) | instid1(SALU_CYCLE_1)
	v_readlane_b32 s64, v9, 14
	s_or_b32 exec_lo, exec_lo, s64
	s_and_b32 s63, s63, exec_lo
.LBB53_191:                             ;   in Loop: Header=BB53_4 Depth=1
	s_delay_alu instid0(VALU_DEP_1) | instskip(SKIP_1) | instid1(SALU_CYCLE_1)
	v_readlane_b32 s64, v9, 13
	s_or_b32 exec_lo, exec_lo, s64
	s_and_b32 s63, s63, exec_lo
.LBB53_192:                             ;   in Loop: Header=BB53_4 Depth=1
	s_delay_alu instid0(VALU_DEP_1) | instskip(SKIP_1) | instid1(SALU_CYCLE_1)
	v_readlane_b32 s64, v9, 12
	s_or_b32 exec_lo, exec_lo, s64
	s_and_b32 s63, s63, exec_lo
.LBB53_193:                             ;   in Loop: Header=BB53_4 Depth=1
	s_delay_alu instid0(VALU_DEP_1) | instskip(SKIP_1) | instid1(SALU_CYCLE_1)
	v_readlane_b32 s64, v9, 11
	s_or_b32 exec_lo, exec_lo, s64
	s_and_b32 s63, s63, exec_lo
.LBB53_194:                             ;   in Loop: Header=BB53_4 Depth=1
	s_delay_alu instid0(VALU_DEP_1) | instskip(SKIP_1) | instid1(SALU_CYCLE_1)
	v_readlane_b32 s64, v9, 10
	s_or_b32 exec_lo, exec_lo, s64
	s_and_b32 s63, s63, exec_lo
.LBB53_195:                             ;   in Loop: Header=BB53_4 Depth=1
	s_delay_alu instid0(VALU_DEP_1) | instskip(SKIP_1) | instid1(SALU_CYCLE_1)
	v_readlane_b32 s64, v9, 9
	s_or_b32 exec_lo, exec_lo, s64
	s_and_b32 s63, s63, exec_lo
.LBB53_196:                             ;   in Loop: Header=BB53_4 Depth=1
	s_delay_alu instid0(VALU_DEP_1) | instskip(SKIP_1) | instid1(SALU_CYCLE_1)
	v_readlane_b32 s64, v9, 8
	s_or_b32 exec_lo, exec_lo, s64
	s_and_b32 s63, s63, exec_lo
.LBB53_197:                             ;   in Loop: Header=BB53_4 Depth=1
	s_delay_alu instid0(VALU_DEP_1) | instskip(SKIP_1) | instid1(SALU_CYCLE_1)
	v_readlane_b32 s64, v9, 7
	s_or_b32 exec_lo, exec_lo, s64
	s_and_b32 s63, s63, exec_lo
.LBB53_198:                             ;   in Loop: Header=BB53_4 Depth=1
	s_delay_alu instid0(VALU_DEP_1) | instskip(SKIP_1) | instid1(SALU_CYCLE_1)
	v_readlane_b32 s64, v9, 6
	s_or_b32 exec_lo, exec_lo, s64
	s_and_b32 s63, s63, exec_lo
.LBB53_199:                             ;   in Loop: Header=BB53_4 Depth=1
	s_delay_alu instid0(VALU_DEP_1) | instskip(SKIP_1) | instid1(SALU_CYCLE_1)
	v_readlane_b32 s64, v9, 5
	s_or_b32 exec_lo, exec_lo, s64
	s_and_b32 s63, s63, exec_lo
.LBB53_200:                             ;   in Loop: Header=BB53_4 Depth=1
	s_delay_alu instid0(VALU_DEP_1) | instskip(SKIP_1) | instid1(SALU_CYCLE_1)
	v_readlane_b32 s64, v9, 4
	s_or_b32 exec_lo, exec_lo, s64
	s_and_b32 s63, s63, exec_lo
.LBB53_201:                             ;   in Loop: Header=BB53_4 Depth=1
	s_delay_alu instid0(VALU_DEP_1) | instskip(SKIP_1) | instid1(SALU_CYCLE_1)
	v_readlane_b32 s64, v9, 3
	s_or_b32 exec_lo, exec_lo, s64
	s_and_b32 s63, s63, exec_lo
.LBB53_202:                             ;   in Loop: Header=BB53_4 Depth=1
	s_delay_alu instid0(VALU_DEP_1) | instskip(SKIP_1) | instid1(SALU_CYCLE_1)
	v_readlane_b32 s64, v9, 2
	s_or_b32 exec_lo, exec_lo, s64
	s_and_b32 s63, s63, exec_lo
.LBB53_203:                             ;   in Loop: Header=BB53_4 Depth=1
	s_delay_alu instid0(VALU_DEP_1) | instskip(SKIP_1) | instid1(SALU_CYCLE_1)
	v_readlane_b32 s64, v9, 1
	s_or_b32 exec_lo, exec_lo, s64
	s_and_b32 s63, s63, exec_lo
.LBB53_204:                             ;   in Loop: Header=BB53_4 Depth=1
	s_delay_alu instid0(VALU_DEP_1) | instskip(SKIP_1) | instid1(SALU_CYCLE_1)
	v_readlane_b32 s64, v9, 0
	s_or_b32 exec_lo, exec_lo, s64
	s_and_b32 s63, s63, exec_lo
.LBB53_205:                             ;   in Loop: Header=BB53_4 Depth=1
	s_or_b32 exec_lo, exec_lo, s62
	s_delay_alu instid0(SALU_CYCLE_1)
	s_and_b32 s62, s63, exec_lo
.LBB53_206:                             ;   in Loop: Header=BB53_4 Depth=1
	s_or_b32 exec_lo, exec_lo, s61
	s_delay_alu instid0(SALU_CYCLE_1)
	s_and_b32 s61, s62, exec_lo
.LBB53_207:                             ;   in Loop: Header=BB53_4 Depth=1
	s_or_b32 exec_lo, exec_lo, s60
	s_delay_alu instid0(SALU_CYCLE_1)
	s_and_b32 s60, s61, exec_lo
.LBB53_208:                             ;   in Loop: Header=BB53_4 Depth=1
	s_or_b32 exec_lo, exec_lo, s59
	s_delay_alu instid0(SALU_CYCLE_1)
	s_and_b32 s59, s60, exec_lo
.LBB53_209:                             ;   in Loop: Header=BB53_4 Depth=1
	s_or_b32 exec_lo, exec_lo, s58
	s_delay_alu instid0(SALU_CYCLE_1)
	s_and_b32 s58, s59, exec_lo
.LBB53_210:                             ;   in Loop: Header=BB53_4 Depth=1
	s_or_b32 exec_lo, exec_lo, s57
	s_delay_alu instid0(SALU_CYCLE_1)
	s_and_b32 s57, s58, exec_lo
.LBB53_211:                             ;   in Loop: Header=BB53_4 Depth=1
	s_or_b32 exec_lo, exec_lo, s56
	s_delay_alu instid0(SALU_CYCLE_1)
	s_and_b32 s56, s57, exec_lo
.LBB53_212:                             ;   in Loop: Header=BB53_4 Depth=1
	s_or_b32 exec_lo, exec_lo, s55
	s_delay_alu instid0(SALU_CYCLE_1)
	s_and_b32 s55, s56, exec_lo
.LBB53_213:                             ;   in Loop: Header=BB53_4 Depth=1
	s_or_b32 exec_lo, exec_lo, s54
	s_delay_alu instid0(SALU_CYCLE_1)
	s_and_b32 s54, s55, exec_lo
.LBB53_214:                             ;   in Loop: Header=BB53_4 Depth=1
	s_or_b32 exec_lo, exec_lo, s53
	s_delay_alu instid0(SALU_CYCLE_1)
	s_and_b32 s53, s54, exec_lo
.LBB53_215:                             ;   in Loop: Header=BB53_4 Depth=1
	s_or_b32 exec_lo, exec_lo, s52
	s_delay_alu instid0(SALU_CYCLE_1)
	s_and_b32 s52, s53, exec_lo
.LBB53_216:                             ;   in Loop: Header=BB53_4 Depth=1
	s_or_b32 exec_lo, exec_lo, s51
	s_delay_alu instid0(SALU_CYCLE_1)
	s_and_b32 s51, s52, exec_lo
.LBB53_217:                             ;   in Loop: Header=BB53_4 Depth=1
	s_or_b32 exec_lo, exec_lo, s50
	s_delay_alu instid0(SALU_CYCLE_1)
	s_and_b32 s50, s51, exec_lo
.LBB53_218:                             ;   in Loop: Header=BB53_4 Depth=1
	s_or_b32 exec_lo, exec_lo, s49
	s_delay_alu instid0(SALU_CYCLE_1)
	s_and_b32 s49, s50, exec_lo
.LBB53_219:                             ;   in Loop: Header=BB53_4 Depth=1
	s_or_b32 exec_lo, exec_lo, s48
	s_delay_alu instid0(SALU_CYCLE_1)
	s_and_b32 s48, s49, exec_lo
.LBB53_220:                             ;   in Loop: Header=BB53_4 Depth=1
	s_or_b32 exec_lo, exec_lo, s47
	s_delay_alu instid0(SALU_CYCLE_1)
	s_and_b32 s47, s48, exec_lo
.LBB53_221:                             ;   in Loop: Header=BB53_4 Depth=1
	s_or_b32 exec_lo, exec_lo, s46
	s_delay_alu instid0(SALU_CYCLE_1)
	s_and_b32 s46, s47, exec_lo
.LBB53_222:                             ;   in Loop: Header=BB53_4 Depth=1
	s_or_b32 exec_lo, exec_lo, s45
	s_delay_alu instid0(SALU_CYCLE_1)
	s_and_b32 s45, s46, exec_lo
.LBB53_223:                             ;   in Loop: Header=BB53_4 Depth=1
	s_or_b32 exec_lo, exec_lo, s44
	s_delay_alu instid0(SALU_CYCLE_1)
	s_and_b32 s44, s45, exec_lo
.LBB53_224:                             ;   in Loop: Header=BB53_4 Depth=1
	s_or_b32 exec_lo, exec_lo, s43
	s_delay_alu instid0(SALU_CYCLE_1)
	s_and_b32 s43, s44, exec_lo
.LBB53_225:                             ;   in Loop: Header=BB53_4 Depth=1
	s_or_b32 exec_lo, exec_lo, s42
	s_delay_alu instid0(SALU_CYCLE_1)
	s_and_b32 s42, s43, exec_lo
.LBB53_226:                             ;   in Loop: Header=BB53_4 Depth=1
	s_or_b32 exec_lo, exec_lo, s41
	s_delay_alu instid0(SALU_CYCLE_1)
	s_and_b32 s41, s42, exec_lo
.LBB53_227:                             ;   in Loop: Header=BB53_4 Depth=1
	s_or_b32 exec_lo, exec_lo, s40
	s_delay_alu instid0(SALU_CYCLE_1)
	s_and_b32 s40, s41, exec_lo
.LBB53_228:                             ;   in Loop: Header=BB53_4 Depth=1
	s_or_b32 exec_lo, exec_lo, s39
	s_delay_alu instid0(SALU_CYCLE_1)
	s_and_b32 s39, s40, exec_lo
.LBB53_229:                             ;   in Loop: Header=BB53_4 Depth=1
	s_or_b32 exec_lo, exec_lo, s38
	s_delay_alu instid0(SALU_CYCLE_1)
	s_and_b32 s38, s39, exec_lo
.LBB53_230:                             ;   in Loop: Header=BB53_4 Depth=1
	s_or_b32 exec_lo, exec_lo, s37
	s_delay_alu instid0(SALU_CYCLE_1)
	s_and_b32 s37, s38, exec_lo
.LBB53_231:                             ;   in Loop: Header=BB53_4 Depth=1
	s_or_b32 exec_lo, exec_lo, s36
	s_delay_alu instid0(SALU_CYCLE_1)
	s_and_b32 s36, s37, exec_lo
.LBB53_232:                             ;   in Loop: Header=BB53_4 Depth=1
	s_or_b32 exec_lo, exec_lo, s35
	s_delay_alu instid0(SALU_CYCLE_1)
	s_and_b32 s35, s36, exec_lo
.LBB53_233:                             ;   in Loop: Header=BB53_4 Depth=1
	s_or_b32 exec_lo, exec_lo, s34
	s_delay_alu instid0(SALU_CYCLE_1)
	s_and_b32 s34, s35, exec_lo
.LBB53_234:                             ;   in Loop: Header=BB53_4 Depth=1
	s_or_b32 exec_lo, exec_lo, s33
	s_delay_alu instid0(SALU_CYCLE_1)
	s_and_b32 s33, s34, exec_lo
.LBB53_235:                             ;   in Loop: Header=BB53_4 Depth=1
	s_or_b32 exec_lo, exec_lo, s31
	s_delay_alu instid0(SALU_CYCLE_1)
	s_and_b32 s31, s33, exec_lo
.LBB53_236:                             ;   in Loop: Header=BB53_4 Depth=1
	s_or_b32 exec_lo, exec_lo, s30
	s_delay_alu instid0(SALU_CYCLE_1)
	s_and_b32 s30, s31, exec_lo
.LBB53_237:                             ;   in Loop: Header=BB53_4 Depth=1
	s_or_b32 exec_lo, exec_lo, s29
	s_delay_alu instid0(SALU_CYCLE_1)
	s_and_b32 s29, s30, exec_lo
.LBB53_238:                             ;   in Loop: Header=BB53_4 Depth=1
	s_or_b32 exec_lo, exec_lo, s28
	s_delay_alu instid0(SALU_CYCLE_1)
	s_and_b32 s28, s29, exec_lo
.LBB53_239:                             ;   in Loop: Header=BB53_4 Depth=1
	s_or_b32 exec_lo, exec_lo, s27
	s_delay_alu instid0(SALU_CYCLE_1)
	s_and_b32 s27, s28, exec_lo
.LBB53_240:                             ;   in Loop: Header=BB53_4 Depth=1
	s_or_b32 exec_lo, exec_lo, s26
	s_delay_alu instid0(SALU_CYCLE_1)
	s_and_b32 s26, s27, exec_lo
.LBB53_241:                             ;   in Loop: Header=BB53_4 Depth=1
	s_or_b32 exec_lo, exec_lo, s25
	s_delay_alu instid0(SALU_CYCLE_1)
	s_and_b32 s25, s26, exec_lo
.LBB53_242:                             ;   in Loop: Header=BB53_4 Depth=1
	s_or_b32 exec_lo, exec_lo, s24
	s_delay_alu instid0(SALU_CYCLE_1)
	s_and_b32 s24, s25, exec_lo
.LBB53_243:                             ;   in Loop: Header=BB53_4 Depth=1
	s_or_b32 exec_lo, exec_lo, s23
	s_delay_alu instid0(SALU_CYCLE_1)
	s_and_b32 s23, s24, exec_lo
.LBB53_244:                             ;   in Loop: Header=BB53_4 Depth=1
	s_or_b32 exec_lo, exec_lo, s22
	s_delay_alu instid0(SALU_CYCLE_1)
	s_and_b32 s22, s23, exec_lo
.LBB53_245:                             ;   in Loop: Header=BB53_4 Depth=1
	s_or_b32 exec_lo, exec_lo, s21
	s_delay_alu instid0(SALU_CYCLE_1)
	s_and_b32 s21, s22, exec_lo
.LBB53_246:                             ;   in Loop: Header=BB53_4 Depth=1
	s_or_b32 exec_lo, exec_lo, s20
	s_delay_alu instid0(SALU_CYCLE_1)
	s_and_b32 s20, s21, exec_lo
.LBB53_247:                             ;   in Loop: Header=BB53_4 Depth=1
	s_or_b32 exec_lo, exec_lo, s19
	s_delay_alu instid0(SALU_CYCLE_1)
	s_and_b32 s19, s20, exec_lo
.LBB53_248:                             ;   in Loop: Header=BB53_4 Depth=1
	s_or_b32 exec_lo, exec_lo, s18
	s_delay_alu instid0(SALU_CYCLE_1)
	s_and_b32 s18, s19, exec_lo
.LBB53_249:                             ;   in Loop: Header=BB53_4 Depth=1
	s_or_b32 exec_lo, exec_lo, s17
	s_delay_alu instid0(SALU_CYCLE_1)
	s_and_b32 s17, s18, exec_lo
.LBB53_250:                             ;   in Loop: Header=BB53_4 Depth=1
	s_or_b32 exec_lo, exec_lo, s16
	s_delay_alu instid0(SALU_CYCLE_1)
	s_and_b32 s16, s17, exec_lo
.LBB53_251:                             ;   in Loop: Header=BB53_4 Depth=1
	s_or_b32 exec_lo, exec_lo, s15
	s_delay_alu instid0(SALU_CYCLE_1)
	s_and_b32 s15, s16, exec_lo
.LBB53_252:                             ;   in Loop: Header=BB53_4 Depth=1
	s_or_b32 exec_lo, exec_lo, s14
	s_delay_alu instid0(SALU_CYCLE_1)
	s_and_b32 s14, s15, exec_lo
.LBB53_253:                             ;   in Loop: Header=BB53_4 Depth=1
	s_or_b32 exec_lo, exec_lo, s13
	s_delay_alu instid0(SALU_CYCLE_1)
	s_and_b32 s13, s14, exec_lo
.LBB53_254:                             ;   in Loop: Header=BB53_4 Depth=1
	s_or_b32 exec_lo, exec_lo, s12
	s_delay_alu instid0(SALU_CYCLE_1)
	s_and_b32 s12, s13, exec_lo
.LBB53_255:                             ;   in Loop: Header=BB53_4 Depth=1
	s_wait_alu 0xfffe
	s_or_b32 exec_lo, exec_lo, s11
	s_delay_alu instid0(SALU_CYCLE_1)
	s_and_b32 s11, s12, exec_lo
.LBB53_256:                             ;   in Loop: Header=BB53_4 Depth=1
	s_wait_alu 0xfffe
	s_or_b32 exec_lo, exec_lo, s10
	s_delay_alu instid0(SALU_CYCLE_1)
	s_and_b32 s10, s11, exec_lo
.LBB53_257:                             ;   in Loop: Header=BB53_4 Depth=1
	s_wait_alu 0xfffe
	s_or_b32 exec_lo, exec_lo, s9
	v_cndmask_b32_e64 v1, 0, 1, s10
	s_mov_b32 s11, exec_lo
	s_delay_alu instid0(VALU_DEP_1)
	v_cmp_ne_u32_e32 vcc_lo, 0, v1
	s_and_saveexec_b32 s9, s0
	s_cbranch_execz .LBB53_3
; %bb.258:                              ;   in Loop: Header=BB53_4 Depth=1
	s_wait_alu 0xfffe
	s_cmp_eq_u32 vcc_lo, s11
	s_cselect_b32 s10, -1, 0
	s_wait_alu 0xfffe
	v_cndmask_b32_e64 v1, 0, 1, s10
	ds_store_b32 v5, v1
	s_branch .LBB53_3
.LBB53_259:                             ;   in Loop: Header=BB53_4 Depth=1
	s_cbranch_execz .LBB53_4
.LBB53_260:
	s_mov_b32 s0, exec_lo
	v_cmpx_eq_u32_e32 0, v0
	s_cbranch_execz .LBB53_262
; %bb.261:
	s_mul_i32 s0, s1, ttmp7
	v_dual_mov_b32 v0, 0 :: v_dual_mov_b32 v1, s4
	s_add_co_i32 s0, s0, ttmp9
	s_delay_alu instid0(SALU_CYCLE_1) | instskip(NEXT) | instid1(SALU_CYCLE_1)
	s_ashr_i32 s1, s0, 31
	s_lshl_b64 s[0:1], s[0:1], 2
	s_delay_alu instid0(SALU_CYCLE_1)
	s_add_nc_u64 s[0:1], s[2:3], s[0:1]
	global_store_b32 v0, v1, s[0:1]
.LBB53_262:
	s_endpgm
	.section	.rodata,"a",@progbits
	.p2align	6, 0x0
	.amdhsa_kernel _ZL25flash_attn_mask_to_KV_maxILi64EEvPK7__half2Piiii
		.amdhsa_group_segment_fixed_size 128
		.amdhsa_private_segment_fixed_size 0
		.amdhsa_kernarg_size 288
		.amdhsa_user_sgpr_count 2
		.amdhsa_user_sgpr_dispatch_ptr 0
		.amdhsa_user_sgpr_queue_ptr 0
		.amdhsa_user_sgpr_kernarg_segment_ptr 1
		.amdhsa_user_sgpr_dispatch_id 0
		.amdhsa_user_sgpr_private_segment_size 0
		.amdhsa_wavefront_size32 1
		.amdhsa_uses_dynamic_stack 0
		.amdhsa_enable_private_segment 0
		.amdhsa_system_sgpr_workgroup_id_x 1
		.amdhsa_system_sgpr_workgroup_id_y 1
		.amdhsa_system_sgpr_workgroup_id_z 0
		.amdhsa_system_sgpr_workgroup_info 0
		.amdhsa_system_vgpr_workitem_id 0
		.amdhsa_next_free_vgpr 10
		.amdhsa_next_free_sgpr 105
		.amdhsa_reserve_vcc 1
		.amdhsa_float_round_mode_32 0
		.amdhsa_float_round_mode_16_64 0
		.amdhsa_float_denorm_mode_32 3
		.amdhsa_float_denorm_mode_16_64 3
		.amdhsa_fp16_overflow 0
		.amdhsa_workgroup_processor_mode 1
		.amdhsa_memory_ordered 1
		.amdhsa_forward_progress 1
		.amdhsa_inst_pref_size 78
		.amdhsa_round_robin_scheduling 0
		.amdhsa_exception_fp_ieee_invalid_op 0
		.amdhsa_exception_fp_denorm_src 0
		.amdhsa_exception_fp_ieee_div_zero 0
		.amdhsa_exception_fp_ieee_overflow 0
		.amdhsa_exception_fp_ieee_underflow 0
		.amdhsa_exception_fp_ieee_inexact 0
		.amdhsa_exception_int_div_zero 0
	.end_amdhsa_kernel
	.section	.text._ZL25flash_attn_mask_to_KV_maxILi64EEvPK7__half2Piiii,"axG",@progbits,_ZL25flash_attn_mask_to_KV_maxILi64EEvPK7__half2Piiii,comdat
.Lfunc_end53:
	.size	_ZL25flash_attn_mask_to_KV_maxILi64EEvPK7__half2Piiii, .Lfunc_end53-_ZL25flash_attn_mask_to_KV_maxILi64EEvPK7__half2Piiii
                                        ; -- End function
	.set _ZL25flash_attn_mask_to_KV_maxILi64EEvPK7__half2Piiii.num_vgpr, 10
	.set _ZL25flash_attn_mask_to_KV_maxILi64EEvPK7__half2Piiii.num_agpr, 0
	.set _ZL25flash_attn_mask_to_KV_maxILi64EEvPK7__half2Piiii.numbered_sgpr, 105
	.set _ZL25flash_attn_mask_to_KV_maxILi64EEvPK7__half2Piiii.num_named_barrier, 0
	.set _ZL25flash_attn_mask_to_KV_maxILi64EEvPK7__half2Piiii.private_seg_size, 0
	.set _ZL25flash_attn_mask_to_KV_maxILi64EEvPK7__half2Piiii.uses_vcc, 1
	.set _ZL25flash_attn_mask_to_KV_maxILi64EEvPK7__half2Piiii.uses_flat_scratch, 0
	.set _ZL25flash_attn_mask_to_KV_maxILi64EEvPK7__half2Piiii.has_dyn_sized_stack, 0
	.set _ZL25flash_attn_mask_to_KV_maxILi64EEvPK7__half2Piiii.has_recursion, 0
	.set _ZL25flash_attn_mask_to_KV_maxILi64EEvPK7__half2Piiii.has_indirect_call, 0
	.section	.AMDGPU.csdata,"",@progbits
; Kernel info:
; codeLenInByte = 9908
; TotalNumSgprs: 107
; NumVgprs: 10
; ScratchSize: 0
; MemoryBound: 0
; FloatMode: 240
; IeeeMode: 1
; LDSByteSize: 128 bytes/workgroup (compile time only)
; SGPRBlocks: 0
; VGPRBlocks: 1
; NumSGPRsForWavesPerEU: 107
; NumVGPRsForWavesPerEU: 10
; Occupancy: 16
; WaveLimiterHint : 0
; COMPUTE_PGM_RSRC2:SCRATCH_EN: 0
; COMPUTE_PGM_RSRC2:USER_SGPR: 2
; COMPUTE_PGM_RSRC2:TRAP_HANDLER: 0
; COMPUTE_PGM_RSRC2:TGID_X_EN: 1
; COMPUTE_PGM_RSRC2:TGID_Y_EN: 1
; COMPUTE_PGM_RSRC2:TGID_Z_EN: 0
; COMPUTE_PGM_RSRC2:TIDIG_COMP_CNT: 0
	.section	.text._ZL33flash_attn_stream_k_fixup_uniformILi64ELi64ELi1EEvPfPK15HIP_vector_typeIfLj2EEiiiiiiS1_IjLj3EES5_S5_,"axG",@progbits,_ZL33flash_attn_stream_k_fixup_uniformILi64ELi64ELi1EEvPfPK15HIP_vector_typeIfLj2EEiiiiiiS1_IjLj3EES5_S5_,comdat
	.globl	_ZL33flash_attn_stream_k_fixup_uniformILi64ELi64ELi1EEvPfPK15HIP_vector_typeIfLj2EEiiiiiiS1_IjLj3EES5_S5_ ; -- Begin function _ZL33flash_attn_stream_k_fixup_uniformILi64ELi64ELi1EEvPfPK15HIP_vector_typeIfLj2EEiiiiiiS1_IjLj3EES5_S5_
	.p2align	8
	.type	_ZL33flash_attn_stream_k_fixup_uniformILi64ELi64ELi1EEvPfPK15HIP_vector_typeIfLj2EEiiiiiiS1_IjLj3EES5_S5_,@function
_ZL33flash_attn_stream_k_fixup_uniformILi64ELi64ELi1EEvPfPK15HIP_vector_typeIfLj2EEiiiiiiS1_IjLj3EES5_S5_: ; @_ZL33flash_attn_stream_k_fixup_uniformILi64ELi64ELi1EEvPfPK15HIP_vector_typeIfLj2EEiiiiiiS1_IjLj3EES5_S5_
; %bb.0:
	s_clause 0x1
	s_load_b256 s[4:11], s[0:1], 0x1c
	s_load_b128 s[12:15], s[0:1], 0x3c
	s_wait_kmcnt 0x0
	s_mul_hi_u32 s2, s7, ttmp9
	s_delay_alu instid0(SALU_CYCLE_1) | instskip(NEXT) | instid1(SALU_CYCLE_1)
	s_add_co_i32 s2, ttmp9, s2
	s_lshr_b32 s2, s2, s8
	s_delay_alu instid0(SALU_CYCLE_1) | instskip(SKIP_2) | instid1(SALU_CYCLE_1)
	s_mul_i32 s3, s2, s9
	s_load_b64 s[8:9], s[0:1], 0x10
	s_sub_co_i32 s7, ttmp9, s3
	s_mul_hi_u32 s3, s7, s10
	s_delay_alu instid0(SALU_CYCLE_1) | instskip(NEXT) | instid1(SALU_CYCLE_1)
	s_add_co_i32 s3, s7, s3
	s_lshr_b32 s3, s3, s11
	s_delay_alu instid0(SALU_CYCLE_1) | instskip(NEXT) | instid1(SALU_CYCLE_1)
	s_mul_i32 s10, s3, s12
	s_sub_co_i32 s7, s7, s10
	s_delay_alu instid0(SALU_CYCLE_1) | instskip(NEXT) | instid1(SALU_CYCLE_1)
	s_mul_hi_u32 s10, s7, s13
	s_add_co_i32 s10, s7, s10
	s_delay_alu instid0(SALU_CYCLE_1) | instskip(NEXT) | instid1(SALU_CYCLE_1)
	s_lshr_b32 s11, s10, s14
	s_mul_i32 s10, s11, s15
	s_delay_alu instid0(SALU_CYCLE_1) | instskip(SKIP_2) | instid1(SALU_CYCLE_1)
	s_sub_co_i32 s12, s7, s10
	s_and_b32 s7, ttmp7, 0xffff
	s_lshl_b32 s10, s12, 6
	s_add_co_i32 s13, s10, s7
	s_lshr_b32 s10, ttmp7, 16
	s_wait_kmcnt 0x0
	s_cmp_lt_i32 s13, s8
	s_cselect_b32 s13, -1, 0
	s_add_co_i32 s14, s11, s10
	s_delay_alu instid0(SALU_CYCLE_1) | instskip(SKIP_1) | instid1(SALU_CYCLE_1)
	s_cmp_lt_i32 s14, s5
	s_cselect_b32 s14, -1, 0
	s_and_b32 s13, s13, s14
	s_delay_alu instid0(SALU_CYCLE_1)
	s_and_not1_b32 vcc_lo, exec_lo, s13
	s_cbranch_vccnz .LBB54_6
; %bb.1:
	s_mul_i32 s2, s2, s8
	s_mul_i32 s5, s3, s5
	s_add_co_i32 s2, s2, s7
	s_delay_alu instid0(SALU_CYCLE_1) | instskip(NEXT) | instid1(SALU_CYCLE_1)
	s_mul_i32 s2, s2, s9
	s_add_co_i32 s8, s2, s10
	s_load_b128 s[0:3], s[0:1], 0x0
	s_add_co_i32 s5, s8, s5
	s_mul_i32 s8, s9, s12
	s_add_co_i32 s5, s5, s11
	s_lshl_b32 s8, s8, 12
	s_lshl_b32 s5, s5, 6
	s_add_co_i32 s9, s7, s10
	s_add_co_i32 s8, s8, s5
	s_delay_alu instid0(SALU_CYCLE_1) | instskip(SKIP_3) | instid1(SALU_CYCLE_1)
	v_or_b32_e32 v1, s8, v0
	s_mul_i32 s8, s6, ttmp9
	s_wait_alu 0xfffe
	s_add_co_i32 s5, s8, s6
	s_add_co_i32 s7, s5, -2
	v_ashrrev_i32_e32 v2, 31, v1
	s_delay_alu instid0(VALU_DEP_1) | instskip(SKIP_1) | instid1(VALU_DEP_1)
	v_lshlrev_b64_e32 v[1:2], 2, v[1:2]
	s_wait_kmcnt 0x0
	v_add_co_u32 v1, vcc_lo, s0, v1
	s_delay_alu instid0(VALU_DEP_1)
	v_add_co_ci_u32_e64 v2, null, s1, v2, vcc_lo
	s_lshl_b32 s0, s5, 6
	s_wait_alu 0xfffe
	s_add_co_i32 s0, s9, s0
	global_load_b32 v5, v[1:2], off
	s_wait_alu 0xfffe
	s_sub_co_i32 s0, s0, 64
	s_wait_alu 0xfffe
	s_ashr_i32 s1, s0, 31
	s_wait_alu 0xfffe
	s_lshl_b64 s[0:1], s[0:1], 3
	s_cmp_lt_i32 s7, s8
	s_wait_alu 0xfffe
	s_add_nc_u64 s[0:1], s[2:3], s[0:1]
	s_load_b32 s10, s[0:1], 0x4
	s_cbranch_scc1 .LBB54_4
; %bb.2:
	s_load_b32 s0, s[0:1], 0x0
	s_add_co_i32 s7, ttmp9, 1
	s_wait_kmcnt 0x0
	v_mov_b32_e32 v6, s10
	s_mul_i32 s1, s6, s7
	s_lshl_b32 s7, s9, 6
	s_wait_alu 0xfffe
	s_lshl_b32 s11, s1, 12
	s_lshl_b32 s6, s4, 8
	s_wait_alu 0xfffe
	s_add_co_i32 s11, s7, s11
	s_lshl_b32 s1, s1, 6
	s_wait_alu 0xfffe
	v_or_b32_e32 v0, s11, v0
	s_ashr_i32 s7, s6, 31
	s_add_co_i32 s1, s9, s1
	s_lshl_b32 s4, s4, 6
	s_lshl_b64 s[6:7], s[6:7], 2
	v_add_nc_u32_e32 v3, 0xffffe000, v0
	s_wait_alu 0xfffe
	s_add_co_i32 s4, s1, s4
	s_add_nc_u64 s[6:7], s[2:3], s[6:7]
	s_add_co_i32 s1, s5, -1
	s_addk_co_i32 s4, 0xff80
.LBB54_3:                               ; =>This Inner Loop Header: Depth=1
	v_ashrrev_i32_e32 v4, 31, v3
	s_ashr_i32 s5, s4, 31
	v_mov_b32_e32 v10, v6
	s_lshl_b64 s[10:11], s[4:5], 3
	s_wait_loadcnt 0x0
	v_mov_b32_e32 v9, v5
	v_lshlrev_b64_e32 v[7:8], 2, v[3:4]
	s_wait_alu 0xfffe
	s_add_nc_u64 s[10:11], s[2:3], s[10:11]
	v_max_num_f32_e64 v4, s0, s0
	s_load_b64 s[10:11], s[10:11], 0x0
	v_add_nc_u32_e32 v3, 0xfffff000, v3
	v_add_co_u32 v7, vcc_lo, s6, v7
	s_wait_alu 0xfffd
	v_add_co_ci_u32_e64 v8, null, s7, v8, vcc_lo
	v_readfirstlane_b32 s5, v4
	global_load_b32 v0, v[7:8], off
	s_wait_kmcnt 0x0
	v_max_num_f32_e64 v4, s10, s10
	s_delay_alu instid0(VALU_DEP_1) | instskip(SKIP_1) | instid1(SALU_CYCLE_3)
	v_readfirstlane_b32 s9, v4
	s_max_num_f32 s5, s5, s9
	s_sub_f32 s0, s0, s5
	s_sub_f32 s9, s10, s5
	s_wait_alu 0xfffe
	s_delay_alu instid0(SALU_CYCLE_1) | instskip(NEXT) | instid1(SALU_CYCLE_1)
	s_mul_f32 s10, s0, 0x3fb8aa3b
	s_mul_f32 s12, s9, 0x3fb8aa3b
	s_wait_alu 0xfffe
	s_delay_alu instid0(SALU_CYCLE_1)
	s_xor_b32 s13, s10, 0x80000000
	s_rndne_f32 s14, s10
	s_fmamk_f32 s13, s0, 0x3fb8aa3b, s13
	s_cmp_nlt_f32 s0, 0xc2ce8ed0
	s_rndne_f32 s15, s12
	s_wait_alu 0xfffe
	s_sub_f32 s10, s10, s14
	s_fmamk_f32 s13, s0, 0x32a5705f, s13
	s_cvt_i32_f32 s14, s14
	s_cselect_b32 vcc_lo, -1, 0
	s_cmp_ngt_f32 s0, 0x42b17218
	s_wait_alu 0xfffe
	s_add_f32 s10, s10, s13
	s_sub_f32 s13, s12, s15
	s_wait_alu 0xfffe
	s_delay_alu instid0(SALU_CYCLE_1) | instskip(SKIP_1) | instid1(TRANS32_DEP_1)
	v_s_exp_f32 s10, s10
	s_wait_alu 0xf1ff
	v_ldexp_f32 v4, s10, s14
	s_cvt_i32_f32 s10, s15
	s_delay_alu instid0(VALU_DEP_1) | instskip(SKIP_3) | instid1(VALU_DEP_1)
	v_cndmask_b32_e32 v4, 0, v4, vcc_lo
	s_cselect_b32 vcc_lo, -1, 0
	s_cmp_ge_f32 s0, 0xc1a00000
	s_wait_alu 0xfffe
	v_cndmask_b32_e32 v4, 0x7f800000, v4, vcc_lo
	s_cselect_b32 vcc_lo, -1, 0
	s_xor_b32 s0, s12, 0x80000000
	s_cmp_nlt_f32 s9, 0xc2ce8ed0
	s_wait_alu 0xfffe
	s_fmamk_f32 s0, s9, 0x3fb8aa3b, s0
	s_wait_alu 0xfffe
	s_delay_alu instid0(SALU_CYCLE_2) | instskip(SKIP_1) | instid1(SALU_CYCLE_2)
	s_fmamk_f32 s0, s9, 0x32a5705f, s0
	s_wait_alu 0xfffe
	s_add_f32 s0, s13, s0
	s_wait_alu 0xfffe
	s_delay_alu instid0(SALU_CYCLE_2) | instskip(SKIP_1) | instid1(TRANS32_DEP_1)
	v_s_exp_f32 s0, s0
	s_wait_alu 0xf1ff
	v_ldexp_f32 v7, s0, s10
	s_cselect_b32 s0, -1, 0
	s_cmp_ngt_f32 s9, 0x42b17218
	s_wait_alu 0xfffe
	s_delay_alu instid0(VALU_DEP_1) | instskip(SKIP_3) | instid1(VALU_DEP_1)
	v_cndmask_b32_e64 v7, 0, v7, s0
	s_cselect_b32 s0, -1, 0
	s_cmp_ge_f32 s9, 0xc1a00000
	s_wait_alu 0xfffe
	v_cndmask_b32_e64 v7, 0x7f800000, v7, s0
	s_cselect_b32 s0, -1, 0
	s_add_co_i32 s1, s1, -1
	s_sub_co_i32 s4, s4, 64
	s_wait_alu 0xfffe
	s_cmp_le_i32 s1, s8
	v_cndmask_b32_e64 v7, 0, v7, s0
	s_mov_b32 s0, s5
	s_wait_loadcnt 0x0
	s_delay_alu instid0(VALU_DEP_1) | instskip(NEXT) | instid1(VALU_DEP_1)
	v_dual_mul_f32 v5, v0, v7 :: v_dual_cndmask_b32 v4, 0, v4
	v_dual_mul_f32 v8, s11, v7 :: v_dual_fmac_f32 v5, v9, v4
	s_delay_alu instid0(VALU_DEP_1) | instskip(NEXT) | instid1(VALU_DEP_1)
	v_mov_b32_e32 v6, v8
	v_fmac_f32_e32 v6, v10, v4
	s_cbranch_scc0 .LBB54_3
	s_branch .LBB54_5
.LBB54_4:
	s_wait_kmcnt 0x0
	v_mov_b32_e32 v6, s10
.LBB54_5:
	s_wait_loadcnt 0x0
	s_delay_alu instid0(VALU_DEP_1) | instskip(NEXT) | instid1(VALU_DEP_1)
	v_div_scale_f32 v0, null, v6, v6, v5
	v_rcp_f32_e32 v3, v0
	s_delay_alu instid0(TRANS32_DEP_1) | instskip(NEXT) | instid1(VALU_DEP_1)
	v_fma_f32 v4, -v0, v3, 1.0
	v_fmac_f32_e32 v3, v4, v3
	v_div_scale_f32 v4, vcc_lo, v5, v6, v5
	s_delay_alu instid0(VALU_DEP_1) | instskip(NEXT) | instid1(VALU_DEP_1)
	v_mul_f32_e32 v7, v4, v3
	v_fma_f32 v8, -v0, v7, v4
	s_delay_alu instid0(VALU_DEP_1) | instskip(NEXT) | instid1(VALU_DEP_1)
	v_fmac_f32_e32 v7, v8, v3
	v_fma_f32 v0, -v0, v7, v4
	s_wait_alu 0xfffd
	s_delay_alu instid0(VALU_DEP_1) | instskip(NEXT) | instid1(VALU_DEP_1)
	v_div_fmas_f32 v0, v0, v3, v7
	v_div_fixup_f32 v0, v0, v6, v5
	global_store_b32 v[1:2], v0, off
.LBB54_6:
	s_endpgm
	.section	.rodata,"a",@progbits
	.p2align	6, 0x0
	.amdhsa_kernel _ZL33flash_attn_stream_k_fixup_uniformILi64ELi64ELi1EEvPfPK15HIP_vector_typeIfLj2EEiiiiiiS1_IjLj3EES5_S5_
		.amdhsa_group_segment_fixed_size 0
		.amdhsa_private_segment_fixed_size 0
		.amdhsa_kernarg_size 76
		.amdhsa_user_sgpr_count 2
		.amdhsa_user_sgpr_dispatch_ptr 0
		.amdhsa_user_sgpr_queue_ptr 0
		.amdhsa_user_sgpr_kernarg_segment_ptr 1
		.amdhsa_user_sgpr_dispatch_id 0
		.amdhsa_user_sgpr_private_segment_size 0
		.amdhsa_wavefront_size32 1
		.amdhsa_uses_dynamic_stack 0
		.amdhsa_enable_private_segment 0
		.amdhsa_system_sgpr_workgroup_id_x 1
		.amdhsa_system_sgpr_workgroup_id_y 1
		.amdhsa_system_sgpr_workgroup_id_z 1
		.amdhsa_system_sgpr_workgroup_info 0
		.amdhsa_system_vgpr_workitem_id 0
		.amdhsa_next_free_vgpr 11
		.amdhsa_next_free_sgpr 16
		.amdhsa_reserve_vcc 1
		.amdhsa_float_round_mode_32 0
		.amdhsa_float_round_mode_16_64 0
		.amdhsa_float_denorm_mode_32 3
		.amdhsa_float_denorm_mode_16_64 3
		.amdhsa_fp16_overflow 0
		.amdhsa_workgroup_processor_mode 1
		.amdhsa_memory_ordered 1
		.amdhsa_forward_progress 1
		.amdhsa_inst_pref_size 9
		.amdhsa_round_robin_scheduling 0
		.amdhsa_exception_fp_ieee_invalid_op 0
		.amdhsa_exception_fp_denorm_src 0
		.amdhsa_exception_fp_ieee_div_zero 0
		.amdhsa_exception_fp_ieee_overflow 0
		.amdhsa_exception_fp_ieee_underflow 0
		.amdhsa_exception_fp_ieee_inexact 0
		.amdhsa_exception_int_div_zero 0
	.end_amdhsa_kernel
	.section	.text._ZL33flash_attn_stream_k_fixup_uniformILi64ELi64ELi1EEvPfPK15HIP_vector_typeIfLj2EEiiiiiiS1_IjLj3EES5_S5_,"axG",@progbits,_ZL33flash_attn_stream_k_fixup_uniformILi64ELi64ELi1EEvPfPK15HIP_vector_typeIfLj2EEiiiiiiS1_IjLj3EES5_S5_,comdat
.Lfunc_end54:
	.size	_ZL33flash_attn_stream_k_fixup_uniformILi64ELi64ELi1EEvPfPK15HIP_vector_typeIfLj2EEiiiiiiS1_IjLj3EES5_S5_, .Lfunc_end54-_ZL33flash_attn_stream_k_fixup_uniformILi64ELi64ELi1EEvPfPK15HIP_vector_typeIfLj2EEiiiiiiS1_IjLj3EES5_S5_
                                        ; -- End function
	.set _ZL33flash_attn_stream_k_fixup_uniformILi64ELi64ELi1EEvPfPK15HIP_vector_typeIfLj2EEiiiiiiS1_IjLj3EES5_S5_.num_vgpr, 11
	.set _ZL33flash_attn_stream_k_fixup_uniformILi64ELi64ELi1EEvPfPK15HIP_vector_typeIfLj2EEiiiiiiS1_IjLj3EES5_S5_.num_agpr, 0
	.set _ZL33flash_attn_stream_k_fixup_uniformILi64ELi64ELi1EEvPfPK15HIP_vector_typeIfLj2EEiiiiiiS1_IjLj3EES5_S5_.numbered_sgpr, 16
	.set _ZL33flash_attn_stream_k_fixup_uniformILi64ELi64ELi1EEvPfPK15HIP_vector_typeIfLj2EEiiiiiiS1_IjLj3EES5_S5_.num_named_barrier, 0
	.set _ZL33flash_attn_stream_k_fixup_uniformILi64ELi64ELi1EEvPfPK15HIP_vector_typeIfLj2EEiiiiiiS1_IjLj3EES5_S5_.private_seg_size, 0
	.set _ZL33flash_attn_stream_k_fixup_uniformILi64ELi64ELi1EEvPfPK15HIP_vector_typeIfLj2EEiiiiiiS1_IjLj3EES5_S5_.uses_vcc, 1
	.set _ZL33flash_attn_stream_k_fixup_uniformILi64ELi64ELi1EEvPfPK15HIP_vector_typeIfLj2EEiiiiiiS1_IjLj3EES5_S5_.uses_flat_scratch, 0
	.set _ZL33flash_attn_stream_k_fixup_uniformILi64ELi64ELi1EEvPfPK15HIP_vector_typeIfLj2EEiiiiiiS1_IjLj3EES5_S5_.has_dyn_sized_stack, 0
	.set _ZL33flash_attn_stream_k_fixup_uniformILi64ELi64ELi1EEvPfPK15HIP_vector_typeIfLj2EEiiiiiiS1_IjLj3EES5_S5_.has_recursion, 0
	.set _ZL33flash_attn_stream_k_fixup_uniformILi64ELi64ELi1EEvPfPK15HIP_vector_typeIfLj2EEiiiiiiS1_IjLj3EES5_S5_.has_indirect_call, 0
	.section	.AMDGPU.csdata,"",@progbits
; Kernel info:
; codeLenInByte = 1120
; TotalNumSgprs: 18
; NumVgprs: 11
; ScratchSize: 0
; MemoryBound: 0
; FloatMode: 240
; IeeeMode: 1
; LDSByteSize: 0 bytes/workgroup (compile time only)
; SGPRBlocks: 0
; VGPRBlocks: 1
; NumSGPRsForWavesPerEU: 18
; NumVGPRsForWavesPerEU: 11
; Occupancy: 16
; WaveLimiterHint : 0
; COMPUTE_PGM_RSRC2:SCRATCH_EN: 0
; COMPUTE_PGM_RSRC2:USER_SGPR: 2
; COMPUTE_PGM_RSRC2:TRAP_HANDLER: 0
; COMPUTE_PGM_RSRC2:TGID_X_EN: 1
; COMPUTE_PGM_RSRC2:TGID_Y_EN: 1
; COMPUTE_PGM_RSRC2:TGID_Z_EN: 1
; COMPUTE_PGM_RSRC2:TIDIG_COMP_CNT: 0
	.section	.text._ZL33flash_attn_stream_k_fixup_generalILi64ELi64ELi1EEvPfPK15HIP_vector_typeIfLj2EEiiiiS1_IjLj3EES5_S5_S5_,"axG",@progbits,_ZL33flash_attn_stream_k_fixup_generalILi64ELi64ELi1EEvPfPK15HIP_vector_typeIfLj2EEiiiiS1_IjLj3EES5_S5_S5_,comdat
	.globl	_ZL33flash_attn_stream_k_fixup_generalILi64ELi64ELi1EEvPfPK15HIP_vector_typeIfLj2EEiiiiS1_IjLj3EES5_S5_S5_ ; -- Begin function _ZL33flash_attn_stream_k_fixup_generalILi64ELi64ELi1EEvPfPK15HIP_vector_typeIfLj2EEiiiiS1_IjLj3EES5_S5_S5_
	.p2align	8
	.type	_ZL33flash_attn_stream_k_fixup_generalILi64ELi64ELi1EEvPfPK15HIP_vector_typeIfLj2EEiiiiS1_IjLj3EES5_S5_S5_,@function
_ZL33flash_attn_stream_k_fixup_generalILi64ELi64ELi1EEvPfPK15HIP_vector_typeIfLj2EEiiiiS1_IjLj3EES5_S5_S5_: ; @_ZL33flash_attn_stream_k_fixup_generalILi64ELi64ELi1EEvPfPK15HIP_vector_typeIfLj2EEiiiiS1_IjLj3EES5_S5_S5_
; %bb.0:
	s_clause 0x1
	s_load_b128 s[4:7], s[0:1], 0x10
	s_load_b32 s16, s[0:1], 0x50
	s_mov_b32 s2, ttmp9
	s_ashr_i32 s3, ttmp9, 31
	s_mov_b32 s17, 0
	s_delay_alu instid0(SALU_CYCLE_1) | instskip(SKIP_3) | instid1(SALU_CYCLE_1)
	s_mov_b32 s8, s17
	s_wait_kmcnt 0x0
	s_ashr_i32 s19, s7, 31
	s_mov_b32 s18, s7
	s_mul_u64 s[2:3], s[18:19], s[2:3]
	s_delay_alu instid0(SALU_CYCLE_1) | instskip(NEXT) | instid1(SALU_CYCLE_1)
	s_mov_b32 s9, s3
	s_cmp_lg_u64 s[8:9], 0
	s_cbranch_scc0 .LBB55_21
; %bb.1:
	s_add_nc_u64 s[8:9], s[16:17], 0
	s_mov_b32 s15, s17
	s_xor_b64 s[8:9], s[8:9], 0
	s_mov_b32 s23, s17
	s_cvt_f32_u32 s7, s8
	s_cvt_f32_u32 s10, s9
	s_sub_nc_u64 s[12:13], 0, s[8:9]
	s_delay_alu instid0(SALU_CYCLE_2) | instskip(NEXT) | instid1(SALU_CYCLE_3)
	s_fmamk_f32 s7, s10, 0x4f800000, s7
	v_s_rcp_f32 s7, s7
	s_delay_alu instid0(TRANS32_DEP_1) | instskip(SKIP_1) | instid1(SALU_CYCLE_2)
	s_mul_f32 s7, s7, 0x5f7ffffc
	s_wait_alu 0xfffe
	s_mul_f32 s10, s7, 0x2f800000
	s_delay_alu instid0(SALU_CYCLE_3) | instskip(NEXT) | instid1(SALU_CYCLE_3)
	s_trunc_f32 s10, s10
	s_fmamk_f32 s7, s10, 0xcf800000, s7
	s_cvt_u32_f32 s11, s10
	s_wait_alu 0xfffe
	s_delay_alu instid0(SALU_CYCLE_1) | instskip(NEXT) | instid1(SALU_CYCLE_3)
	s_cvt_u32_f32 s10, s7
	s_mul_u64 s[20:21], s[12:13], s[10:11]
	s_delay_alu instid0(SALU_CYCLE_1)
	s_mul_hi_u32 s25, s10, s21
	s_mul_i32 s24, s10, s21
	s_mul_hi_u32 s14, s10, s20
	s_mul_i32 s22, s11, s20
	s_add_nc_u64 s[14:15], s[14:15], s[24:25]
	s_mul_hi_u32 s7, s11, s20
	s_mul_hi_u32 s26, s11, s21
	s_add_co_u32 s14, s14, s22
	s_wait_alu 0xfffe
	s_add_co_ci_u32 s22, s15, s7
	s_mul_i32 s20, s11, s21
	s_add_co_ci_u32 s21, s26, 0
	s_delay_alu instid0(SALU_CYCLE_1)
	s_add_nc_u64 s[14:15], s[22:23], s[20:21]
	s_mov_b32 s21, s17
	s_add_co_u32 s10, s10, s14
	s_cselect_b32 s7, -1, 0
	s_wait_alu 0xfffe
	s_cmp_lg_u32 s7, 0
	s_add_co_ci_u32 s11, s11, s15
	s_mov_b32 s15, s17
	s_mul_u64 s[12:13], s[12:13], s[10:11]
	s_delay_alu instid0(SALU_CYCLE_1)
	s_mul_hi_u32 s23, s10, s13
	s_mul_i32 s22, s10, s13
	s_mul_hi_u32 s14, s10, s12
	s_mul_i32 s20, s11, s12
	s_add_nc_u64 s[14:15], s[14:15], s[22:23]
	s_mul_hi_u32 s7, s11, s12
	s_mul_hi_u32 s24, s11, s13
	s_mul_i32 s12, s11, s13
	s_add_co_u32 s13, s14, s20
	s_wait_alu 0xfffe
	s_add_co_ci_u32 s20, s15, s7
	s_add_co_ci_u32 s13, s24, 0
	s_mov_b32 s15, s17
	s_add_nc_u64 s[12:13], s[20:21], s[12:13]
	s_delay_alu instid0(SALU_CYCLE_1) | instskip(SKIP_1) | instid1(SALU_CYCLE_1)
	s_add_co_u32 s7, s10, s12
	s_cselect_b32 s10, -1, 0
	s_cmp_lg_u32 s10, 0
	s_add_co_ci_u32 s20, s11, s13
	s_ashr_i32 s10, s3, 31
	s_delay_alu instid0(SALU_CYCLE_1) | instskip(NEXT) | instid1(SALU_CYCLE_1)
	s_mov_b32 s11, s10
	s_add_nc_u64 s[12:13], s[2:3], s[10:11]
	s_delay_alu instid0(SALU_CYCLE_1) | instskip(NEXT) | instid1(SALU_CYCLE_1)
	s_xor_b64 s[12:13], s[12:13], s[10:11]
	s_mul_hi_u32 s23, s12, s20
	s_mul_i32 s22, s12, s20
	s_wait_alu 0xfffe
	s_mul_hi_u32 s14, s12, s7
	s_mul_hi_u32 s24, s13, s7
	s_mul_i32 s7, s13, s7
	s_add_nc_u64 s[14:15], s[14:15], s[22:23]
	s_mul_hi_u32 s3, s13, s20
	s_wait_alu 0xfffe
	s_add_co_u32 s7, s14, s7
	s_mul_i32 s22, s13, s20
	s_add_co_ci_u32 s20, s15, s24
	s_add_co_ci_u32 s23, s3, 0
	s_delay_alu instid0(SALU_CYCLE_1) | instskip(NEXT) | instid1(SALU_CYCLE_1)
	s_add_nc_u64 s[14:15], s[20:21], s[22:23]
	s_mul_u64 s[20:21], s[8:9], s[14:15]
	s_delay_alu instid0(SALU_CYCLE_1)
	s_sub_co_u32 s3, s12, s20
	s_cselect_b32 s7, -1, 0
	s_sub_co_i32 s12, s13, s21
	s_wait_alu 0xfffe
	s_cmp_lg_u32 s7, 0
	s_sub_co_ci_u32 s12, s12, s9
	s_sub_co_u32 s20, s3, s8
	s_cselect_b32 s22, -1, 0
	s_delay_alu instid0(SALU_CYCLE_1) | instskip(SKIP_2) | instid1(SALU_CYCLE_1)
	s_cmp_lg_u32 s22, 0
	s_add_nc_u64 s[22:23], s[14:15], 1
	s_sub_co_ci_u32 s12, s12, 0
	s_cmp_ge_u32 s12, s9
	s_cselect_b32 s24, -1, 0
	s_cmp_ge_u32 s20, s8
	s_cselect_b32 s20, -1, 0
	s_cmp_eq_u32 s12, s9
	s_cselect_b32 s12, s20, s24
	s_add_nc_u64 s[24:25], s[14:15], 2
	s_cmp_lg_u32 s12, 0
	s_cselect_b32 s12, s24, s22
	s_cselect_b32 s20, s25, s23
	s_cmp_lg_u32 s7, 0
	s_sub_co_ci_u32 s7, s13, s21
	s_wait_alu 0xfffe
	s_cmp_ge_u32 s7, s9
	s_cselect_b32 s13, -1, 0
	s_cmp_ge_u32 s3, s8
	s_cselect_b32 s3, -1, 0
	s_cmp_eq_u32 s7, s9
	s_cselect_b32 s3, s3, s13
	s_delay_alu instid0(SALU_CYCLE_1) | instskip(SKIP_4) | instid1(SALU_CYCLE_1)
	s_cmp_lg_u32 s3, 0
	s_mov_b32 s3, s17
	s_cselect_b32 s9, s20, s15
	s_cselect_b32 s8, s12, s14
	s_xor_b64 s[10:11], s[10:11], 0
	s_xor_b64 s[8:9], s[8:9], s[10:11]
	s_delay_alu instid0(SALU_CYCLE_1)
	s_sub_nc_u64 s[20:21], s[8:9], s[10:11]
	s_and_not1_b32 vcc_lo, exec_lo, s3
	s_cbranch_vccnz .LBB55_3
.LBB55_2:
	v_cvt_f32_u32_e32 v1, s16
	s_sub_co_i32 s7, 0, s16
	s_delay_alu instid0(VALU_DEP_1) | instskip(NEXT) | instid1(TRANS32_DEP_1)
	v_rcp_iflag_f32_e32 v1, v1
	v_mul_f32_e32 v1, 0x4f7ffffe, v1
	s_delay_alu instid0(VALU_DEP_1) | instskip(NEXT) | instid1(VALU_DEP_1)
	v_cvt_u32_f32_e32 v1, v1
	v_readfirstlane_b32 s3, v1
	s_wait_alu 0xfffe
	s_mul_i32 s7, s7, s3
	s_wait_alu 0xfffe
	s_mul_hi_u32 s7, s3, s7
	s_wait_alu 0xfffe
	s_add_co_i32 s3, s3, s7
	s_delay_alu instid0(SALU_CYCLE_1) | instskip(NEXT) | instid1(SALU_CYCLE_1)
	s_mul_hi_u32 s3, s2, s3
	s_mul_i32 s7, s3, s16
	s_wait_alu 0xfffe
	s_sub_co_i32 s2, s2, s7
	s_add_co_i32 s7, s3, 1
	s_sub_co_i32 s8, s2, s16
	s_cmp_ge_u32 s2, s16
	s_wait_alu 0xfffe
	s_cselect_b32 s3, s7, s3
	s_cselect_b32 s2, s8, s2
	s_add_co_i32 s7, s3, 1
	s_cmp_ge_u32 s2, s16
	s_wait_alu 0xfffe
	s_cselect_b32 s20, s7, s3
.LBB55_3:
	s_add_co_i32 s2, ttmp9, 1
	s_mov_b32 s8, 0
	s_ashr_i32 s3, s2, 31
	s_delay_alu instid0(SALU_CYCLE_1) | instskip(NEXT) | instid1(SALU_CYCLE_1)
	s_mul_u64 s[2:3], s[18:19], s[2:3]
	s_mov_b32 s9, s3
	s_delay_alu instid0(SALU_CYCLE_1)
	s_cmp_lg_u64 s[8:9], 0
	s_cbranch_scc0 .LBB55_22
; %bb.4:
	s_add_nc_u64 s[10:11], s[16:17], 0
	s_mov_b32 s23, s8
	s_xor_b64 s[10:11], s[10:11], 0
	s_mov_b32 s27, s8
	s_cvt_f32_u32 s7, s10
	s_cvt_f32_u32 s9, s11
	s_sub_nc_u64 s[14:15], 0, s[10:11]
	s_wait_alu 0xfffe
	s_delay_alu instid0(SALU_CYCLE_1) | instskip(SKIP_1) | instid1(SALU_CYCLE_2)
	s_fmamk_f32 s7, s9, 0x4f800000, s7
	s_wait_alu 0xfffe
	v_s_rcp_f32 s7, s7
	s_delay_alu instid0(TRANS32_DEP_1) | instskip(SKIP_1) | instid1(SALU_CYCLE_2)
	s_mul_f32 s7, s7, 0x5f7ffffc
	s_wait_alu 0xfffe
	s_mul_f32 s9, s7, 0x2f800000
	s_delay_alu instid0(SALU_CYCLE_3) | instskip(NEXT) | instid1(SALU_CYCLE_3)
	s_trunc_f32 s9, s9
	s_fmamk_f32 s7, s9, 0xcf800000, s7
	s_cvt_u32_f32 s13, s9
	s_wait_alu 0xfffe
	s_delay_alu instid0(SALU_CYCLE_1) | instskip(NEXT) | instid1(SALU_CYCLE_3)
	s_cvt_u32_f32 s12, s7
	s_mul_u64 s[24:25], s[14:15], s[12:13]
	s_delay_alu instid0(SALU_CYCLE_1)
	s_mul_hi_u32 s29, s12, s25
	s_mul_i32 s28, s12, s25
	s_mul_hi_u32 s22, s12, s24
	s_mul_i32 s9, s13, s24
	s_add_nc_u64 s[22:23], s[22:23], s[28:29]
	s_mul_hi_u32 s7, s13, s24
	s_mul_hi_u32 s21, s13, s25
	s_add_co_u32 s9, s22, s9
	s_wait_alu 0xfffe
	s_add_co_ci_u32 s26, s23, s7
	s_mul_i32 s24, s13, s25
	s_add_co_ci_u32 s25, s21, 0
	s_delay_alu instid0(SALU_CYCLE_1)
	s_add_nc_u64 s[22:23], s[26:27], s[24:25]
	s_mov_b32 s25, s8
	s_add_co_u32 s12, s12, s22
	s_cselect_b32 s7, -1, 0
	s_wait_alu 0xfffe
	s_cmp_lg_u32 s7, 0
	s_add_co_ci_u32 s13, s13, s23
	s_mov_b32 s23, s8
	s_mul_u64 s[14:15], s[14:15], s[12:13]
	s_delay_alu instid0(SALU_CYCLE_1)
	s_mul_hi_u32 s27, s12, s15
	s_mul_i32 s26, s12, s15
	s_mul_hi_u32 s22, s12, s14
	s_mul_i32 s9, s13, s14
	s_add_nc_u64 s[22:23], s[22:23], s[26:27]
	s_mul_hi_u32 s7, s13, s14
	s_mul_hi_u32 s21, s13, s15
	s_add_co_u32 s9, s22, s9
	s_wait_alu 0xfffe
	s_add_co_ci_u32 s24, s23, s7
	s_mul_i32 s14, s13, s15
	s_add_co_ci_u32 s15, s21, 0
	s_mov_b32 s23, s8
	s_add_nc_u64 s[14:15], s[24:25], s[14:15]
	s_delay_alu instid0(SALU_CYCLE_1) | instskip(SKIP_1) | instid1(SALU_CYCLE_1)
	s_add_co_u32 s7, s12, s14
	s_cselect_b32 s9, -1, 0
	s_cmp_lg_u32 s9, 0
	s_add_co_ci_u32 s9, s13, s15
	s_ashr_i32 s12, s3, 31
	s_delay_alu instid0(SALU_CYCLE_1) | instskip(NEXT) | instid1(SALU_CYCLE_1)
	s_mov_b32 s13, s12
	s_add_nc_u64 s[14:15], s[2:3], s[12:13]
	s_delay_alu instid0(SALU_CYCLE_1) | instskip(NEXT) | instid1(SALU_CYCLE_1)
	s_xor_b64 s[14:15], s[14:15], s[12:13]
	s_mul_hi_u32 s27, s14, s9
	s_mul_i32 s26, s14, s9
	s_wait_alu 0xfffe
	s_mul_hi_u32 s22, s14, s7
	s_mul_hi_u32 s21, s15, s7
	s_mul_i32 s7, s15, s7
	s_add_nc_u64 s[22:23], s[22:23], s[26:27]
	s_mul_hi_u32 s3, s15, s9
	s_wait_alu 0xfffe
	s_add_co_u32 s7, s22, s7
	s_add_co_ci_u32 s24, s23, s21
	s_mul_i32 s26, s15, s9
	s_add_co_ci_u32 s27, s3, 0
	s_delay_alu instid0(SALU_CYCLE_1) | instskip(NEXT) | instid1(SALU_CYCLE_1)
	s_add_nc_u64 s[22:23], s[24:25], s[26:27]
	s_mul_u64 s[24:25], s[10:11], s[22:23]
	s_add_nc_u64 s[26:27], s[22:23], 1
	s_sub_co_u32 s3, s14, s24
	s_cselect_b32 s7, -1, 0
	s_sub_co_i32 s9, s15, s25
	s_wait_alu 0xfffe
	s_cmp_lg_u32 s7, 0
	s_add_nc_u64 s[28:29], s[22:23], 2
	s_sub_co_ci_u32 s9, s9, s11
	s_sub_co_u32 s14, s3, s10
	s_cselect_b32 s21, -1, 0
	s_delay_alu instid0(SALU_CYCLE_1) | instskip(SKIP_1) | instid1(SALU_CYCLE_1)
	s_cmp_lg_u32 s21, 0
	s_sub_co_ci_u32 s9, s9, 0
	s_cmp_ge_u32 s9, s11
	s_cselect_b32 s21, -1, 0
	s_cmp_ge_u32 s14, s10
	s_cselect_b32 s14, -1, 0
	s_cmp_eq_u32 s9, s11
	s_cselect_b32 s9, s14, s21
	s_delay_alu instid0(SALU_CYCLE_1)
	s_cmp_lg_u32 s9, 0
	s_cselect_b32 s9, s28, s26
	s_cselect_b32 s14, s29, s27
	s_cmp_lg_u32 s7, 0
	s_sub_co_ci_u32 s7, s15, s25
	s_wait_alu 0xfffe
	s_cmp_ge_u32 s7, s11
	s_cselect_b32 s15, -1, 0
	s_cmp_ge_u32 s3, s10
	s_cselect_b32 s3, -1, 0
	s_cmp_eq_u32 s7, s11
	s_cselect_b32 s3, s3, s15
	s_delay_alu instid0(SALU_CYCLE_1) | instskip(SKIP_3) | instid1(SALU_CYCLE_1)
	s_cmp_lg_u32 s3, 0
	s_cselect_b32 s11, s14, s23
	s_cselect_b32 s10, s9, s22
	s_xor_b64 s[12:13], s[12:13], 0
	s_xor_b64 s[10:11], s[10:11], s[12:13]
	s_delay_alu instid0(SALU_CYCLE_1)
	s_sub_nc_u64 s[10:11], s[10:11], s[12:13]
	s_load_b96 s[12:14], s[0:1], 0x44
	s_and_not1_b32 vcc_lo, exec_lo, s8
	s_cbranch_vccnz .LBB55_6
.LBB55_5:
	v_cvt_f32_u32_e32 v1, s16
	s_sub_co_i32 s7, 0, s16
	s_delay_alu instid0(VALU_DEP_1) | instskip(NEXT) | instid1(TRANS32_DEP_1)
	v_rcp_iflag_f32_e32 v1, v1
	v_mul_f32_e32 v1, 0x4f7ffffe, v1
	s_delay_alu instid0(VALU_DEP_1) | instskip(NEXT) | instid1(VALU_DEP_1)
	v_cvt_u32_f32_e32 v1, v1
	v_readfirstlane_b32 s3, v1
	s_wait_alu 0xfffe
	s_mul_i32 s7, s7, s3
	s_wait_alu 0xfffe
	s_mul_hi_u32 s7, s3, s7
	s_wait_alu 0xfffe
	s_add_co_i32 s3, s3, s7
	s_delay_alu instid0(SALU_CYCLE_1) | instskip(NEXT) | instid1(SALU_CYCLE_1)
	s_mul_hi_u32 s3, s2, s3
	s_mul_i32 s7, s3, s16
	s_wait_alu 0xfffe
	s_sub_co_i32 s2, s2, s7
	s_add_co_i32 s7, s3, 1
	s_sub_co_i32 s8, s2, s16
	s_cmp_ge_u32 s2, s16
	s_wait_alu 0xfffe
	s_cselect_b32 s3, s7, s3
	s_cselect_b32 s2, s8, s2
	s_add_co_i32 s7, s3, 1
	s_cmp_ge_u32 s2, s16
	s_wait_alu 0xfffe
	s_cselect_b32 s10, s7, s3
.LBB55_6:
	s_mov_b32 s21, 0
	s_wait_kmcnt 0x0
	s_mov_b32 s22, s12
	s_mov_b32 s23, s21
	s_cmp_eq_u32 s20, s10
	s_mul_u64 s[2:3], s[20:21], s[22:23]
	s_cselect_b32 s7, -1, 0
	s_add_co_i32 s2, s3, s20
	s_mov_b32 s11, s21
	s_lshr_b32 s12, s2, s13
	s_mul_u64 s[2:3], s[10:11], s[22:23]
	s_mul_i32 s2, s12, s14
	s_delay_alu instid0(SALU_CYCLE_1) | instskip(SKIP_2) | instid1(SALU_CYCLE_1)
	s_cmp_eq_u32 s2, s20
	s_cselect_b32 s2, -1, 0
	s_add_co_i32 s3, s3, s10
	s_lshr_b32 s3, s3, s13
	s_delay_alu instid0(SALU_CYCLE_1)
	s_cmp_eq_u32 s12, s3
	s_mul_i32 s3, s3, s14
	s_cselect_b32 s8, -1, 0
	s_cmp_lg_u32 s3, s10
	s_cselect_b32 s3, -1, 0
	s_wait_alu 0xfffe
	s_or_b32 s2, s7, s2
	s_and_b32 s3, s8, s3
	s_delay_alu instid0(SALU_CYCLE_1) | instskip(NEXT) | instid1(SALU_CYCLE_1)
	s_or_b32 s2, s2, s3
	s_and_b32 vcc_lo, exec_lo, s2
	s_cbranch_vccnz .LBB55_24
; %bb.7:
	s_load_b256 s[24:31], s[0:1], 0x20
	s_mov_b32 s3, s21
	s_and_b32 s15, ttmp7, 0xffff
	s_wait_kmcnt 0x0
	s_mov_b32 s2, s24
	s_delay_alu instid0(SALU_CYCLE_1) | instskip(NEXT) | instid1(SALU_CYCLE_1)
	s_mul_u64 s[2:3], s[20:21], s[2:3]
	s_add_co_i32 s2, s3, s20
	s_delay_alu instid0(SALU_CYCLE_1) | instskip(SKIP_4) | instid1(SALU_CYCLE_1)
	s_lshr_b32 s3, s2, s25
	s_load_b32 s2, s[0:1], 0x40
	s_mul_i32 s7, s3, s26
	s_wait_alu 0xfffe
	s_sub_co_i32 s8, s20, s7
	s_mul_hi_u32 s7, s8, s27
	s_wait_alu 0xfffe
	s_add_co_i32 s7, s8, s7
	s_wait_alu 0xfffe
	s_lshr_b32 s7, s7, s28
	s_wait_alu 0xfffe
	s_mul_i32 s9, s7, s29
	s_delay_alu instid0(SALU_CYCLE_1) | instskip(NEXT) | instid1(SALU_CYCLE_1)
	s_sub_co_i32 s8, s8, s9
	s_mul_hi_u32 s9, s8, s30
	s_delay_alu instid0(SALU_CYCLE_1) | instskip(NEXT) | instid1(SALU_CYCLE_1)
	s_add_co_i32 s9, s8, s9
	s_lshr_b32 s24, s9, s31
	s_mov_b32 s9, s21
	s_wait_kmcnt 0x0
	s_mul_i32 s2, s24, s2
	s_delay_alu instid0(SALU_CYCLE_1) | instskip(NEXT) | instid1(SALU_CYCLE_1)
	s_sub_co_i32 s8, s8, s2
	s_mul_u64 s[10:11], s[8:9], s[22:23]
	s_delay_alu instid0(SALU_CYCLE_1) | instskip(NEXT) | instid1(SALU_CYCLE_1)
	s_add_co_i32 s2, s8, s11
	s_lshr_b32 s21, s2, s13
	s_delay_alu instid0(SALU_CYCLE_1) | instskip(NEXT) | instid1(SALU_CYCLE_1)
	s_lshl_b32 s2, s21, 6
	s_add_co_i32 s8, s2, s15
	s_lshr_b32 s2, ttmp7, 16
	s_cmp_lt_i32 s8, s4
	s_cselect_b32 s8, -1, 0
	s_add_co_i32 s9, s24, s2
	s_delay_alu instid0(SALU_CYCLE_1) | instskip(SKIP_1) | instid1(SALU_CYCLE_1)
	s_cmp_lt_i32 s9, s6
	s_cselect_b32 s9, -1, 0
	s_and_b32 s8, s8, s9
	s_delay_alu instid0(SALU_CYCLE_1)
	s_and_not1_b32 vcc_lo, exec_lo, s8
	s_cbranch_vccnz .LBB55_24
; %bb.8:
	s_mul_i32 s3, s3, s4
	s_mul_i32 s7, s7, s6
	s_add_co_i32 s3, s3, s15
	s_load_b128 s[8:11], s[0:1], 0x0
	s_mul_i32 s3, s3, s5
	s_mul_i32 s1, s5, s21
	s_add_co_i32 s3, s3, s2
	s_lshl_b32 s1, s1, 12
	s_add_co_i32 s0, s3, s7
	s_add_co_i32 s15, s15, s2
	;; [unrolled: 1-line block ×3, first 2 shown]
	v_cvt_f32_u32_e32 v4, s16
	s_lshl_b32 s0, s0, 6
	s_add_co_i32 s34, ttmp9, -1
	s_add_co_i32 s1, s1, s0
	s_delay_alu instid0(VALU_DEP_1)
	v_rcp_iflag_f32_e32 v4, v4
	v_or_b32_e32 v1, s1, v0
	s_add_nc_u64 s[0:1], s[16:17], 0
	v_lshl_or_b32 v0, s15, 6, v0
	s_wait_alu 0xfffe
	s_xor_b64 s[6:7], s[0:1], 0
	s_lshl_b32 s0, ttmp9, 6
	v_ashrrev_i32_e32 v2, 31, v1
	s_wait_alu 0xfffe
	s_cvt_f32_u32 s1, s6
	s_cvt_f32_u32 s2, s7
	s_add_co_i32 s0, s0, s15
	s_sub_nc_u64 s[30:31], 0, s[6:7]
	v_lshlrev_b64_e32 v[1:2], 2, v[1:2]
	s_wait_alu 0xfffe
	s_fmamk_f32 s2, s2, 0x4f800000, s1
	s_ashr_i32 s1, s0, 31
	s_wait_alu 0xfffe
	s_lshl_b64 s[0:1], s[0:1], 3
	v_s_rcp_f32 s2, s2
	s_wait_kmcnt 0x0
	v_add_co_u32 v1, vcc_lo, s8, v1
	s_delay_alu instid0(VALU_DEP_1)
	v_add_co_ci_u32_e64 v2, null, s9, v2, vcc_lo
	s_wait_alu 0xfffe
	s_add_nc_u64 s[0:1], s[10:11], s[0:1]
	s_mov_b32 s8, 0
	s_load_b64 s[26:27], s[0:1], 0x0
	global_load_b32 v3, v[1:2], off
	s_mul_f32 s2, s2, 0x5f7ffffc
	v_mul_f32_e32 v4, 0x4f7ffffe, v4
	s_lshl_b32 s0, s16, 8
	s_wait_alu 0xfffe
	s_mul_f32 s1, s2, 0x2f800000
	s_wait_alu 0xfffe
	s_delay_alu instid0(SALU_CYCLE_2)
	s_trunc_f32 s3, s1
	s_mov_b32 s1, s8
	s_wait_alu 0xfffe
	s_lshl_b64 s[0:1], s[0:1], 2
	s_fmamk_f32 s2, s3, 0xcf800000, s2
	s_cvt_u32_f32 s29, s3
	s_wait_alu 0xfffe
	s_add_nc_u64 s[24:25], s[10:11], s[0:1]
	s_cvt_u32_f32 s28, s2
	s_wait_kmcnt 0x0
	v_mov_b32_e32 v5, s27
	v_cvt_u32_f32_e32 v4, v4
.LBB55_9:                               ; =>This Inner Loop Header: Depth=1
	s_wait_alu 0xfffe
	s_ashr_i32 s35, s34, 31
	s_mov_b32 s2, -1
	s_wait_alu 0xfffe
	s_mul_u64 s[0:1], s[34:35], s[18:19]
                                        ; implicit-def: $sgpr38_sgpr39
	s_wait_alu 0xfffe
	s_mov_b32 s9, s1
	s_wait_alu 0xfffe
	s_cmp_lg_u64 s[8:9], 0
	s_cbranch_scc0 .LBB55_11
; %bb.10:                               ;   in Loop: Header=BB55_9 Depth=1
	s_mul_u64 s[2:3], s[30:31], s[28:29]
	s_mov_b32 s37, s8
	s_wait_alu 0xfffe
	s_mul_hi_u32 s5, s28, s3
	s_mul_i32 s4, s28, s3
	s_mul_hi_u32 s36, s28, s2
	s_mul_hi_u32 s9, s29, s2
	s_wait_alu 0xfffe
	s_add_nc_u64 s[4:5], s[36:37], s[4:5]
	s_mul_i32 s2, s29, s2
	s_mul_hi_u32 s17, s29, s3
	s_wait_alu 0xfffe
	s_add_co_u32 s2, s4, s2
	s_add_co_ci_u32 s2, s5, s9
	s_add_co_ci_u32 s5, s17, 0
	s_mul_i32 s4, s29, s3
	s_mov_b32 s3, s8
	s_mov_b32 s39, s8
	s_wait_alu 0xfffe
	s_add_nc_u64 s[2:3], s[2:3], s[4:5]
	s_wait_alu 0xfffe
	s_add_co_u32 s2, s28, s2
	s_cselect_b32 s4, -1, 0
	s_wait_alu 0xfffe
	s_cmp_lg_u32 s4, 0
	s_add_co_ci_u32 s3, s29, s3
	s_wait_alu 0xfffe
	s_mul_u64 s[4:5], s[30:31], s[2:3]
	s_wait_alu 0xfffe
	s_mul_hi_u32 s37, s2, s5
	s_mul_i32 s36, s2, s5
	s_mul_hi_u32 s38, s2, s4
	s_mul_hi_u32 s9, s3, s4
	s_mul_i32 s4, s3, s4
	s_wait_alu 0xfffe
	s_add_nc_u64 s[36:37], s[38:39], s[36:37]
	s_mul_hi_u32 s17, s3, s5
	s_wait_alu 0xfffe
	s_add_co_u32 s4, s36, s4
	s_add_co_ci_u32 s4, s37, s9
	s_add_co_ci_u32 s37, s17, 0
	s_mul_i32 s36, s3, s5
	s_mov_b32 s5, s8
	s_wait_alu 0xfffe
	s_add_nc_u64 s[4:5], s[4:5], s[36:37]
	s_mov_b32 s37, s8
	s_wait_alu 0xfffe
	s_add_co_u32 s9, s2, s4
	s_cselect_b32 s2, -1, 0
	s_wait_alu 0xfffe
	s_cmp_lg_u32 s2, 0
	s_add_co_ci_u32 s17, s3, s5
	s_ashr_i32 s2, s1, 31
	s_wait_alu 0xfffe
	s_mov_b32 s3, s2
	s_wait_alu 0xfffe
	s_add_nc_u64 s[4:5], s[0:1], s[2:3]
	s_wait_alu 0xfffe
	s_xor_b64 s[4:5], s[4:5], s[2:3]
	s_wait_alu 0xfffe
	s_mul_hi_u32 s39, s4, s17
	s_mul_i32 s38, s4, s17
	s_mul_hi_u32 s36, s4, s9
	s_mul_i32 s21, s5, s9
	s_wait_alu 0xfffe
	s_add_nc_u64 s[36:37], s[36:37], s[38:39]
	s_mul_hi_u32 s9, s5, s9
	s_mul_hi_u32 s1, s5, s17
	s_wait_alu 0xfffe
	s_add_co_u32 s21, s36, s21
	s_add_co_ci_u32 s36, s37, s9
	s_add_co_ci_u32 s39, s1, 0
	s_mul_i32 s38, s5, s17
	s_mov_b32 s37, s8
	s_wait_alu 0xfffe
	s_add_nc_u64 s[36:37], s[36:37], s[38:39]
	s_wait_alu 0xfffe
	s_mul_u64 s[38:39], s[6:7], s[36:37]
	s_add_nc_u64 s[40:41], s[36:37], 1
	s_sub_co_u32 s1, s4, s38
	s_cselect_b32 s4, -1, 0
	s_sub_co_i32 s9, s5, s39
	s_wait_alu 0xfffe
	s_cmp_lg_u32 s4, 0
	s_add_nc_u64 s[42:43], s[36:37], 2
	s_sub_co_ci_u32 s9, s9, s7
	s_sub_co_u32 s17, s1, s6
	s_cselect_b32 s21, -1, 0
	s_delay_alu instid0(SALU_CYCLE_1)
	s_cmp_lg_u32 s21, 0
	s_wait_alu 0xfffe
	s_sub_co_ci_u32 s9, s9, 0
	s_wait_alu 0xfffe
	s_cmp_ge_u32 s9, s7
	s_cselect_b32 s21, -1, 0
	s_cmp_ge_u32 s17, s6
	s_cselect_b32 s17, -1, 0
	s_cmp_eq_u32 s9, s7
	s_wait_alu 0xfffe
	s_cselect_b32 s9, s17, s21
	s_wait_alu 0xfffe
	s_cmp_lg_u32 s9, 0
	s_cselect_b32 s9, s42, s40
	s_cselect_b32 s17, s43, s41
	s_cmp_lg_u32 s4, 0
	s_sub_co_ci_u32 s4, s5, s39
	s_wait_alu 0xfffe
	s_cmp_ge_u32 s4, s7
	s_cselect_b32 s5, -1, 0
	s_cmp_ge_u32 s1, s6
	s_cselect_b32 s1, -1, 0
	s_cmp_eq_u32 s4, s7
	s_wait_alu 0xfffe
	s_cselect_b32 s1, s1, s5
	s_wait_alu 0xfffe
	s_cmp_lg_u32 s1, 0
	s_cselect_b32 s5, s17, s37
	s_cselect_b32 s4, s9, s36
	s_xor_b64 s[2:3], s[2:3], 0
	s_wait_alu 0xfffe
	s_xor_b64 s[4:5], s[4:5], s[2:3]
	s_wait_alu 0xfffe
	s_sub_nc_u64 s[38:39], s[4:5], s[2:3]
	s_mov_b32 s2, 0
.LBB55_11:                              ;   in Loop: Header=BB55_9 Depth=1
	s_wait_alu 0xfffe
	s_and_not1_b32 vcc_lo, exec_lo, s2
	s_wait_alu 0xfffe
	s_cbranch_vccnz .LBB55_13
; %bb.12:                               ;   in Loop: Header=BB55_9 Depth=1
	v_readfirstlane_b32 s1, v4
	s_sub_co_i32 s2, 0, s16
	s_wait_alu 0xfffe
	s_mul_i32 s2, s2, s1
	s_wait_alu 0xfffe
	s_mul_hi_u32 s2, s1, s2
	s_wait_alu 0xfffe
	s_add_co_i32 s1, s1, s2
	s_wait_alu 0xfffe
	s_mul_hi_u32 s1, s0, s1
	s_wait_alu 0xfffe
	s_mul_i32 s2, s1, s16
	s_wait_alu 0xfffe
	s_sub_co_i32 s0, s0, s2
	s_add_co_i32 s2, s1, 1
	s_wait_alu 0xfffe
	s_sub_co_i32 s3, s0, s16
	s_cmp_ge_u32 s0, s16
	s_cselect_b32 s1, s2, s1
	s_wait_alu 0xfffe
	s_cselect_b32 s0, s3, s0
	s_add_co_i32 s2, s1, 1
	s_wait_alu 0xfffe
	s_cmp_ge_u32 s0, s16
	s_cselect_b32 s38, s2, s1
.LBB55_13:                              ;   in Loop: Header=BB55_9 Depth=1
	v_readfirstlane_b32 s9, v0
	s_cmp_lg_u32 s20, s38
	s_mov_b32 s0, -1
                                        ; implicit-def: $sgpr21
                                        ; implicit-def: $vgpr6
                                        ; implicit-def: $vgpr7
                                        ; implicit-def: $sgpr17
                                        ; implicit-def: $sgpr27
	s_cbranch_scc1 .LBB55_16
; %bb.14:                               ;   in Loop: Header=BB55_9 Depth=1
	s_wait_alu 0xfffe
	s_and_not1_b32 vcc_lo, exec_lo, s0
	s_wait_alu 0xfffe
	s_cbranch_vccz .LBB55_19
.LBB55_15:                              ;   in Loop: Header=BB55_9 Depth=1
	s_and_not1_b32 vcc_lo, exec_lo, s21
	s_wait_alu 0xfffe
	s_cbranch_vccnz .LBB55_20
	s_branch .LBB55_23
.LBB55_16:                              ;   in Loop: Header=BB55_9 Depth=1
	s_add_co_i32 s0, s34, s16
	s_mov_b32 s1, s8
	s_wait_alu 0xfffe
	s_lshl_b32 s0, s0, 6
	v_max_num_f32_e64 v6, s26, s26
	s_wait_alu 0xfffe
	s_add_co_i32 s0, s0, s15
	s_mov_b32 s39, s8
	s_wait_alu 0xfffe
	s_lshl_b64 s[0:1], s[0:1], 3
	s_mul_u64 s[40:41], s[38:39], s[22:23]
	s_wait_alu 0xfffe
	s_add_nc_u64 s[0:1], s[10:11], s[0:1]
	s_mov_b32 s27, s20
	s_load_b64 s[36:37], s[0:1], 0x0
	v_readfirstlane_b32 s0, v6
	s_wait_kmcnt 0x0
	v_max_num_f32_e64 v7, s36, s36
	s_delay_alu instid0(VALU_DEP_1) | instskip(SKIP_2) | instid1(SALU_CYCLE_2)
	v_readfirstlane_b32 s1, v7
	s_max_num_f32 s9, s0, s1
	s_wait_alu 0xfffe
	s_sub_f32 s33, s26, s9
	s_sub_f32 s35, s36, s9
	s_wait_alu 0xfffe
	s_delay_alu instid0(SALU_CYCLE_1)
	s_cmp_nlt_f32 s33, 0xc2ce8ed0
	s_cselect_b32 s0, -1, 0
	s_cmp_ngt_f32 s33, 0x42b17218
	s_cselect_b32 s1, -1, 0
	s_cmp_ge_f32 s33, 0xc1a00000
	s_cselect_b32 s2, -1, 0
	s_cmp_nlt_f32 s35, 0xc2ce8ed0
	s_cselect_b32 s3, -1, 0
	s_cmp_ngt_f32 s35, 0x42b17218
	s_cselect_b32 s4, -1, 0
	s_cmp_ge_f32 s35, 0xc1a00000
	s_cselect_b32 s5, -1, 0
	s_add_co_i32 s17, s41, s38
	s_wait_alu 0xfffe
	s_lshr_b32 s17, s17, s13
	s_wait_alu 0xfffe
	s_mul_i32 s21, s17, s14
	s_delay_alu instid0(SALU_CYCLE_1)
	s_cmp_eq_u32 s21, s38
	s_cselect_b32 s21, -1, 0
	s_cmp_lt_u32 s17, s12
	s_cselect_b32 s17, -1, 0
	s_wait_alu 0xfffe
	s_or_b32 s17, s17, s21
	s_mov_b32 s21, -1
	s_wait_alu 0xfffe
	s_and_b32 vcc_lo, exec_lo, s17
	s_mov_b32 s17, s34
	s_wait_alu 0xfffe
	s_cbranch_vccnz .LBB55_18
; %bb.17:                               ;   in Loop: Header=BB55_9 Depth=1
	s_add_co_i32 s17, s34, -1
	s_mov_b32 s21, 0
	s_mov_b32 s27, s38
.LBB55_18:                              ;   in Loop: Header=BB55_9 Depth=1
	v_lshl_add_u32 v6, s34, 12, v0
	s_mul_f32 s36, s35, 0x3fb8aa3b
	s_mul_f32 s38, s33, 0x3fb8aa3b
	s_wait_alu 0xfffe
	s_delay_alu instid0(SALU_CYCLE_1)
	s_xor_b32 s39, s36, 0x80000000
	v_ashrrev_i32_e32 v7, 31, v6
	s_rndne_f32 s40, s36
	s_fmamk_f32 s39, s35, 0x3fb8aa3b, s39
	s_xor_b32 s41, s38, 0x80000000
	s_rndne_f32 s42, s38
	v_lshlrev_b64_e32 v[6:7], 2, v[6:7]
	s_sub_f32 s36, s36, s40
	s_fmamk_f32 s35, s35, 0x32a5705f, s39
	s_fmamk_f32 s39, s33, 0x3fb8aa3b, s41
	s_sub_f32 s38, s38, s42
	s_delay_alu instid0(VALU_DEP_1)
	v_add_co_u32 v6, vcc_lo, s24, v6
	s_wait_alu 0xfffd
	v_add_co_ci_u32_e64 v7, null, s25, v7, vcc_lo
	s_wait_alu 0xfffe
	s_add_f32 s35, s36, s35
	s_fmamk_f32 s33, s33, 0x32a5705f, s39
	s_cvt_i32_f32 s36, s40
	global_load_b32 v6, v[6:7], off
	s_wait_alu 0xfffe
	v_s_exp_f32 s35, s35
	s_add_f32 s33, s38, s33
	s_wait_alu 0xfffe
	s_delay_alu instid0(SALU_CYCLE_2) | instskip(NEXT) | instid1(TRANS32_DEP_2)
	v_s_exp_f32 s33, s33
	v_ldexp_f32 v7, s35, s36
	s_cvt_i32_f32 s35, s42
	s_wait_alu 0xf1fe
	s_delay_alu instid0(TRANS32_DEP_1) | instid1(SALU_CYCLE_2)
	v_ldexp_f32 v8, s33, s35
	s_delay_alu instid0(VALU_DEP_2) | instskip(NEXT) | instid1(VALU_DEP_2)
	v_cndmask_b32_e64 v7, 0, v7, s3
	v_cndmask_b32_e64 v8, 0, v8, s0
	s_delay_alu instid0(VALU_DEP_2) | instskip(NEXT) | instid1(VALU_DEP_2)
	v_cndmask_b32_e64 v7, 0x7f800000, v7, s4
	v_cndmask_b32_e64 v8, 0x7f800000, v8, s1
	s_delay_alu instid0(VALU_DEP_2) | instskip(NEXT) | instid1(VALU_DEP_2)
	v_cndmask_b32_e64 v7, 0, v7, s5
	v_cndmask_b32_e64 v8, 0, v8, s2
	s_wait_loadcnt 0x0
	s_delay_alu instid0(VALU_DEP_2) | instskip(SKIP_1) | instid1(VALU_DEP_1)
	v_mul_f32_e32 v6, v6, v7
	v_mul_f32_e32 v7, s37, v7
	v_fmac_f32_e32 v7, v5, v8
	s_delay_alu instid0(VALU_DEP_3)
	v_fmac_f32_e32 v6, v3, v8
	s_cbranch_execnz .LBB55_15
.LBB55_19:                              ;   in Loop: Header=BB55_9 Depth=1
	s_wait_loadcnt 0x0
	v_dual_mov_b32 v7, v5 :: v_dual_mov_b32 v6, v3
	s_add_co_i32 s17, s34, -1
	s_mov_b32 s27, s20
	s_mov_b32 s9, s26
	s_cbranch_execz .LBB55_23
.LBB55_20:                              ;   in Loop: Header=BB55_9 Depth=1
	v_mov_b32_e32 v5, v7
	s_wait_loadcnt 0x0
	v_mov_b32_e32 v3, v6
	s_wait_alu 0xfffe
	s_mov_b32 s20, s27
	s_mov_b32 s34, s17
	;; [unrolled: 1-line block ×3, first 2 shown]
	s_branch .LBB55_9
.LBB55_21:
                                        ; implicit-def: $sgpr20_sgpr21
	s_branch .LBB55_2
.LBB55_22:
                                        ; implicit-def: $sgpr10_sgpr11
	s_load_b96 s[12:14], s[0:1], 0x44
	s_branch .LBB55_5
.LBB55_23:
	v_div_scale_f32 v0, null, v7, v7, v6
	s_wait_loadcnt 0x0
	s_delay_alu instid0(VALU_DEP_1) | instskip(NEXT) | instid1(TRANS32_DEP_1)
	v_rcp_f32_e32 v3, v0
	v_fma_f32 v4, -v0, v3, 1.0
	s_delay_alu instid0(VALU_DEP_1) | instskip(SKIP_1) | instid1(VALU_DEP_1)
	v_fmac_f32_e32 v3, v4, v3
	v_div_scale_f32 v4, vcc_lo, v6, v7, v6
	v_mul_f32_e32 v5, v4, v3
	s_delay_alu instid0(VALU_DEP_1) | instskip(NEXT) | instid1(VALU_DEP_1)
	v_fma_f32 v8, -v0, v5, v4
	v_fmac_f32_e32 v5, v8, v3
	s_delay_alu instid0(VALU_DEP_1) | instskip(SKIP_1) | instid1(VALU_DEP_1)
	v_fma_f32 v0, -v0, v5, v4
	s_wait_alu 0xfffd
	v_div_fmas_f32 v0, v0, v3, v5
	s_delay_alu instid0(VALU_DEP_1)
	v_div_fixup_f32 v0, v0, v7, v6
	global_store_b32 v[1:2], v0, off
.LBB55_24:
	s_endpgm
	.section	.rodata,"a",@progbits
	.p2align	6, 0x0
	.amdhsa_kernel _ZL33flash_attn_stream_k_fixup_generalILi64ELi64ELi1EEvPfPK15HIP_vector_typeIfLj2EEiiiiS1_IjLj3EES5_S5_S5_
		.amdhsa_group_segment_fixed_size 0
		.amdhsa_private_segment_fixed_size 0
		.amdhsa_kernarg_size 336
		.amdhsa_user_sgpr_count 2
		.amdhsa_user_sgpr_dispatch_ptr 0
		.amdhsa_user_sgpr_queue_ptr 0
		.amdhsa_user_sgpr_kernarg_segment_ptr 1
		.amdhsa_user_sgpr_dispatch_id 0
		.amdhsa_user_sgpr_private_segment_size 0
		.amdhsa_wavefront_size32 1
		.amdhsa_uses_dynamic_stack 0
		.amdhsa_enable_private_segment 0
		.amdhsa_system_sgpr_workgroup_id_x 1
		.amdhsa_system_sgpr_workgroup_id_y 1
		.amdhsa_system_sgpr_workgroup_id_z 1
		.amdhsa_system_sgpr_workgroup_info 0
		.amdhsa_system_vgpr_workitem_id 0
		.amdhsa_next_free_vgpr 9
		.amdhsa_next_free_sgpr 44
		.amdhsa_reserve_vcc 1
		.amdhsa_float_round_mode_32 0
		.amdhsa_float_round_mode_16_64 0
		.amdhsa_float_denorm_mode_32 3
		.amdhsa_float_denorm_mode_16_64 3
		.amdhsa_fp16_overflow 0
		.amdhsa_workgroup_processor_mode 1
		.amdhsa_memory_ordered 1
		.amdhsa_forward_progress 1
		.amdhsa_inst_pref_size 28
		.amdhsa_round_robin_scheduling 0
		.amdhsa_exception_fp_ieee_invalid_op 0
		.amdhsa_exception_fp_denorm_src 0
		.amdhsa_exception_fp_ieee_div_zero 0
		.amdhsa_exception_fp_ieee_overflow 0
		.amdhsa_exception_fp_ieee_underflow 0
		.amdhsa_exception_fp_ieee_inexact 0
		.amdhsa_exception_int_div_zero 0
	.end_amdhsa_kernel
	.section	.text._ZL33flash_attn_stream_k_fixup_generalILi64ELi64ELi1EEvPfPK15HIP_vector_typeIfLj2EEiiiiS1_IjLj3EES5_S5_S5_,"axG",@progbits,_ZL33flash_attn_stream_k_fixup_generalILi64ELi64ELi1EEvPfPK15HIP_vector_typeIfLj2EEiiiiS1_IjLj3EES5_S5_S5_,comdat
.Lfunc_end55:
	.size	_ZL33flash_attn_stream_k_fixup_generalILi64ELi64ELi1EEvPfPK15HIP_vector_typeIfLj2EEiiiiS1_IjLj3EES5_S5_S5_, .Lfunc_end55-_ZL33flash_attn_stream_k_fixup_generalILi64ELi64ELi1EEvPfPK15HIP_vector_typeIfLj2EEiiiiS1_IjLj3EES5_S5_S5_
                                        ; -- End function
	.set _ZL33flash_attn_stream_k_fixup_generalILi64ELi64ELi1EEvPfPK15HIP_vector_typeIfLj2EEiiiiS1_IjLj3EES5_S5_S5_.num_vgpr, 9
	.set _ZL33flash_attn_stream_k_fixup_generalILi64ELi64ELi1EEvPfPK15HIP_vector_typeIfLj2EEiiiiS1_IjLj3EES5_S5_S5_.num_agpr, 0
	.set _ZL33flash_attn_stream_k_fixup_generalILi64ELi64ELi1EEvPfPK15HIP_vector_typeIfLj2EEiiiiS1_IjLj3EES5_S5_S5_.numbered_sgpr, 44
	.set _ZL33flash_attn_stream_k_fixup_generalILi64ELi64ELi1EEvPfPK15HIP_vector_typeIfLj2EEiiiiS1_IjLj3EES5_S5_S5_.num_named_barrier, 0
	.set _ZL33flash_attn_stream_k_fixup_generalILi64ELi64ELi1EEvPfPK15HIP_vector_typeIfLj2EEiiiiS1_IjLj3EES5_S5_S5_.private_seg_size, 0
	.set _ZL33flash_attn_stream_k_fixup_generalILi64ELi64ELi1EEvPfPK15HIP_vector_typeIfLj2EEiiiiS1_IjLj3EES5_S5_S5_.uses_vcc, 1
	.set _ZL33flash_attn_stream_k_fixup_generalILi64ELi64ELi1EEvPfPK15HIP_vector_typeIfLj2EEiiiiS1_IjLj3EES5_S5_S5_.uses_flat_scratch, 0
	.set _ZL33flash_attn_stream_k_fixup_generalILi64ELi64ELi1EEvPfPK15HIP_vector_typeIfLj2EEiiiiS1_IjLj3EES5_S5_S5_.has_dyn_sized_stack, 0
	.set _ZL33flash_attn_stream_k_fixup_generalILi64ELi64ELi1EEvPfPK15HIP_vector_typeIfLj2EEiiiiS1_IjLj3EES5_S5_S5_.has_recursion, 0
	.set _ZL33flash_attn_stream_k_fixup_generalILi64ELi64ELi1EEvPfPK15HIP_vector_typeIfLj2EEiiiiS1_IjLj3EES5_S5_S5_.has_indirect_call, 0
	.section	.AMDGPU.csdata,"",@progbits
; Kernel info:
; codeLenInByte = 3556
; TotalNumSgprs: 46
; NumVgprs: 9
; ScratchSize: 0
; MemoryBound: 0
; FloatMode: 240
; IeeeMode: 1
; LDSByteSize: 0 bytes/workgroup (compile time only)
; SGPRBlocks: 0
; VGPRBlocks: 1
; NumSGPRsForWavesPerEU: 46
; NumVGPRsForWavesPerEU: 9
; Occupancy: 16
; WaveLimiterHint : 0
; COMPUTE_PGM_RSRC2:SCRATCH_EN: 0
; COMPUTE_PGM_RSRC2:USER_SGPR: 2
; COMPUTE_PGM_RSRC2:TRAP_HANDLER: 0
; COMPUTE_PGM_RSRC2:TGID_X_EN: 1
; COMPUTE_PGM_RSRC2:TGID_Y_EN: 1
; COMPUTE_PGM_RSRC2:TGID_Z_EN: 1
; COMPUTE_PGM_RSRC2:TIDIG_COMP_CNT: 0
	.section	.text._ZL15flash_attn_tileILi64ELi64ELi32ELi1ELb0EEvPKcS1_S1_S1_S1_PKiPfP15HIP_vector_typeIfLj2EEffffjfiS5_IjLj3EEiiiiiiiiiiiliiliiiiil,"axG",@progbits,_ZL15flash_attn_tileILi64ELi64ELi32ELi1ELb0EEvPKcS1_S1_S1_S1_PKiPfP15HIP_vector_typeIfLj2EEffffjfiS5_IjLj3EEiiiiiiiiiiiliiliiiiil,comdat
	.globl	_ZL15flash_attn_tileILi64ELi64ELi32ELi1ELb0EEvPKcS1_S1_S1_S1_PKiPfP15HIP_vector_typeIfLj2EEffffjfiS5_IjLj3EEiiiiiiiiiiiliiliiiiil ; -- Begin function _ZL15flash_attn_tileILi64ELi64ELi32ELi1ELb0EEvPKcS1_S1_S1_S1_PKiPfP15HIP_vector_typeIfLj2EEffffjfiS5_IjLj3EEiiiiiiiiiiiliiliiiiil
	.p2align	8
	.type	_ZL15flash_attn_tileILi64ELi64ELi32ELi1ELb0EEvPKcS1_S1_S1_S1_PKiPfP15HIP_vector_typeIfLj2EEffffjfiS5_IjLj3EEiiiiiiiiiiiliiliiiiil,@function
_ZL15flash_attn_tileILi64ELi64ELi32ELi1ELb0EEvPKcS1_S1_S1_S1_PKiPfP15HIP_vector_typeIfLj2EEffffjfiS5_IjLj3EEiiiiiiiiiiiliiliiiiil: ; @_ZL15flash_attn_tileILi64ELi64ELi32ELi1ELb0EEvPKcS1_S1_S1_S1_PKiPfP15HIP_vector_typeIfLj2EEffffjfiS5_IjLj3EEiiiiiiiiiiiliiliiiiil
; %bb.0:
	s_clause 0x1
	s_load_b128 s[20:23], s[0:1], 0x5c
	s_load_b64 s[2:3], s[0:1], 0x80
	s_lshr_b32 s6, ttmp7, 16
	s_load_b64 s[30:31], s[0:1], 0xb8
	s_mov_b32 s41, 0
	s_mov_b64 s[38:39], 0
	s_wait_kmcnt 0x0
	s_cvt_f32_u32 s4, s23
	s_sub_co_i32 s5, 0, s23
	s_delay_alu instid0(SALU_CYCLE_2) | instskip(NEXT) | instid1(TRANS32_DEP_1)
	v_rcp_iflag_f32_e32 v1, s4
	v_readfirstlane_b32 s4, v1
	s_mul_f32 s4, s4, 0x4f7ffffe
	s_wait_alu 0xfffe
	s_delay_alu instid0(SALU_CYCLE_2) | instskip(SKIP_1) | instid1(SALU_CYCLE_2)
	s_cvt_u32_f32 s4, s4
	s_wait_alu 0xfffe
	s_mul_i32 s5, s5, s4
	s_wait_alu 0xfffe
	s_mul_hi_u32 s5, s4, s5
	s_wait_alu 0xfffe
	s_add_co_i32 s4, s4, s5
	s_wait_alu 0xfffe
	s_mul_hi_u32 s4, s6, s4
	s_wait_alu 0xfffe
	s_mul_i32 s5, s4, s23
	s_add_co_i32 s7, s4, 1
	s_wait_alu 0xfffe
	s_sub_co_i32 s5, s6, s5
	s_wait_alu 0xfffe
	s_sub_co_i32 s8, s5, s23
	s_cmp_ge_u32 s5, s23
	s_cselect_b32 s4, s7, s4
	s_cselect_b32 s5, s8, s5
	s_wait_alu 0xfffe
	s_add_co_i32 s7, s4, 1
	s_cmp_ge_u32 s5, s23
	s_cselect_b32 s36, s7, s4
	s_abs_i32 s4, s3
	s_abs_i32 s9, s23
	s_wait_alu 0xfffe
	s_cvt_f32_u32 s5, s4
	s_sub_co_i32 s7, 0, s4
	s_mul_i32 s8, s36, s23
	s_xor_b32 s3, s23, s3
	s_wait_alu 0xfffe
	v_rcp_iflag_f32_e32 v1, s5
	s_sub_co_i32 s34, s6, s8
	s_ashr_i32 s3, s3, 31
	s_delay_alu instid0(TRANS32_DEP_1) | instskip(SKIP_2) | instid1(SALU_CYCLE_2)
	v_readfirstlane_b32 s5, v1
	s_mul_f32 s5, s5, 0x4f7ffffe
	s_wait_alu 0xfffe
	s_cvt_u32_f32 s5, s5
	s_wait_alu 0xfffe
	s_delay_alu instid0(SALU_CYCLE_2) | instskip(NEXT) | instid1(SALU_CYCLE_1)
	s_mul_i32 s7, s7, s5
	s_mul_hi_u32 s7, s5, s7
	s_delay_alu instid0(SALU_CYCLE_1)
	s_add_co_i32 s5, s5, s7
	s_wait_alu 0xfffe
	s_mul_hi_u32 s5, s9, s5
	s_wait_alu 0xfffe
	s_mul_i32 s6, s5, s4
	s_add_co_i32 s7, s5, 1
	s_sub_co_i32 s6, s9, s6
	s_delay_alu instid0(SALU_CYCLE_1)
	s_sub_co_i32 s8, s6, s4
	s_cmp_ge_u32 s6, s4
	s_cselect_b32 s5, s7, s5
	s_cselect_b32 s6, s8, s6
	s_wait_alu 0xfffe
	s_add_co_i32 s7, s5, 1
	s_cmp_ge_u32 s6, s4
	s_cselect_b32 s4, s7, s5
	s_abs_i32 s40, s34
	s_wait_alu 0xfffe
	s_xor_b32 s4, s4, s3
	s_wait_alu 0xfffe
	s_sub_co_i32 s37, s4, s3
	s_delay_alu instid0(SALU_CYCLE_1) | instskip(NEXT) | instid1(SALU_CYCLE_1)
	s_abs_i32 s3, s37
	s_cvt_f32_u32 s4, s3
	s_sub_co_i32 s25, 0, s3
	s_wait_alu 0xfffe
	s_delay_alu instid0(SALU_CYCLE_1) | instskip(SKIP_1) | instid1(TRANS32_DEP_1)
	v_rcp_iflag_f32_e32 v1, s4
	s_load_b512 s[4:19], s[0:1], 0x0
	v_readfirstlane_b32 s24, v1
	s_mul_f32 s24, s24, 0x4f7ffffe
	s_delay_alu instid0(SALU_CYCLE_3) | instskip(NEXT) | instid1(SALU_CYCLE_3)
	s_cvt_u32_f32 s24, s24
	s_mul_i32 s25, s25, s24
	s_delay_alu instid0(SALU_CYCLE_1) | instskip(NEXT) | instid1(SALU_CYCLE_1)
	s_mul_hi_u32 s25, s24, s25
	s_add_co_i32 s42, s24, s25
	s_wait_kmcnt 0x0
	s_cmp_eq_u64 s[10:11], 0
	s_cbranch_scc1 .LBB56_2
; %bb.1:
	s_abs_i32 s26, s30
	s_delay_alu instid0(SALU_CYCLE_1) | instskip(NEXT) | instid1(SALU_CYCLE_3)
	s_cvt_f32_u32 s24, s26
	v_rcp_iflag_f32_e32 v1, s24
	s_delay_alu instid0(TRANS32_DEP_1) | instskip(SKIP_2) | instid1(SALU_CYCLE_2)
	v_readfirstlane_b32 s24, v1
	s_mul_f32 s24, s24, 0x4f7ffffe
	s_wait_alu 0xfffe
	s_cvt_u32_f32 s27, s24
	s_sub_co_i32 s24, 0, s26
	s_wait_alu 0xfffe
	s_delay_alu instid0(SALU_CYCLE_1) | instskip(SKIP_4) | instid1(SALU_CYCLE_1)
	s_mul_i32 s24, s24, s27
	s_wait_alu 0xfffe
	s_mul_hi_u32 s28, s27, s24
	s_load_b64 s[24:25], s[0:1], 0xc8
	s_add_co_i32 s27, s27, s28
	s_mul_hi_u32 s27, s36, s27
	s_delay_alu instid0(SALU_CYCLE_1) | instskip(NEXT) | instid1(SALU_CYCLE_1)
	s_mul_i32 s27, s27, s26
	s_sub_co_i32 s27, s36, s27
	s_delay_alu instid0(SALU_CYCLE_1) | instskip(SKIP_2) | instid1(SALU_CYCLE_1)
	s_sub_co_i32 s28, s27, s26
	s_cmp_ge_u32 s27, s26
	s_cselect_b32 s27, s28, s27
	s_sub_co_i32 s28, s27, s26
	s_cmp_ge_u32 s27, s26
	s_cselect_b32 s26, s28, s27
	s_delay_alu instid0(SALU_CYCLE_1)
	s_ashr_i32 s27, s26, 31
	s_wait_kmcnt 0x0
	s_mul_u64 s[24:25], s[24:25], s[26:27]
	s_wait_alu 0xfffe
	s_add_nc_u64 s[38:39], s[10:11], s[24:25]
.LBB56_2:
	s_clause 0x1
	s_load_b128 s[24:27], s[0:1], 0x40
	s_load_b32 s10, s[0:1], 0x50
	v_mov_b32_e32 v45, 1.0
	s_mov_b32 s43, s41
	s_wait_kmcnt 0x0
	s_cmp_le_f32 s25, 0
	s_cbranch_scc1 .LBB56_4
; %bb.3:
	v_sub_co_u32 v1, s10, s34, s10
	s_and_b32 s25, s10, exec_lo
	s_cselect_b32 s25, s26, s27
	s_add_co_i32 s26, s34, 1
	v_readfirstlane_b32 s11, v1
	s_lshl_b32 s11, s11, 1
	s_wait_alu 0xfffe
	s_or_b32 s11, s11, 1
	s_and_b32 s10, s10, exec_lo
	s_wait_alu 0xfffe
	s_cselect_b32 s10, s26, s11
	s_cmp_neq_f32 s25, 1.0
	s_wait_alu 0xfffe
	s_cvt_f32_i32 s10, s10
	s_wait_alu 0xfffe
	s_delay_alu instid0(SALU_CYCLE_2)
	s_cselect_b32 s11, s10, 1.0
	s_wait_alu 0xfffe
	s_cmp_neq_f32 s11, 0
	s_cselect_b32 s10, s25, 1.0
	s_wait_alu 0xfffe
	v_frexp_mant_f32_e64 v1, |s10|
	s_delay_alu instid0(VALU_DEP_1) | instskip(SKIP_3) | instid1(SALU_CYCLE_1)
	v_readfirstlane_b32 s25, v1
	v_cvt_f64_f32_e64 v[1:2], |s10|
	s_cmp_lt_f32 s25, 0x3f2aaaab
	s_cselect_b32 s26, -1, 0
	s_and_b32 s27, s26, exec_lo
	s_cselect_b32 s27, 2.0, 1.0
	s_delay_alu instid0(SALU_CYCLE_1) | instskip(SKIP_1) | instid1(SALU_CYCLE_2)
	s_mul_f32 s25, s25, s27
	s_wait_alu 0xfffe
	s_add_f32 s27, s25, 1.0
	s_add_f32 s29, s25, -1.0
	s_delay_alu instid0(SALU_CYCLE_2) | instskip(SKIP_2) | instid1(SALU_CYCLE_2)
	v_s_rcp_f32 s28, s27
	s_add_f32 s35, s27, -1.0
	s_wait_alu 0xfffe
	s_sub_f32 s25, s25, s35
	s_delay_alu instid0(TRANS32_DEP_1) | instskip(NEXT) | instid1(SALU_CYCLE_3)
	s_mul_f32 s30, s29, s28
	s_mul_f32 s33, s27, s30
	s_delay_alu instid0(SALU_CYCLE_3) | instskip(NEXT) | instid1(VALU_DEP_1)
	s_xor_b32 s44, s33, 0x80000000
	v_frexp_exp_i32_f64_e32 v1, v[1:2]
	s_fmac_f32 s44, s30, s27
	s_wait_alu 0xfffe
	s_delay_alu instid0(SALU_CYCLE_2) | instskip(NEXT) | instid1(SALU_CYCLE_3)
	s_fmac_f32 s44, s30, s25
	s_add_f32 s25, s33, s44
	s_wait_alu 0xfffe
	s_delay_alu instid0(SALU_CYCLE_2) | instskip(SKIP_2) | instid1(SALU_CYCLE_1)
	s_sub_f32 s27, s29, s25
	s_sub_f32 s33, s25, s33
	s_wait_alu 0xfffe
	s_sub_f32 s29, s29, s27
	s_delay_alu instid0(SALU_CYCLE_1) | instskip(NEXT) | instid1(SALU_CYCLE_2)
	s_sub_f32 s33, s33, s44
	s_sub_f32 s25, s29, s25
	s_wait_alu 0xfffe
	s_delay_alu instid0(SALU_CYCLE_2) | instskip(SKIP_2) | instid1(SALU_CYCLE_1)
	s_add_f32 s25, s33, s25
	s_mov_b32 s33, 0x3e76c4e1
	s_wait_alu 0xfffe
	s_add_f32 s25, s27, s25
	s_wait_alu 0xfffe
	s_delay_alu instid0(SALU_CYCLE_2) | instskip(SKIP_1) | instid1(SALU_CYCLE_2)
	s_mul_f32 s25, s28, s25
	s_wait_alu 0xfffe
	s_add_f32 s27, s30, s25
	s_wait_alu 0xfffe
	s_delay_alu instid0(SALU_CYCLE_2) | instskip(SKIP_1) | instid1(SALU_CYCLE_2)
	s_sub_f32 s28, s27, s30
	s_mul_f32 s29, s27, s27
	s_sub_f32 s25, s25, s28
	s_delay_alu instid0(SALU_CYCLE_2) | instskip(NEXT) | instid1(SALU_CYCLE_1)
	s_xor_b32 s28, s29, 0x80000000
	s_fmac_f32 s28, s27, s27
	s_wait_alu 0xfffe
	s_add_f32 s30, s25, s25
	s_delay_alu instid0(SALU_CYCLE_3) | instskip(NEXT) | instid1(SALU_CYCLE_3)
	s_fmac_f32 s28, s27, s30
	s_add_f32 s30, s29, s28
	s_delay_alu instid0(SALU_CYCLE_3) | instskip(SKIP_1) | instid1(SALU_CYCLE_2)
	s_fmaak_f32 s33, s30, s33, 0x3e91f4c4
	s_sub_f32 s29, s30, s29
	s_fmaak_f32 s33, s30, s33, 0x3ecccdef
	s_delay_alu instid0(SALU_CYCLE_2) | instskip(SKIP_1) | instid1(SALU_CYCLE_1)
	s_sub_f32 s28, s28, s29
	s_mul_f32 s29, s27, s30
	s_mul_f32 s35, s30, s33
	s_delay_alu instid0(SALU_CYCLE_2) | instskip(SKIP_1) | instid1(SALU_CYCLE_1)
	s_xor_b32 s45, s29, 0x80000000
	s_wait_alu 0xfffe
	s_xor_b32 s44, s35, 0x80000000
	s_fmac_f32 s45, s30, s27
	s_fmac_f32 s44, s30, s33
	s_delay_alu instid0(SALU_CYCLE_2) | instskip(NEXT) | instid1(SALU_CYCLE_2)
	s_fmac_f32 s45, s30, s25
	s_fmac_f32 s44, s28, s33
	s_delay_alu instid0(SALU_CYCLE_2) | instskip(NEXT) | instid1(SALU_CYCLE_2)
	s_fmac_f32 s45, s28, s27
	s_add_f32 s33, s35, s44
	s_delay_alu instid0(SALU_CYCLE_3) | instskip(SKIP_2) | instid1(SALU_CYCLE_1)
	s_sub_f32 s35, s33, s35
	s_add_f32 s46, s33, 0x3f2aaaaa
	s_wait_alu 0xfffe
	s_sub_f32 s35, s44, s35
	s_delay_alu instid0(SALU_CYCLE_1) | instskip(SKIP_1) | instid1(SALU_CYCLE_1)
	s_add_f32 s44, s46, 0xbf2aaaaa
	s_wait_alu 0xfffe
	s_add_f32 s30, s35, 0x31739010
	s_delay_alu instid0(SALU_CYCLE_1) | instskip(NEXT) | instid1(SALU_CYCLE_3)
	s_sub_f32 s33, s33, s44
	s_add_f32 s28, s30, s33
	s_add_f32 s30, s29, s45
	s_delay_alu instid0(SALU_CYCLE_2) | instskip(NEXT) | instid1(SALU_CYCLE_2)
	s_add_f32 s33, s46, s28
	s_sub_f32 s29, s30, s29
	s_delay_alu instid0(SALU_CYCLE_2) | instskip(SKIP_1) | instid1(SALU_CYCLE_1)
	s_mul_f32 s35, s30, s33
	s_sub_f32 s44, s46, s33
	s_sub_f32 s29, s45, s29
	s_wait_alu 0xfffe
	s_xor_b32 s46, s35, 0x80000000
	s_add_f32 s28, s28, s44
	s_fmac_f32 s46, s30, s33
	v_readfirstlane_b32 s44, v1
	v_ldexp_f32 v1, s27, 1
	s_cmp_lg_u32 s26, 0
	s_fmac_f32 s46, s30, s28
	s_sub_co_ci_u32 s26, s44, 0
	s_delay_alu instid0(VALU_DEP_1) | instskip(NEXT) | instid1(SALU_CYCLE_1)
	v_readfirstlane_b32 s27, v1
	s_fmac_f32 s46, s29, s33
	s_wait_alu 0xfffe
	s_cvt_f32_i32 s26, s26
	v_ldexp_f32 v1, s25, 1
	s_add_f32 s28, s35, s46
	s_wait_alu 0xfffe
	s_mul_f32 s25, s26, 0x3f317218
	s_delay_alu instid0(VALU_DEP_1)
	v_readfirstlane_b32 s33, v1
	s_add_f32 s29, s27, s28
	s_sub_f32 s30, s28, s35
	s_wait_alu 0xfffe
	s_xor_b32 s35, s25, 0x80000000
	s_sub_f32 s27, s29, s27
	s_sub_f32 s30, s46, s30
	s_wait_alu 0xfffe
	s_fmamk_f32 s35, s26, 0x3f317218, s35
	s_sub_f32 s27, s28, s27
	s_add_f32 s28, s33, s30
	s_wait_alu 0xfffe
	s_fmamk_f32 s26, s26, 0xb102e308, s35
	s_delay_alu instid0(SALU_CYCLE_1) | instskip(SKIP_1) | instid1(SALU_CYCLE_1)
	s_add_f32 s27, s28, s27
	s_wait_alu 0xfffe
	s_add_f32 s28, s25, s26
	s_delay_alu instid0(SALU_CYCLE_1) | instskip(NEXT) | instid1(SALU_CYCLE_2)
	s_add_f32 s30, s29, s27
	s_sub_f32 s25, s28, s25
	s_delay_alu instid0(SALU_CYCLE_2)
	s_add_f32 s33, s28, s30
	s_sub_f32 s29, s30, s29
	s_wait_alu 0xfffe
	s_sub_f32 s25, s26, s25
	s_sub_f32 s35, s33, s28
	;; [unrolled: 1-line block ×3, first 2 shown]
	s_wait_alu 0xfffe
	s_delay_alu instid0(SALU_CYCLE_1) | instskip(SKIP_2) | instid1(SALU_CYCLE_1)
	s_sub_f32 s44, s33, s35
	s_sub_f32 s27, s30, s35
	s_add_f32 s29, s25, s26
	s_sub_f32 s28, s28, s44
	s_wait_alu 0xfffe
	s_delay_alu instid0(SALU_CYCLE_2) | instskip(SKIP_2) | instid1(SALU_CYCLE_1)
	s_add_f32 s27, s27, s28
	s_sub_f32 s28, s29, s25
	s_wait_alu 0xfffe
	s_add_f32 s27, s29, s27
	s_delay_alu instid0(SALU_CYCLE_1) | instskip(SKIP_4) | instid1(SALU_CYCLE_2)
	s_sub_f32 s29, s29, s28
	s_sub_f32 s26, s26, s28
	s_wait_alu 0xfffe
	s_add_f32 s30, s33, s27
	s_sub_f32 s25, s25, s29
	s_sub_f32 s28, s30, s33
	s_wait_alu 0xfffe
	s_delay_alu instid0(SALU_CYCLE_1) | instskip(NEXT) | instid1(SALU_CYCLE_1)
	s_add_f32 s25, s26, s25
	s_sub_f32 s26, s27, s28
	s_wait_alu 0xfffe
	s_delay_alu instid0(SALU_CYCLE_2) | instskip(SKIP_1) | instid1(SALU_CYCLE_2)
	s_add_f32 s25, s25, s26
	s_wait_alu 0xfffe
	s_add_f32 s26, s30, s25
	s_wait_alu 0xfffe
	s_delay_alu instid0(SALU_CYCLE_2) | instskip(SKIP_2) | instid1(SALU_CYCLE_1)
	s_mul_f32 s27, s11, s26
	s_sub_f32 s28, s26, s30
	s_wait_alu 0xfffe
	s_xor_b32 s29, s27, 0x80000000
	s_delay_alu instid0(SALU_CYCLE_1) | instskip(SKIP_2) | instid1(SALU_CYCLE_2)
	s_sub_f32 s25, s25, s28
	s_fmac_f32 s29, s11, s26
	s_wait_alu 0xfffe
	s_fmac_f32 s29, s11, s25
	v_cmp_class_f32_e64 s25, s27, 0x204
	s_delay_alu instid0(SALU_CYCLE_2) | instskip(SKIP_2) | instid1(SALU_CYCLE_1)
	s_add_f32 s26, s27, s29
	s_and_b32 s25, s25, exec_lo
	s_wait_alu 0xfffe
	s_sub_f32 s25, s26, s27
	s_cselect_b32 s26, s27, s26
	s_wait_alu 0xfffe
	s_and_b32 s27, s26, 0x7fffffff
	s_sub_f32 s25, s29, s25
	s_wait_alu 0xfffe
	s_cmp_neq_f32 s27, 0x7f800000
	s_delay_alu instid0(SALU_CYCLE_1)
	s_cselect_b32 s25, s25, 0
	s_cmp_eq_f32 s26, 0x42b17218
	s_cselect_b32 s27, 0x37000000, 0
	s_wait_alu 0xfffe
	s_sub_f32 s26, s26, s27
	s_add_f32 s25, s27, s25
	s_wait_alu 0xfffe
	s_delay_alu instid0(SALU_CYCLE_1) | instskip(NEXT) | instid1(SALU_CYCLE_3)
	s_mul_f32 s28, s26, 0x3fb8aa3b
	s_xor_b32 s29, s28, 0x80000000
	s_rndne_f32 s30, s28
	s_fmamk_f32 s29, s26, 0x3fb8aa3b, s29
	s_cmp_nlt_f32 s26, 0xc2ce8ed0
	s_delay_alu instid0(SALU_CYCLE_1) | instskip(NEXT) | instid1(SALU_CYCLE_1)
	s_sub_f32 s28, s28, s30
	s_fmamk_f32 s29, s26, 0x32a5705f, s29
	s_cselect_b32 vcc_lo, -1, 0
	s_cmp_ngt_f32 s26, 0x42b17218
	s_trunc_f32 s26, s11
	s_add_f32 s28, s28, s29
	s_cvt_i32_f32 s29, s30
	s_delay_alu instid0(SALU_CYCLE_2)
	v_s_exp_f32 s28, s28
	s_wait_alu 0xf1ff
	s_delay_alu instid0(TRANS32_DEP_1) | instid1(SALU_CYCLE_1)
	v_ldexp_f32 v1, s28, s29
	s_mul_f32 s28, s11, 0.5
	s_delay_alu instid0(VALU_DEP_1)
	v_cndmask_b32_e32 v1, 0, v1, vcc_lo
	s_cselect_b32 vcc_lo, -1, 0
	s_wait_alu 0xfffe
	s_cmp_eq_f32 s26, s11
	s_trunc_f32 s29, s28
	v_cndmask_b32_e32 v1, 0x7f800000, v1, vcc_lo
	s_cselect_b32 s30, -1, 0
	s_wait_alu 0xfffe
	s_cmp_neq_f32 s29, s28
	s_delay_alu instid0(VALU_DEP_1)
	v_fma_f32 v2, s25, v1, v1
	v_cmp_class_f32_e64 vcc_lo, v1, 0x204
	s_cselect_b32 s27, -1, 0
	s_wait_alu 0xfffe
	s_and_b32 s25, s30, s27
	s_wait_alu 0xfffd
	v_cndmask_b32_e32 v1, v2, v1, vcc_lo
	s_wait_alu 0xfffe
	s_and_b32 s27, s25, exec_lo
	s_cselect_b32 s27, s10, 1.0
	s_cmp_eq_f32 s26, s11
	v_cmp_class_f32_e64 s26, s10, 0x204
	s_wait_alu 0xfffe
	v_bfi_b32 v1, 0x7fffffff, v1, s27
	s_cselect_b32 vcc_lo, -1, 0
	s_cmp_lt_f32 s10, 0
	s_wait_alu 0xfffe
	s_delay_alu instid0(VALU_DEP_1) | instskip(SKIP_3) | instid1(VALU_DEP_1)
	v_cndmask_b32_e32 v2, 0x7fc00000, v1, vcc_lo
	s_cselect_b32 vcc_lo, -1, 0
	s_cmp_eq_f32 s10, 0
	s_wait_alu 0xfffe
	v_cndmask_b32_e32 v1, v1, v2, vcc_lo
	s_cselect_b32 s27, -1, 0
	s_wait_alu 0xfffe
	s_or_b32 vcc_lo, s27, s26
	s_cmp_lt_f32 s11, 0
	s_cselect_b32 s11, -1, 0
	s_wait_alu 0xfffe
	s_xor_b32 s11, s11, s27
	s_wait_alu 0xfffe
	s_and_b32 s11, s11, exec_lo
	s_cselect_b32 s11, 0, 0x7f800000
	s_and_b32 s25, s25, exec_lo
	s_cselect_b32 s25, s10, 0
	s_cmp_o_f32 s10, s10
	s_wait_alu 0xfffe
	v_mov_b32_e32 v2, s25
	s_delay_alu instid0(VALU_DEP_1) | instskip(NEXT) | instid1(VALU_DEP_1)
	v_bfi_b32 v2, 0x7fffffff, s11, v2
	v_cndmask_b32_e32 v1, v1, v2, vcc_lo
	s_cselect_b32 vcc_lo, -1, 0
	s_wait_alu 0xfffe
	s_delay_alu instid0(VALU_DEP_1)
	v_cndmask_b32_e32 v45, 0x7fc00000, v1, vcc_lo
.LBB56_4:
	v_bfe_u32 v64, v0, 10, 10
	s_lshl_b32 s33, ttmp9, 5
	v_and_b32_e32 v38, 0x3ff, v0
	s_load_b96 s[28:30], s[0:1], 0x70
	s_ashr_i32 s35, s34, 31
	v_dual_mov_b32 v65, 0 :: v_dual_lshlrev_b32 v24, 3, v64
	v_lshlrev_b32_e32 v42, 10, v64
	s_delay_alu instid0(VALU_DEP_2)
	v_or_b32_e32 v36, 1, v24
	v_add_nc_u32_e32 v25, s33, v24
	v_or_b32_e32 v35, 2, v24
	v_or_b32_e32 v33, 3, v24
	;; [unrolled: 1-line block ×3, first 2 shown]
	v_add_nc_u32_e32 v40, s33, v36
	v_mul_hi_u32 v0, v25, s20
	v_add_nc_u32_e32 v39, s33, v35
	v_add_nc_u32_e32 v37, s33, v33
	;; [unrolled: 1-line block ×3, first 2 shown]
	v_mul_hi_u32 v1, v40, s20
	v_or_b32_e32 v30, 5, v24
	v_mul_hi_u32 v2, v39, s20
	v_mul_hi_u32 v3, v37, s20
	v_add_nc_u32_e32 v0, v25, v0
	s_wait_kmcnt 0x0
	s_mul_i32 s26, s34, s29
	s_ashr_i32 s29, s28, 31
	s_mul_i32 s10, s36, s30
	v_add_nc_u32_e32 v1, v40, v1
	v_lshrrev_b32_e32 v0, s21, v0
	v_add_nc_u32_e32 v2, v39, v2
	v_add_nc_u32_e32 v3, v37, v3
	s_wait_alu 0xfffe
	s_lshr_b64 s[44:45], s[28:29], 2
	v_lshrrev_b32_e32 v1, s21, v1
	v_mul_lo_u32 v0, v0, s22
	v_lshrrev_b32_e32 v2, s21, v2
	v_lshrrev_b32_e32 v3, s21, v3
	s_ashr_i32 s11, s10, 31
	v_mul_lo_u32 v4, v1, s22
	s_wait_alu 0xfffe
	s_add_nc_u64 s[4:5], s[4:5], s[10:11]
	v_mul_lo_u32 v2, v2, s22
	v_mul_lo_u32 v9, v3, s22
	v_sub_nc_u32_e32 v53, v25, v0
	s_lshr_b32 s10, s29, 2
	v_mul_hi_u32 v7, v34, s20
	s_ashr_i32 s27, s26, 31
	v_sub_nc_u32_e32 v8, v40, v4
	v_mad_co_u64_u32 v[0:1], null, s44, v53, 0
	v_sub_nc_u32_e32 v10, v39, v2
	s_wait_alu 0xfffe
	s_add_nc_u64 s[4:5], s[4:5], s[26:27]
	v_mad_co_u64_u32 v[2:3], null, s44, v8, 0
	v_or_b32_e32 v26, 6, v24
	v_add_nc_u32_e32 v32, s33, v30
	v_add_nc_u32_e32 v7, v34, v7
	v_sub_nc_u32_e32 v12, v37, v9
	v_or_b32_e32 v27, 7, v24
	v_add_nc_u32_e32 v28, s33, v26
	v_mad_co_u64_u32 v[4:5], null, s10, v53, v[1:2]
	v_mul_hi_u32 v11, v32, s20
	v_lshrrev_b32_e32 v13, s21, v7
	v_add_nc_u32_e32 v29, s33, v27
	s_delay_alu instid0(VALU_DEP_4) | instskip(SKIP_3) | instid1(VALU_DEP_3)
	v_dual_mov_b32 v1, v4 :: v_dual_lshlrev_b32 v6, 3, v38
	v_mad_co_u64_u32 v[3:4], null, s10, v8, v[3:4]
	v_mad_co_u64_u32 v[7:8], null, s44, v12, 0
	s_wait_alu 0xfffe
	v_add_co_u32 v19, s4, s4, v6
	v_mad_co_u64_u32 v[5:6], null, s44, v10, 0
	v_add_nc_u32_e32 v11, v32, v11
	v_lshlrev_b64_e32 v[0:1], 2, v[0:1]
	v_lshlrev_b64_e32 v[2:3], 2, v[2:3]
	s_wait_alu 0xf1ff
	v_add_co_ci_u32_e64 v20, null, s5, 0, s4
	s_mul_u64 s[4:5], s[40:41], s[42:43]
	v_mov_b32_e32 v4, v6
	v_add_co_u32 v0, vcc_lo, v19, v0
	s_wait_alu 0xfffd
	v_add_co_ci_u32_e64 v1, null, v20, v1, vcc_lo
	s_delay_alu instid0(VALU_DEP_3)
	v_mad_co_u64_u32 v[9:10], null, s10, v10, v[4:5]
	v_mul_lo_u32 v10, v13, s22
	v_mul_hi_u32 v13, v28, s20
	v_mov_b32_e32 v4, v8
	v_add_co_u32 v2, vcc_lo, v19, v2
	s_wait_alu 0xfffd
	v_add_co_ci_u32_e64 v3, null, v20, v3, vcc_lo
	v_mov_b32_e32 v6, v9
	v_mad_co_u64_u32 v[8:9], null, s10, v12, v[4:5]
	v_sub_nc_u32_e32 v12, v34, v10
	v_lshrrev_b32_e32 v4, s21, v11
	v_add_nc_u32_e32 v11, v28, v13
	s_delay_alu instid0(VALU_DEP_3) | instskip(NEXT) | instid1(VALU_DEP_3)
	v_mad_co_u64_u32 v[9:10], null, s44, v12, 0
	v_mul_lo_u32 v13, v4, s22
	s_delay_alu instid0(VALU_DEP_3) | instskip(SKIP_1) | instid1(VALU_DEP_2)
	v_lshrrev_b32_e32 v4, s21, v11
	v_mul_hi_u32 v11, v29, s20
	v_mul_lo_u32 v14, v4, s22
	v_lshlrev_b64_e32 v[4:5], 2, v[5:6]
	v_mov_b32_e32 v6, v10
	v_sub_nc_u32_e32 v16, v32, v13
	v_add_nc_u32_e32 v15, v29, v11
	s_delay_alu instid0(VALU_DEP_3) | instskip(NEXT) | instid1(VALU_DEP_2)
	v_mad_co_u64_u32 v[10:11], null, s10, v12, v[6:7]
	v_lshrrev_b32_e32 v6, s21, v15
	s_delay_alu instid0(VALU_DEP_4) | instskip(SKIP_2) | instid1(VALU_DEP_4)
	v_mad_co_u64_u32 v[11:12], null, s44, v16, 0
	v_sub_nc_u32_e32 v18, v28, v14
	v_lshlrev_b64_e32 v[7:8], 2, v[7:8]
	v_mul_lo_u32 v15, v6, s22
	v_add_co_u32 v4, vcc_lo, v19, v4
	s_delay_alu instid0(VALU_DEP_4)
	v_mad_co_u64_u32 v[13:14], null, s44, v18, 0
	v_mov_b32_e32 v6, v12
	s_wait_alu 0xfffd
	v_add_co_ci_u32_e64 v5, null, v20, v5, vcc_lo
	v_sub_nc_u32_e32 v21, v29, v15
	v_lshlrev_b64_e32 v[9:10], 2, v[9:10]
	v_mad_co_u64_u32 v[15:16], null, s10, v16, v[6:7]
	v_mov_b32_e32 v6, v14
	s_delay_alu instid0(VALU_DEP_4) | instskip(SKIP_4) | instid1(VALU_DEP_3)
	v_mad_co_u64_u32 v[16:17], null, s44, v21, 0
	v_add_co_u32 v7, vcc_lo, v19, v7
	s_wait_alu 0xfffd
	v_add_co_ci_u32_e64 v8, null, v20, v8, vcc_lo
	v_mov_b32_e32 v12, v15
	v_mad_co_u64_u32 v[14:15], null, s10, v18, v[6:7]
	v_mov_b32_e32 v6, v17
	v_add_co_u32 v9, vcc_lo, v19, v9
	s_delay_alu instid0(VALU_DEP_4)
	v_lshlrev_b64_e32 v[11:12], 2, v[11:12]
	s_wait_alu 0xfffd
	v_add_co_ci_u32_e64 v10, null, v20, v10, vcc_lo
	v_mad_co_u64_u32 v[17:18], null, s10, v21, v[6:7]
	v_lshlrev_b64_e32 v[13:14], 2, v[13:14]
	s_clause 0x4
	global_load_b64 v[0:1], v[0:1], off
	global_load_b64 v[2:3], v[2:3], off
	;; [unrolled: 1-line block ×5, first 2 shown]
	v_add_co_u32 v10, vcc_lo, v19, v11
	s_wait_alu 0xfffd
	v_add_co_ci_u32_e64 v11, null, v20, v12, vcc_lo
	v_lshlrev_b64_e32 v[15:16], 2, v[16:17]
	v_add_co_u32 v12, vcc_lo, v19, v13
	s_wait_alu 0xfffd
	v_add_co_ci_u32_e64 v13, null, v20, v14, vcc_lo
	s_ashr_i32 s10, s37, 31
	v_add_co_u32 v14, vcc_lo, v19, v15
	s_wait_alu 0xfffd
	v_add_co_ci_u32_e64 v15, null, v20, v16, vcc_lo
	s_clause 0x2
	global_load_b64 v[10:11], v[10:11], off
	global_load_b64 v[12:13], v[12:13], off
	;; [unrolled: 1-line block ×3, first 2 shown]
	v_lshl_add_u32 v16, v38, 2, 0x3400
	s_mov_b32 s37, 0
	s_cmp_eq_u64 s[14:15], 0
	s_delay_alu instid0(VALU_DEP_1)
	v_add_nc_u32_e32 v17, v16, v42
	v_lshl_add_u32 v18, v36, 7, v16
	v_lshl_add_u32 v19, v35, 7, v16
	;; [unrolled: 1-line block ×7, first 2 shown]
	s_wait_loadcnt 0x7
	v_fma_mixlo_f16 v1, s24, v1, 0
	v_fma_mixlo_f16 v0, s24, v0, 0
	s_wait_loadcnt 0x6
	v_fma_mixlo_f16 v2, s24, v2, 0
	v_fma_mixlo_f16 v3, s24, v3, 0
	s_wait_loadcnt 0x5
	v_fma_mixlo_f16 v4, s24, v4, 0
	v_lshlrev_b32_e32 v1, 16, v1
	v_and_b32_e32 v0, 0xffff, v0
	v_fma_mixlo_f16 v5, s24, v5, 0
	s_wait_loadcnt 0x4
	v_fma_mixlo_f16 v6, s24, v6, 0
	v_fma_mixlo_f16 v7, s24, v7, 0
	s_wait_loadcnt 0x3
	v_fma_mixlo_f16 v8, s24, v8, 0
	v_fma_mixlo_f16 v9, s24, v9, 0
	v_or_b32_e32 v0, v1, v0
	v_lshlrev_b32_e32 v1, 16, v3
	v_and_b32_e32 v2, 0xffff, v2
	v_lshlrev_b32_e32 v3, 16, v5
	v_and_b32_e32 v4, 0xffff, v4
	v_lshlrev_b32_e32 v5, 16, v7
	s_wait_loadcnt 0x2
	v_fma_mixlo_f16 v10, s24, v10, 0
	v_fma_mixlo_f16 v11, s24, v11, 0
	s_wait_loadcnt 0x1
	v_fma_mixlo_f16 v12, s24, v12, 0
	v_fma_mixlo_f16 v13, s24, v13, 0
	;; [unrolled: 3-line block ×3, first 2 shown]
	v_and_b32_e32 v6, 0xffff, v6
	v_lshlrev_b32_e32 v7, 16, v9
	v_and_b32_e32 v8, 0xffff, v8
	v_lshlrev_b32_e32 v9, 16, v11
	;; [unrolled: 2-line block ×4, first 2 shown]
	v_and_b32_e32 v14, 0xffff, v14
	v_or_b32_e32 v1, v1, v2
	v_or_b32_e32 v2, v3, v4
	v_or_b32_e32 v3, v5, v6
	v_or_b32_e32 v4, v7, v8
	v_or_b32_e32 v5, v9, v10
	v_or_b32_e32 v6, v11, v12
	v_or_b32_e32 v7, v13, v14
	ds_store_b32 v17, v0
	ds_store_b32 v18, v1
	;; [unrolled: 1-line block ×8, first 2 shown]
	s_wait_dscnt 0x0
	s_barrier_signal -1
	s_barrier_wait -1
	global_inv scope:SCOPE_SE
	s_cbranch_scc1 .LBB56_6
; %bb.5:
	s_load_b32 s2, s[0:1], 0xd0
	s_mov_b32 s25, s37
	s_wait_kmcnt 0x0
	s_mul_i32 s2, s2, s36
	s_delay_alu instid0(SALU_CYCLE_1)
	s_add_co_i32 s24, s2, ttmp9
	s_wait_alu 0xfffe
	s_lshl_b64 s[24:25], s[24:25], 2
	s_wait_alu 0xfffe
	s_add_nc_u64 s[14:15], s[14:15], s[24:25]
	s_load_b32 s2, s[14:15], 0x0
.LBB56_6:
	s_clause 0x2
	s_load_b64 s[14:15], s[0:1], 0x8c
	s_load_b128 s[24:27], s[0:1], 0x98
	s_load_b64 s[42:43], s[0:1], 0xa8
	s_mul_i32 s4, s5, s3
	s_ashr_i32 s28, s31, 1
	s_wait_alu 0xfffe
	s_sub_co_i32 s40, s40, s4
	s_xor_b32 s11, s35, s10
	s_add_co_i32 s29, s5, 1
	s_sub_co_i32 s41, s40, s3
	v_lshrrev_b32_e32 v66, 3, v38
	v_lshlrev_b32_e32 v43, 2, v38
	v_mul_u32_u24_e32 v55, 0x90, v38
	v_or_b32_e32 v54, 1, v25
	v_or_b32_e32 v52, 2, v25
	;; [unrolled: 1-line block ×7, first 2 shown]
	v_add_nc_u32_e32 v46, 0x2400, v42
	s_wait_kmcnt 0x0
	s_ashr_i32 s4, s14, 2
	s_ashr_i32 s10, s26, 2
	s_cmp_ge_u32 s40, s3
	s_mul_u64 s[24:25], s[24:25], s[36:37]
	s_wait_alu 0xfffe
	s_cselect_b32 s5, s29, s5
	s_cselect_b32 s14, s41, s40
	s_wait_alu 0xfffe
	s_add_co_i32 s26, s5, 1
	s_cmp_ge_u32 s14, s3
	s_mul_u64 s[30:31], s[42:43], s[36:37]
	s_wait_alu 0xfffe
	s_cselect_b32 s3, s26, s5
	s_add_nc_u64 s[6:7], s[6:7], s[24:25]
	s_xor_b32 s3, s3, s11
	s_add_nc_u64 s[24:25], s[8:9], s[30:31]
	s_sub_co_i32 s5, s3, s11
	s_and_b32 s8, ttmp7, 0xffff
	s_wait_alu 0xfffe
	s_mul_i32 s30, s5, s15
	s_mul_i32 s26, s5, s27
	v_mbcnt_lo_u32_b32 v41, -1, 0
	s_sub_co_i32 s3, s2, 64
	s_lshl_b32 s14, s8, 6
	s_ashr_i32 s31, s30, 31
	s_wait_alu 0xfffe
	s_ashr_i32 s27, s26, 31
	s_add_nc_u64 s[6:7], s[6:7], s[30:31]
	s_cmp_ge_i32 s14, s3
	s_wait_alu 0xfffe
	s_add_nc_u64 s[24:25], s[24:25], s[26:27]
	s_cbranch_scc1 .LBB56_43
; %bb.7:
	v_mul_hi_u32 v1, s20, v54
	v_mul_hi_u32 v3, s20, v52
	;; [unrolled: 1-line block ×5, first 2 shown]
	v_lshl_add_u32 v9, v64, 2, v66
	v_mul_hi_u32 v14, s20, v49
	v_mul_hi_u32 v17, s20, v47
	v_dual_mov_b32 v58, 0 :: v_dual_add_nc_u32 v5, v54, v1
	v_dual_mov_b32 v60, 0 :: v_dual_add_nc_u32 v3, v52, v3
	;; [unrolled: 1-line block ×3, first 2 shown]
	s_delay_alu instid0(VALU_DEP_3) | instskip(NEXT) | instid1(VALU_DEP_3)
	v_lshrrev_b32_e32 v5, s21, v5
	v_lshrrev_b32_e32 v10, s21, v3
	v_dual_mov_b32 v108, 0xfeffffff :: v_dual_add_nc_u32 v13, v50, v13
	s_delay_alu instid0(VALU_DEP_4) | instskip(NEXT) | instid1(VALU_DEP_4)
	v_lshrrev_b32_e32 v8, s21, v8
	v_mul_lo_u32 v12, v5, s22
	v_mul_lo_u32 v0, s4, v9
	;; [unrolled: 1-line block ×3, first 2 shown]
	v_lshrrev_b32_e32 v13, s21, v13
	v_mul_lo_u32 v8, v8, s22
	s_lshl_b32 s11, s4, 4
	v_dual_mov_b32 v101, 0xfeffffff :: v_dual_add_nc_u32 v14, v49, v14
	v_sub_nc_u32_e32 v12, v54, v12
	v_mul_lo_u32 v13, v13, s22
	s_wait_alu 0xfffe
	v_dual_mov_b32 v59, 0 :: v_dual_add_nc_u32 v2, s11, v0
	v_mov_b32_e32 v97, 0xfeffffff
	v_mul_lo_u32 v79, v12, s28
	v_add_nc_u32_e32 v12, v48, v15
	v_dual_mov_b32 v98, 0xfeffffff :: v_dual_add_nc_u32 v15, v47, v17
	v_sub_nc_u32_e32 v10, v52, v10
	v_lshrrev_b32_e32 v14, s21, v14
	s_delay_alu instid0(VALU_DEP_4) | instskip(NEXT) | instid1(VALU_DEP_4)
	v_lshrrev_b32_e32 v12, s21, v12
	v_lshrrev_b32_e32 v15, s21, v15
	v_sub_nc_u32_e32 v17, v51, v8
	v_mul_lo_u32 v8, s10, v9
	v_dual_mov_b32 v61, 0 :: v_dual_add_nc_u32 v4, s11, v2
	v_mul_lo_u32 v12, v12, s22
	s_ashr_i32 s5, s4, 31
	v_mul_lo_u32 v80, v10, s28
	v_sub_nc_u32_e32 v10, v50, v13
	s_cmp_lg_u64 s[38:39], 0
	v_mul_lo_u32 v14, v14, s22
	v_mul_lo_u32 v15, v15, s22
	s_cselect_b32 s9, -1, 0
	v_dual_mov_b32 v105, 0xfeffffff :: v_dual_add_nc_u32 v6, s11, v4
	s_lshl_b32 s11, s10, 4
	v_sub_nc_u32_e32 v12, v48, v12
	v_mul_lo_u32 v82, v10, s28
	s_wait_alu 0xfffe
	v_dual_mov_b32 v99, 0 :: v_dual_add_nc_u32 v10, s11, v8
	v_dual_mov_b32 v107, 0xfeffffff :: v_dual_and_b32 v16, 28, v43
	v_sub_nc_u32_e32 v13, v49, v14
	v_sub_nc_u32_e32 v14, v47, v15
	v_mul_lo_u32 v84, v12, s28
	v_dual_mov_b32 v95, 0 :: v_dual_add_nc_u32 v12, s11, v10
	v_dual_mov_b32 v56, 0 :: v_dual_lshlrev_b32 v11, 2, v16
	s_delay_alu instid0(VALU_DEP_4) | instskip(NEXT) | instid1(VALU_DEP_3)
	v_mul_lo_u32 v86, v14, s28
	v_dual_mov_b32 v93, 0 :: v_dual_add_nc_u32 v14, s11, v12
	v_ashrrev_i32_e32 v1, 31, v0
	s_delay_alu instid0(VALU_DEP_4)
	v_mad_u32_u24 v74, 0x90, v9, v11
	v_ashrrev_i32_e32 v3, 31, v2
	v_ashrrev_i32_e32 v5, 31, v4
	;; [unrolled: 1-line block ×3, first 2 shown]
	v_mul_lo_u32 v81, v17, s28
	v_mul_lo_u32 v83, v13, s28
	v_lshl_or_b32 v85, v9, 7, v11
	v_dual_mov_b32 v96, 0xfeffffff :: v_dual_lshlrev_b32 v17, 4, v38
	v_ashrrev_i32_e32 v9, 31, v8
	v_ashrrev_i32_e32 v11, 31, v10
	;; [unrolled: 1-line block ×4, first 2 shown]
	v_mul_lo_u32 v78, v53, s28
	v_lshlrev_b64_e32 v[0:1], 2, v[0:1]
	v_lshlrev_b32_e32 v90, 2, v16
	v_lshlrev_b64_e32 v[2:3], 2, v[2:3]
	v_lshlrev_b64_e32 v[4:5], 2, v[4:5]
	;; [unrolled: 1-line block ×3, first 2 shown]
	v_dual_mov_b32 v100, 0 :: v_dual_add_nc_u32 v91, v46, v17
	v_lshlrev_b64_e32 v[16:17], 2, v[8:9]
	v_lshlrev_b64_e32 v[18:19], 2, v[10:11]
	;; [unrolled: 1-line block ×4, first 2 shown]
	v_dual_mov_b32 v57, 0 :: v_dual_add_nc_u32 v44, 0x3400, v42
	v_dual_mov_b32 v62, 0 :: v_dual_add_nc_u32 v75, 0x900, v74
	;; [unrolled: 1-line block ×5, first 2 shown]
	v_add_nc_u32_e32 v88, 0x1000, v85
	v_dual_mov_b32 v102, 0 :: v_dual_add_nc_u32 v89, 0x1800, v85
	v_mbcnt_lo_u32_b32 v92, -1, 0
	v_mov_b32_e32 v94, 0
	s_ashr_i32 s11, s10, 31
	s_add_nc_u64 s[26:27], s[0:1], 0xd0
.LBB56_8:                               ; =>This Inner Loop Header: Depth=1
	s_ashr_i32 s15, s14, 31
	v_dual_mov_b32 v73, 0 :: v_dual_mov_b32 v70, 0
	s_wait_alu 0xfffe
	s_mul_u64 s[30:31], s[14:15], s[4:5]
	v_dual_mov_b32 v72, 0 :: v_dual_mov_b32 v71, 0
	s_wait_alu 0xfffe
	s_lshl_b64 s[30:31], s[30:31], 2
	v_mov_b32_e32 v69, 0
	s_wait_alu 0xfffe
	s_add_nc_u64 s[30:31], s[6:7], s[30:31]
	s_wait_alu 0xfffe
	v_add_co_u32 v8, vcc_lo, s30, v0
	s_wait_alu 0xfffd
	v_add_co_ci_u32_e64 v9, null, s31, v1, vcc_lo
	v_add_co_u32 v10, vcc_lo, s30, v2
	s_wait_alu 0xfffd
	v_add_co_ci_u32_e64 v11, null, s31, v3, vcc_lo
	;; [unrolled: 3-line block ×8, first 2 shown]
	s_clause 0x3
	global_load_b128 v[8:11], v[8:9], off
	global_load_b128 v[109:112], v[12:13], off
	;; [unrolled: 1-line block ×4, first 2 shown]
	v_dual_mov_b32 v68, 0 :: v_dual_mov_b32 v65, 0
	v_dual_mov_b32 v14, 0 :: v_dual_mov_b32 v13, 0
	;; [unrolled: 1-line block ×3, first 2 shown]
	v_mov_b32_e32 v15, 0
	s_and_not1_b32 vcc_lo, exec_lo, s9
	s_wait_loadcnt 0x3
	ds_store_b128 v74, v[8:11]
	s_wait_loadcnt 0x2
	ds_store_b128 v75, v[109:112]
	;; [unrolled: 2-line block ×4, first 2 shown]
	s_wait_dscnt 0x0
	s_barrier_signal -1
	s_barrier_wait -1
	global_inv scope:SCOPE_SE
	ds_load_b128 v[111:114], v55
	ds_load_b128 v[115:118], v44
	ds_load_b128 v[119:122], v44 offset:128
	ds_load_b128 v[123:126], v44 offset:256
	;; [unrolled: 1-line block ×8, first 2 shown]
	s_wait_dscnt 0x8
	;;#ASMSTART
	v_dot2_f32_f16 v73, v111, v115, v73
	;;#ASMEND
	;;#ASMSTART
	v_dot2_f32_f16 v73, v112, v116, v73
	;;#ASMEND
	;;#ASMSTART
	v_dot2_f32_f16 v73, v113, v117, v73
	;;#ASMEND
	;;#ASMSTART
	v_dot2_f32_f16 v73, v114, v118, v73
	;;#ASMEND
	s_wait_dscnt 0x7
	;;#ASMSTART
	v_dot2_f32_f16 v70, v111, v119, v70
	;;#ASMEND
	;;#ASMSTART
	v_dot2_f32_f16 v70, v112, v120, v70
	;;#ASMEND
	;;#ASMSTART
	v_dot2_f32_f16 v70, v113, v121, v70
	;;#ASMEND
	;;#ASMSTART
	v_dot2_f32_f16 v70, v114, v122, v70
	;;#ASMEND
	s_wait_dscnt 0x6
	;;#ASMSTART
	v_dot2_f32_f16 v68, v111, v123, v68
	;;#ASMEND
	;;#ASMSTART
	v_dot2_f32_f16 v68, v112, v124, v68
	;;#ASMEND
	;;#ASMSTART
	v_dot2_f32_f16 v68, v113, v125, v68
	;;#ASMEND
	;;#ASMSTART
	v_dot2_f32_f16 v68, v114, v126, v68
	;;#ASMEND
	s_wait_dscnt 0x5
	;;#ASMSTART
	v_dot2_f32_f16 v65, v111, v127, v65
	;;#ASMEND
	;;#ASMSTART
	v_dot2_f32_f16 v65, v112, v128, v65
	;;#ASMEND
	;;#ASMSTART
	v_dot2_f32_f16 v65, v113, v129, v65
	;;#ASMEND
	;;#ASMSTART
	v_dot2_f32_f16 v65, v114, v130, v65
	;;#ASMEND
	s_wait_dscnt 0x3
	;;#ASMSTART
	v_dot2_f32_f16 v14, v111, v135, v14
	;;#ASMEND
	;;#ASMSTART
	v_dot2_f32_f16 v14, v112, v136, v14
	;;#ASMEND
	;;#ASMSTART
	v_dot2_f32_f16 v14, v113, v137, v14
	;;#ASMEND
	;;#ASMSTART
	v_dot2_f32_f16 v14, v114, v138, v14
	;;#ASMEND
	s_wait_dscnt 0x2
	;;#ASMSTART
	v_dot2_f32_f16 v13, v111, v139, v13
	;;#ASMEND
	;;#ASMSTART
	v_dot2_f32_f16 v13, v112, v140, v13
	;;#ASMEND
	v_dual_mov_b32 v11, 0 :: v_dual_mov_b32 v10, 0
	;;#ASMSTART
	v_dot2_f32_f16 v13, v113, v141, v13
	;;#ASMEND
	;;#ASMSTART
	v_dot2_f32_f16 v13, v114, v142, v13
	;;#ASMEND
	s_wait_dscnt 0x1
	;;#ASMSTART
	v_dot2_f32_f16 v11, v111, v143, v11
	;;#ASMEND
	;;#ASMSTART
	v_dot2_f32_f16 v11, v112, v144, v11
	;;#ASMEND
	;;#ASMSTART
	v_dot2_f32_f16 v11, v113, v145, v11
	;;#ASMEND
	;;#ASMSTART
	v_dot2_f32_f16 v11, v114, v146, v11
	;;#ASMEND
	s_wait_dscnt 0x0
	;;#ASMSTART
	v_dot2_f32_f16 v10, v111, v147, v10
	;;#ASMEND
	;;#ASMSTART
	v_dot2_f32_f16 v10, v112, v148, v10
	;;#ASMEND
	v_dual_mov_b32 v110, 0 :: v_dual_mov_b32 v109, 0
	;;#ASMSTART
	v_dot2_f32_f16 v10, v113, v149, v10
	;;#ASMEND
	;;#ASMSTART
	v_dot2_f32_f16 v10, v114, v150, v10
	;;#ASMEND
	;; [unrolled: 3-line block ×34, first 2 shown]
	ds_load_b128 v[111:114], v55 offset:16
	ds_load_b128 v[115:118], v44 offset:16
	;; [unrolled: 1-line block ×10, first 2 shown]
	s_wait_dscnt 0x8
	;;#ASMSTART
	v_dot2_f32_f16 v73, v111, v115, v73
	;;#ASMEND
	;;#ASMSTART
	v_dot2_f32_f16 v73, v112, v116, v73
	;;#ASMEND
	;;#ASMSTART
	v_dot2_f32_f16 v73, v113, v117, v73
	;;#ASMEND
	;;#ASMSTART
	v_dot2_f32_f16 v73, v114, v118, v73
	;;#ASMEND
	s_wait_dscnt 0x7
	;;#ASMSTART
	v_dot2_f32_f16 v70, v111, v119, v70
	;;#ASMEND
	;;#ASMSTART
	v_dot2_f32_f16 v70, v112, v120, v70
	;;#ASMEND
	;;#ASMSTART
	v_dot2_f32_f16 v70, v113, v121, v70
	;;#ASMEND
	;;#ASMSTART
	v_dot2_f32_f16 v70, v114, v122, v70
	;;#ASMEND
	;; [unrolled: 13-line block ×8, first 2 shown]
	;;#ASMSTART
	v_dot2_f32_f16 v110, v131, v115, v110
	;;#ASMEND
	;;#ASMSTART
	v_dot2_f32_f16 v110, v132, v116, v110
	;;#ASMEND
	;; [unrolled: 3-line block ×32, first 2 shown]
	ds_load_b128 v[111:114], v55 offset:32
	ds_load_b128 v[115:118], v44 offset:32
	;; [unrolled: 1-line block ×10, first 2 shown]
	s_wait_dscnt 0x8
	;;#ASMSTART
	v_dot2_f32_f16 v73, v111, v115, v73
	;;#ASMEND
	;;#ASMSTART
	v_dot2_f32_f16 v73, v112, v116, v73
	;;#ASMEND
	;;#ASMSTART
	v_dot2_f32_f16 v73, v113, v117, v73
	;;#ASMEND
	;;#ASMSTART
	v_dot2_f32_f16 v73, v114, v118, v73
	;;#ASMEND
	s_wait_dscnt 0x7
	;;#ASMSTART
	v_dot2_f32_f16 v70, v111, v119, v70
	;;#ASMEND
	;;#ASMSTART
	v_dot2_f32_f16 v70, v112, v120, v70
	;;#ASMEND
	;;#ASMSTART
	v_dot2_f32_f16 v70, v113, v121, v70
	;;#ASMEND
	;;#ASMSTART
	v_dot2_f32_f16 v70, v114, v122, v70
	;;#ASMEND
	;; [unrolled: 13-line block ×8, first 2 shown]
	;;#ASMSTART
	v_dot2_f32_f16 v110, v131, v115, v110
	;;#ASMEND
	;;#ASMSTART
	v_dot2_f32_f16 v110, v132, v116, v110
	;;#ASMEND
	;; [unrolled: 3-line block ×32, first 2 shown]
	ds_load_b128 v[111:114], v55 offset:48
	ds_load_b128 v[115:118], v44 offset:48
	;; [unrolled: 1-line block ×10, first 2 shown]
	s_wait_dscnt 0x8
	;;#ASMSTART
	v_dot2_f32_f16 v73, v111, v115, v73
	;;#ASMEND
	;;#ASMSTART
	v_dot2_f32_f16 v73, v112, v116, v73
	;;#ASMEND
	;;#ASMSTART
	v_dot2_f32_f16 v73, v113, v117, v73
	;;#ASMEND
	;;#ASMSTART
	v_dot2_f32_f16 v73, v114, v118, v73
	;;#ASMEND
	s_wait_dscnt 0x7
	;;#ASMSTART
	v_dot2_f32_f16 v70, v111, v119, v70
	;;#ASMEND
	;;#ASMSTART
	v_dot2_f32_f16 v70, v112, v120, v70
	;;#ASMEND
	;;#ASMSTART
	v_dot2_f32_f16 v70, v113, v121, v70
	;;#ASMEND
	;;#ASMSTART
	v_dot2_f32_f16 v70, v114, v122, v70
	;;#ASMEND
	;; [unrolled: 13-line block ×8, first 2 shown]
	;;#ASMSTART
	v_dot2_f32_f16 v110, v131, v115, v110
	;;#ASMEND
	;;#ASMSTART
	v_dot2_f32_f16 v110, v132, v116, v110
	;;#ASMEND
	;; [unrolled: 3-line block ×32, first 2 shown]
	ds_load_b128 v[111:114], v55 offset:64
	ds_load_b128 v[115:118], v44 offset:64
	;; [unrolled: 1-line block ×10, first 2 shown]
	s_wait_dscnt 0x8
	;;#ASMSTART
	v_dot2_f32_f16 v73, v111, v115, v73
	;;#ASMEND
	;;#ASMSTART
	v_dot2_f32_f16 v73, v112, v116, v73
	;;#ASMEND
	;;#ASMSTART
	v_dot2_f32_f16 v73, v113, v117, v73
	;;#ASMEND
	;;#ASMSTART
	v_dot2_f32_f16 v73, v114, v118, v73
	;;#ASMEND
	s_wait_dscnt 0x7
	;;#ASMSTART
	v_dot2_f32_f16 v70, v111, v119, v70
	;;#ASMEND
	;;#ASMSTART
	v_dot2_f32_f16 v70, v112, v120, v70
	;;#ASMEND
	;;#ASMSTART
	v_dot2_f32_f16 v70, v113, v121, v70
	;;#ASMEND
	;;#ASMSTART
	v_dot2_f32_f16 v70, v114, v122, v70
	;;#ASMEND
	;; [unrolled: 13-line block ×8, first 2 shown]
	;;#ASMSTART
	v_dot2_f32_f16 v110, v131, v115, v110
	;;#ASMEND
	;;#ASMSTART
	v_dot2_f32_f16 v110, v132, v116, v110
	;;#ASMEND
	;; [unrolled: 3-line block ×32, first 2 shown]
	ds_load_b128 v[111:114], v55 offset:80
	ds_load_b128 v[115:118], v44 offset:80
	;; [unrolled: 1-line block ×10, first 2 shown]
	s_wait_dscnt 0x8
	;;#ASMSTART
	v_dot2_f32_f16 v73, v111, v115, v73
	;;#ASMEND
	;;#ASMSTART
	v_dot2_f32_f16 v73, v112, v116, v73
	;;#ASMEND
	;;#ASMSTART
	v_dot2_f32_f16 v73, v113, v117, v73
	;;#ASMEND
	;;#ASMSTART
	v_dot2_f32_f16 v73, v114, v118, v73
	;;#ASMEND
	s_wait_dscnt 0x7
	;;#ASMSTART
	v_dot2_f32_f16 v70, v111, v119, v70
	;;#ASMEND
	;;#ASMSTART
	v_dot2_f32_f16 v70, v112, v120, v70
	;;#ASMEND
	;;#ASMSTART
	v_dot2_f32_f16 v70, v113, v121, v70
	;;#ASMEND
	;;#ASMSTART
	v_dot2_f32_f16 v70, v114, v122, v70
	;;#ASMEND
	s_wait_dscnt 0x6
	;;#ASMSTART
	v_dot2_f32_f16 v68, v111, v123, v68
	;;#ASMEND
	;;#ASMSTART
	v_dot2_f32_f16 v68, v112, v124, v68
	;;#ASMEND
	;;#ASMSTART
	v_dot2_f32_f16 v68, v113, v125, v68
	;;#ASMEND
	;;#ASMSTART
	v_dot2_f32_f16 v68, v114, v126, v68
	;;#ASMEND
	s_wait_dscnt 0x5
	;;#ASMSTART
	v_dot2_f32_f16 v65, v111, v127, v65
	;;#ASMEND
	;;#ASMSTART
	v_dot2_f32_f16 v65, v112, v128, v65
	;;#ASMEND
	;;#ASMSTART
	v_dot2_f32_f16 v65, v113, v129, v65
	;;#ASMEND
	;;#ASMSTART
	v_dot2_f32_f16 v65, v114, v130, v65
	;;#ASMEND
	s_wait_dscnt 0x3
	;;#ASMSTART
	v_dot2_f32_f16 v14, v111, v135, v14
	;;#ASMEND
	;;#ASMSTART
	v_dot2_f32_f16 v14, v112, v136, v14
	;;#ASMEND
	;;#ASMSTART
	v_dot2_f32_f16 v14, v113, v137, v14
	;;#ASMEND
	;;#ASMSTART
	v_dot2_f32_f16 v14, v114, v138, v14
	;;#ASMEND
	s_wait_dscnt 0x2
	;;#ASMSTART
	v_dot2_f32_f16 v13, v111, v139, v13
	;;#ASMEND
	;;#ASMSTART
	v_dot2_f32_f16 v13, v112, v140, v13
	;;#ASMEND
	;;#ASMSTART
	v_dot2_f32_f16 v13, v113, v141, v13
	;;#ASMEND
	;;#ASMSTART
	v_dot2_f32_f16 v13, v114, v142, v13
	;;#ASMEND
	s_wait_dscnt 0x1
	;;#ASMSTART
	v_dot2_f32_f16 v11, v111, v143, v11
	;;#ASMEND
	;;#ASMSTART
	v_dot2_f32_f16 v11, v112, v144, v11
	;;#ASMEND
	;;#ASMSTART
	v_dot2_f32_f16 v11, v113, v145, v11
	;;#ASMEND
	;;#ASMSTART
	v_dot2_f32_f16 v11, v114, v146, v11
	;;#ASMEND
	s_wait_dscnt 0x0
	;;#ASMSTART
	v_dot2_f32_f16 v10, v111, v147, v10
	;;#ASMEND
	;;#ASMSTART
	v_dot2_f32_f16 v10, v112, v148, v10
	;;#ASMEND
	;;#ASMSTART
	v_dot2_f32_f16 v10, v113, v149, v10
	;;#ASMEND
	;;#ASMSTART
	v_dot2_f32_f16 v10, v114, v150, v10
	;;#ASMEND
	;;#ASMSTART
	v_dot2_f32_f16 v110, v131, v115, v110
	;;#ASMEND
	;;#ASMSTART
	v_dot2_f32_f16 v110, v132, v116, v110
	;;#ASMEND
	;; [unrolled: 3-line block ×32, first 2 shown]
	ds_load_b128 v[111:114], v55 offset:96
	ds_load_b128 v[115:118], v44 offset:96
	ds_load_b128 v[119:122], v44 offset:224
	ds_load_b128 v[123:126], v44 offset:352
	ds_load_b128 v[127:130], v44 offset:480
	ds_load_b128 v[131:134], v55 offset:4704
	ds_load_b128 v[135:138], v44 offset:608
	ds_load_b128 v[139:142], v44 offset:736
	ds_load_b128 v[143:146], v44 offset:864
	ds_load_b128 v[147:150], v44 offset:992
	s_wait_dscnt 0x8
	;;#ASMSTART
	v_dot2_f32_f16 v73, v111, v115, v73
	;;#ASMEND
	;;#ASMSTART
	v_dot2_f32_f16 v73, v112, v116, v73
	;;#ASMEND
	;;#ASMSTART
	v_dot2_f32_f16 v73, v113, v117, v73
	;;#ASMEND
	;;#ASMSTART
	v_dot2_f32_f16 v73, v114, v118, v73
	;;#ASMEND
	s_wait_dscnt 0x7
	;;#ASMSTART
	v_dot2_f32_f16 v70, v111, v119, v70
	;;#ASMEND
	;;#ASMSTART
	v_dot2_f32_f16 v70, v112, v120, v70
	;;#ASMEND
	;;#ASMSTART
	v_dot2_f32_f16 v70, v113, v121, v70
	;;#ASMEND
	;;#ASMSTART
	v_dot2_f32_f16 v70, v114, v122, v70
	;;#ASMEND
	;; [unrolled: 13-line block ×8, first 2 shown]
	;;#ASMSTART
	v_dot2_f32_f16 v110, v131, v115, v110
	;;#ASMEND
	;;#ASMSTART
	v_dot2_f32_f16 v110, v132, v116, v110
	;;#ASMEND
	;; [unrolled: 3-line block ×32, first 2 shown]
	ds_load_b128 v[112:115], v55 offset:112
	ds_load_b128 v[116:119], v44 offset:112
	;; [unrolled: 1-line block ×10, first 2 shown]
	s_wait_dscnt 0x8
	;;#ASMSTART
	v_dot2_f32_f16 v73, v112, v116, v73
	;;#ASMEND
	;;#ASMSTART
	v_dot2_f32_f16 v73, v113, v117, v73
	;;#ASMEND
	;;#ASMSTART
	v_dot2_f32_f16 v73, v114, v118, v73
	;;#ASMEND
	;;#ASMSTART
	v_dot2_f32_f16 v73, v115, v119, v73
	;;#ASMEND
	s_wait_dscnt 0x7
	;;#ASMSTART
	v_dot2_f32_f16 v70, v112, v123, v70
	;;#ASMEND
	;;#ASMSTART
	v_dot2_f32_f16 v70, v113, v124, v70
	;;#ASMEND
	;;#ASMSTART
	v_dot2_f32_f16 v70, v114, v125, v70
	;;#ASMEND
	;;#ASMSTART
	v_dot2_f32_f16 v70, v115, v126, v70
	;;#ASMEND
	;; [unrolled: 13-line block ×8, first 2 shown]
	;;#ASMSTART
	v_dot2_f32_f16 v110, v135, v116, v110
	;;#ASMEND
	;;#ASMSTART
	v_dot2_f32_f16 v110, v136, v117, v110
	;;#ASMEND
	;; [unrolled: 3-line block ×11, first 2 shown]
	v_add_nc_u32_e32 v122, s14, v38
	;;#ASMSTART
	v_dot2_f32_f16 v72, v138, v130, v72
	;;#ASMEND
	;;#ASMSTART
	v_dot2_f32_f16 v71, v135, v131, v71
	;;#ASMEND
	;; [unrolled: 3-line block ×7, first 2 shown]
	v_add_nc_u32_e32 v8, v122, v78
	;;#ASMSTART
	v_dot2_f32_f16 v69, v137, v141, v69
	;;#ASMEND
	;;#ASMSTART
	v_dot2_f32_f16 v69, v138, v142, v69
	;;#ASMEND
	;; [unrolled: 3-line block ×7, first 2 shown]
	v_mov_b32_e32 v111, 0
	v_ashrrev_i32_e32 v9, 31, v8
	;;#ASMSTART
	v_dot2_f32_f16 v15, v136, v148, v15
	;;#ASMEND
	;;#ASMSTART
	v_dot2_f32_f16 v15, v137, v149, v15
	;;#ASMEND
	;; [unrolled: 3-line block ×7, first 2 shown]
	s_wait_alu 0xfffe
	s_cbranch_vccnz .LBB56_10
; %bb.9:                                ;   in Loop: Header=BB56_8 Depth=1
	v_lshlrev_b64_e32 v[111:112], 1, v[8:9]
	s_delay_alu instid0(VALU_DEP_1) | instskip(SKIP_1) | instid1(VALU_DEP_2)
	v_add_co_u32 v111, vcc_lo, s38, v111
	s_wait_alu 0xfffd
	v_add_co_ci_u32_e64 v112, null, s39, v112, vcc_lo
	global_load_u16 v111, v[111:112], off
	s_wait_loadcnt 0x0
	v_cvt_f32_f16_e32 v111, v111
	s_delay_alu instid0(VALU_DEP_1)
	v_mul_f32_e32 v111, v45, v111
.LBB56_10:                              ;   in Loop: Header=BB56_8 Depth=1
	v_dual_mov_b32 v115, 0 :: v_dual_mov_b32 v112, 0
	s_and_not1_b32 vcc_lo, exec_lo, s9
	s_wait_alu 0xfffe
	s_cbranch_vccnz .LBB56_12
; %bb.11:                               ;   in Loop: Header=BB56_8 Depth=1
	v_lshlrev_b64_e32 v[8:9], 1, v[8:9]
	s_delay_alu instid0(VALU_DEP_1) | instskip(SKIP_1) | instid1(VALU_DEP_2)
	v_add_co_u32 v8, vcc_lo, s38, v8
	s_wait_alu 0xfffd
	v_add_co_ci_u32_e64 v9, null, s39, v9, vcc_lo
	global_load_u16 v8, v[8:9], off offset:64
	s_wait_loadcnt 0x0
	v_cvt_f32_f16_e32 v8, v8
	s_delay_alu instid0(VALU_DEP_1)
	v_mul_f32_e32 v112, v45, v8
.LBB56_12:                              ;   in Loop: Header=BB56_8 Depth=1
	v_xor_b32_e32 v8, 16, v92
	s_delay_alu instid0(VALU_DEP_2) | instskip(NEXT) | instid1(VALU_DEP_2)
	v_dual_add_f32 v111, v73, v111 :: v_dual_add_f32 v112, v110, v112
	v_cmp_gt_i32_e32 vcc_lo, 32, v8
	s_delay_alu instid0(VALU_DEP_2) | instskip(NEXT) | instid1(VALU_DEP_3)
	v_add_f32_e32 v9, 0x40051340, v111
	v_add_f32_e32 v73, 0x40051340, v112
	s_wait_alu 0xfffd
	v_cndmask_b32_e32 v8, v92, v8, vcc_lo
	s_delay_alu instid0(VALU_DEP_1) | instskip(NEXT) | instid1(VALU_DEP_3)
	v_lshlrev_b32_e32 v124, 2, v8
	v_max3_num_f32 v8, v107, v9, v73
	v_xor_b32_e32 v73, 8, v92
	s_delay_alu instid0(VALU_DEP_1)
	v_cmp_gt_i32_e32 vcc_lo, 32, v73
	s_wait_alu 0xfffd
	v_cndmask_b32_e32 v73, v92, v73, vcc_lo
	ds_bpermute_b32 v9, v124, v8
	v_lshlrev_b32_e32 v114, 2, v73
	v_xor_b32_e32 v73, 4, v92
	s_delay_alu instid0(VALU_DEP_1) | instskip(SKIP_4) | instid1(VALU_DEP_2)
	v_cmp_gt_i32_e32 vcc_lo, 32, v73
	s_wait_alu 0xfffd
	v_cndmask_b32_e32 v73, v92, v73, vcc_lo
	s_wait_dscnt 0x0
	v_max_num_f32_e32 v9, v9, v9
	v_lshlrev_b32_e32 v113, 2, v73
	v_xor_b32_e32 v73, 2, v92
	s_delay_alu instid0(VALU_DEP_3) | instskip(NEXT) | instid1(VALU_DEP_2)
	v_max_num_f32_e32 v8, v8, v9
	v_cmp_gt_i32_e32 vcc_lo, 32, v73
	ds_bpermute_b32 v9, v114, v8
	s_wait_alu 0xfffd
	v_cndmask_b32_e32 v73, v92, v73, vcc_lo
	s_delay_alu instid0(VALU_DEP_1) | instskip(SKIP_1) | instid1(VALU_DEP_1)
	v_lshlrev_b32_e32 v110, 2, v73
	v_xor_b32_e32 v73, 1, v92
	v_cmp_gt_i32_e32 vcc_lo, 32, v73
	s_wait_alu 0xfffd
	v_cndmask_b32_e32 v73, v92, v73, vcc_lo
	s_and_not1_b32 vcc_lo, exec_lo, s9
	s_wait_dscnt 0x0
	v_max_num_f32_e32 v9, v9, v9
	s_delay_alu instid0(VALU_DEP_2) | instskip(NEXT) | instid1(VALU_DEP_2)
	v_lshlrev_b32_e32 v73, 2, v73
	v_max_num_f32_e32 v8, v8, v9
	ds_bpermute_b32 v9, v113, v8
	s_wait_dscnt 0x0
	v_max_num_f32_e32 v9, v9, v9
	s_delay_alu instid0(VALU_DEP_1) | instskip(SKIP_3) | instid1(VALU_DEP_1)
	v_max_num_f32_e32 v8, v8, v9
	ds_bpermute_b32 v9, v110, v8
	s_wait_dscnt 0x0
	v_max_num_f32_e32 v9, v9, v9
	v_dual_max_num_f32 v125, v8, v9 :: v_dual_add_nc_u32 v8, v122, v79
	ds_bpermute_b32 v126, v73, v125
	v_ashrrev_i32_e32 v9, 31, v8
	s_wait_alu 0xfffe
	s_cbranch_vccnz .LBB56_14
; %bb.13:                               ;   in Loop: Header=BB56_8 Depth=1
	s_delay_alu instid0(VALU_DEP_1) | instskip(NEXT) | instid1(VALU_DEP_1)
	v_lshlrev_b64_e32 v[115:116], 1, v[8:9]
	v_add_co_u32 v115, vcc_lo, s38, v115
	s_wait_alu 0xfffd
	s_delay_alu instid0(VALU_DEP_2) | instskip(SKIP_3) | instid1(VALU_DEP_1)
	v_add_co_ci_u32_e64 v116, null, s39, v116, vcc_lo
	global_load_u16 v115, v[115:116], off
	s_wait_loadcnt 0x0
	v_cvt_f32_f16_e32 v115, v115
	v_mul_f32_e32 v115, v45, v115
.LBB56_14:                              ;   in Loop: Header=BB56_8 Depth=1
	v_mov_b32_e32 v116, 0
	v_mov_b32_e32 v118, 0
	s_and_not1_b32 vcc_lo, exec_lo, s9
	s_wait_alu 0xfffe
	s_cbranch_vccnz .LBB56_16
; %bb.15:                               ;   in Loop: Header=BB56_8 Depth=1
	v_lshlrev_b64_e32 v[8:9], 1, v[8:9]
	s_delay_alu instid0(VALU_DEP_1) | instskip(SKIP_1) | instid1(VALU_DEP_2)
	v_add_co_u32 v8, vcc_lo, s38, v8
	s_wait_alu 0xfffd
	v_add_co_ci_u32_e64 v9, null, s39, v9, vcc_lo
	global_load_u16 v8, v[8:9], off offset:64
	s_wait_loadcnt 0x0
	v_cvt_f32_f16_e32 v8, v8
	s_delay_alu instid0(VALU_DEP_1)
	v_mul_f32_e32 v118, v45, v8
.LBB56_16:                              ;   in Loop: Header=BB56_8 Depth=1
	s_delay_alu instid0(VALU_DEP_1) | instskip(SKIP_1) | instid1(VALU_DEP_1)
	v_dual_add_f32 v117, v70, v115 :: v_dual_add_f32 v118, v109, v118
	s_and_not1_b32 vcc_lo, exec_lo, s9
	v_dual_add_f32 v8, 0x40051340, v117 :: v_dual_add_f32 v9, 0x40051340, v118
	s_delay_alu instid0(VALU_DEP_1) | instskip(SKIP_3) | instid1(VALU_DEP_1)
	v_max3_num_f32 v8, v108, v8, v9
	ds_bpermute_b32 v9, v124, v8
	s_wait_dscnt 0x0
	v_max_num_f32_e32 v9, v9, v9
	v_max_num_f32_e32 v8, v8, v9
	ds_bpermute_b32 v9, v114, v8
	s_wait_dscnt 0x0
	v_max_num_f32_e32 v9, v9, v9
	s_delay_alu instid0(VALU_DEP_1) | instskip(SKIP_3) | instid1(VALU_DEP_1)
	v_max_num_f32_e32 v8, v8, v9
	ds_bpermute_b32 v9, v113, v8
	s_wait_dscnt 0x0
	v_max_num_f32_e32 v9, v9, v9
	v_max_num_f32_e32 v8, v8, v9
	ds_bpermute_b32 v9, v110, v8
	s_wait_dscnt 0x0
	v_max_num_f32_e32 v9, v9, v9
	s_delay_alu instid0(VALU_DEP_1)
	v_dual_max_num_f32 v127, v8, v9 :: v_dual_add_nc_u32 v8, v122, v80
	ds_bpermute_b32 v128, v73, v127
	v_ashrrev_i32_e32 v9, 31, v8
	s_wait_alu 0xfffe
	s_cbranch_vccnz .LBB56_18
; %bb.17:                               ;   in Loop: Header=BB56_8 Depth=1
	s_delay_alu instid0(VALU_DEP_1) | instskip(NEXT) | instid1(VALU_DEP_1)
	v_lshlrev_b64_e32 v[115:116], 1, v[8:9]
	v_add_co_u32 v115, vcc_lo, s38, v115
	s_wait_alu 0xfffd
	s_delay_alu instid0(VALU_DEP_2) | instskip(SKIP_3) | instid1(VALU_DEP_1)
	v_add_co_ci_u32_e64 v116, null, s39, v116, vcc_lo
	global_load_u16 v70, v[115:116], off
	s_wait_loadcnt 0x0
	v_cvt_f32_f16_e32 v70, v70
	v_mul_f32_e32 v116, v45, v70
.LBB56_18:                              ;   in Loop: Header=BB56_8 Depth=1
	v_dual_mov_b32 v109, 0 :: v_dual_mov_b32 v70, 0
	s_and_not1_b32 vcc_lo, exec_lo, s9
	s_wait_alu 0xfffe
	s_cbranch_vccnz .LBB56_20
; %bb.19:                               ;   in Loop: Header=BB56_8 Depth=1
	v_lshlrev_b64_e32 v[8:9], 1, v[8:9]
	s_delay_alu instid0(VALU_DEP_1) | instskip(SKIP_1) | instid1(VALU_DEP_2)
	v_add_co_u32 v8, vcc_lo, s38, v8
	s_wait_alu 0xfffd
	v_add_co_ci_u32_e64 v9, null, s39, v9, vcc_lo
	global_load_u16 v8, v[8:9], off offset:64
	s_wait_loadcnt 0x0
	v_cvt_f32_f16_e32 v8, v8
	s_delay_alu instid0(VALU_DEP_1)
	v_mul_f32_e32 v70, v45, v8
.LBB56_20:                              ;   in Loop: Header=BB56_8 Depth=1
	s_delay_alu instid0(VALU_DEP_1) | instskip(SKIP_2) | instid1(VALU_DEP_1)
	v_add_f32_e32 v70, v72, v70
	v_add_f32_e32 v68, v68, v116
	s_and_not1_b32 vcc_lo, exec_lo, s9
	v_dual_add_f32 v9, 0x40051340, v70 :: v_dual_add_f32 v8, 0x40051340, v68
	s_delay_alu instid0(VALU_DEP_1) | instskip(SKIP_3) | instid1(VALU_DEP_1)
	v_max3_num_f32 v8, v105, v8, v9
	ds_bpermute_b32 v9, v124, v8
	s_wait_dscnt 0x0
	v_max_num_f32_e32 v9, v9, v9
	v_max_num_f32_e32 v8, v8, v9
	ds_bpermute_b32 v9, v114, v8
	s_wait_dscnt 0x0
	v_max_num_f32_e32 v9, v9, v9
	s_delay_alu instid0(VALU_DEP_1) | instskip(SKIP_3) | instid1(VALU_DEP_1)
	v_max_num_f32_e32 v8, v8, v9
	ds_bpermute_b32 v9, v113, v8
	s_wait_dscnt 0x0
	v_max_num_f32_e32 v9, v9, v9
	v_max_num_f32_e32 v8, v8, v9
	ds_bpermute_b32 v9, v110, v8
	s_wait_dscnt 0x0
	v_max_num_f32_e32 v9, v9, v9
	s_delay_alu instid0(VALU_DEP_1)
	v_max_num_f32_e32 v72, v8, v9
	v_add_nc_u32_e32 v8, v122, v81
	ds_bpermute_b32 v129, v73, v72
	v_ashrrev_i32_e32 v9, 31, v8
	s_wait_alu 0xfffe
	s_cbranch_vccnz .LBB56_22
; %bb.21:                               ;   in Loop: Header=BB56_8 Depth=1
	s_delay_alu instid0(VALU_DEP_1) | instskip(NEXT) | instid1(VALU_DEP_1)
	v_lshlrev_b64_e32 v[115:116], 1, v[8:9]
	v_add_co_u32 v115, vcc_lo, s38, v115
	s_wait_alu 0xfffd
	s_delay_alu instid0(VALU_DEP_2) | instskip(SKIP_3) | instid1(VALU_DEP_1)
	v_add_co_ci_u32_e64 v116, null, s39, v116, vcc_lo
	global_load_u16 v109, v[115:116], off
	s_wait_loadcnt 0x0
	v_cvt_f32_f16_e32 v109, v109
	v_mul_f32_e32 v109, v45, v109
.LBB56_22:                              ;   in Loop: Header=BB56_8 Depth=1
	v_dual_mov_b32 v116, 0 :: v_dual_mov_b32 v119, 0
	s_and_not1_b32 vcc_lo, exec_lo, s9
	s_wait_alu 0xfffe
	s_cbranch_vccnz .LBB56_24
; %bb.23:                               ;   in Loop: Header=BB56_8 Depth=1
	v_lshlrev_b64_e32 v[8:9], 1, v[8:9]
	s_delay_alu instid0(VALU_DEP_1) | instskip(SKIP_1) | instid1(VALU_DEP_2)
	v_add_co_u32 v8, vcc_lo, s38, v8
	s_wait_alu 0xfffd
	v_add_co_ci_u32_e64 v9, null, s39, v9, vcc_lo
	global_load_u16 v8, v[8:9], off offset:64
	s_wait_loadcnt 0x0
	v_cvt_f32_f16_e32 v8, v8
	s_delay_alu instid0(VALU_DEP_1)
	v_mul_f32_e32 v119, v45, v8
.LBB56_24:                              ;   in Loop: Header=BB56_8 Depth=1
	v_add_f32_e32 v115, v65, v109
	s_delay_alu instid0(VALU_DEP_2) | instskip(SKIP_1) | instid1(VALU_DEP_1)
	v_add_f32_e32 v65, v71, v119
	s_and_not1_b32 vcc_lo, exec_lo, s9
	v_dual_add_f32 v8, 0x40051340, v115 :: v_dual_add_f32 v9, 0x40051340, v65
	s_delay_alu instid0(VALU_DEP_1) | instskip(SKIP_3) | instid1(VALU_DEP_1)
	v_max3_num_f32 v8, v103, v8, v9
	ds_bpermute_b32 v9, v124, v8
	s_wait_dscnt 0x0
	v_max_num_f32_e32 v9, v9, v9
	v_max_num_f32_e32 v8, v8, v9
	ds_bpermute_b32 v9, v114, v8
	s_wait_dscnt 0x0
	v_max_num_f32_e32 v9, v9, v9
	s_delay_alu instid0(VALU_DEP_1) | instskip(SKIP_3) | instid1(VALU_DEP_1)
	v_max_num_f32_e32 v8, v8, v9
	ds_bpermute_b32 v9, v113, v8
	s_wait_dscnt 0x0
	v_max_num_f32_e32 v9, v9, v9
	v_max_num_f32_e32 v8, v8, v9
	ds_bpermute_b32 v9, v110, v8
	s_wait_dscnt 0x0
	v_max_num_f32_e32 v9, v9, v9
	s_delay_alu instid0(VALU_DEP_1)
	v_dual_max_num_f32 v71, v8, v9 :: v_dual_add_nc_u32 v8, v122, v82
	ds_bpermute_b32 v130, v73, v71
	v_ashrrev_i32_e32 v9, 31, v8
	s_wait_alu 0xfffe
	s_cbranch_vccnz .LBB56_26
; %bb.25:                               ;   in Loop: Header=BB56_8 Depth=1
	s_delay_alu instid0(VALU_DEP_1) | instskip(NEXT) | instid1(VALU_DEP_1)
	v_lshlrev_b64_e32 v[119:120], 1, v[8:9]
	v_add_co_u32 v119, vcc_lo, s38, v119
	s_wait_alu 0xfffd
	s_delay_alu instid0(VALU_DEP_2) | instskip(SKIP_3) | instid1(VALU_DEP_1)
	v_add_co_ci_u32_e64 v120, null, s39, v120, vcc_lo
	global_load_u16 v109, v[119:120], off
	s_wait_loadcnt 0x0
	v_cvt_f32_f16_e32 v109, v109
	v_mul_f32_e32 v116, v45, v109
.LBB56_26:                              ;   in Loop: Header=BB56_8 Depth=1
	v_mov_b32_e32 v119, 0
	v_mov_b32_e32 v109, 0
	s_and_not1_b32 vcc_lo, exec_lo, s9
	s_wait_alu 0xfffe
	s_cbranch_vccnz .LBB56_28
; %bb.27:                               ;   in Loop: Header=BB56_8 Depth=1
	v_lshlrev_b64_e32 v[8:9], 1, v[8:9]
	s_delay_alu instid0(VALU_DEP_1) | instskip(SKIP_1) | instid1(VALU_DEP_2)
	v_add_co_u32 v8, vcc_lo, s38, v8
	s_wait_alu 0xfffd
	v_add_co_ci_u32_e64 v9, null, s39, v9, vcc_lo
	global_load_u16 v8, v[8:9], off offset:64
	s_wait_loadcnt 0x0
	v_cvt_f32_f16_e32 v8, v8
	s_delay_alu instid0(VALU_DEP_1)
	v_mul_f32_e32 v109, v45, v8
.LBB56_28:                              ;   in Loop: Header=BB56_8 Depth=1
	s_delay_alu instid0(VALU_DEP_1) | instskip(SKIP_1) | instid1(VALU_DEP_1)
	v_dual_add_f32 v116, v14, v116 :: v_dual_add_f32 v109, v69, v109
	s_and_not1_b32 vcc_lo, exec_lo, s9
	v_dual_add_f32 v8, 0x40051340, v116 :: v_dual_add_f32 v9, 0x40051340, v109
	s_delay_alu instid0(VALU_DEP_1) | instskip(SKIP_3) | instid1(VALU_DEP_1)
	v_max3_num_f32 v8, v101, v8, v9
	ds_bpermute_b32 v9, v124, v8
	s_wait_dscnt 0x0
	v_max_num_f32_e32 v9, v9, v9
	v_max_num_f32_e32 v8, v8, v9
	ds_bpermute_b32 v9, v114, v8
	s_wait_dscnt 0x0
	v_max_num_f32_e32 v9, v9, v9
	s_delay_alu instid0(VALU_DEP_1) | instskip(SKIP_3) | instid1(VALU_DEP_1)
	v_max_num_f32_e32 v8, v8, v9
	ds_bpermute_b32 v9, v113, v8
	s_wait_dscnt 0x0
	v_max_num_f32_e32 v9, v9, v9
	v_max_num_f32_e32 v8, v8, v9
	ds_bpermute_b32 v9, v110, v8
	s_wait_dscnt 0x0
	v_max_num_f32_e32 v9, v9, v9
	s_delay_alu instid0(VALU_DEP_1)
	v_max_num_f32_e32 v14, v8, v9
	v_add_nc_u32_e32 v8, v122, v83
	ds_bpermute_b32 v69, v73, v14
	v_ashrrev_i32_e32 v9, 31, v8
	s_wait_alu 0xfffe
	s_cbranch_vccnz .LBB56_30
; %bb.29:                               ;   in Loop: Header=BB56_8 Depth=1
	s_delay_alu instid0(VALU_DEP_1) | instskip(NEXT) | instid1(VALU_DEP_1)
	v_lshlrev_b64_e32 v[119:120], 1, v[8:9]
	v_add_co_u32 v119, vcc_lo, s38, v119
	s_wait_alu 0xfffd
	s_delay_alu instid0(VALU_DEP_2) | instskip(SKIP_3) | instid1(VALU_DEP_1)
	v_add_co_ci_u32_e64 v120, null, s39, v120, vcc_lo
	global_load_u16 v119, v[119:120], off
	s_wait_loadcnt 0x0
	v_cvt_f32_f16_e32 v119, v119
	v_mul_f32_e32 v119, v45, v119
.LBB56_30:                              ;   in Loop: Header=BB56_8 Depth=1
	v_dual_mov_b32 v120, 0 :: v_dual_mov_b32 v121, 0
	s_and_not1_b32 vcc_lo, exec_lo, s9
	s_wait_alu 0xfffe
	s_cbranch_vccnz .LBB56_32
; %bb.31:                               ;   in Loop: Header=BB56_8 Depth=1
	v_lshlrev_b64_e32 v[8:9], 1, v[8:9]
	s_delay_alu instid0(VALU_DEP_1) | instskip(SKIP_1) | instid1(VALU_DEP_2)
	v_add_co_u32 v8, vcc_lo, s38, v8
	s_wait_alu 0xfffd
	v_add_co_ci_u32_e64 v9, null, s39, v9, vcc_lo
	global_load_u16 v8, v[8:9], off offset:64
	s_wait_loadcnt 0x0
	v_cvt_f32_f16_e32 v8, v8
	s_delay_alu instid0(VALU_DEP_1)
	v_mul_f32_e32 v121, v45, v8
.LBB56_32:                              ;   in Loop: Header=BB56_8 Depth=1
	v_add_f32_e32 v119, v13, v119
	s_delay_alu instid0(VALU_DEP_2) | instskip(SKIP_1) | instid1(VALU_DEP_2)
	v_add_f32_e32 v67, v67, v121
	s_and_not1_b32 vcc_lo, exec_lo, s9
	v_add_f32_e32 v8, 0x40051340, v119
	s_delay_alu instid0(VALU_DEP_2) | instskip(NEXT) | instid1(VALU_DEP_1)
	v_add_f32_e32 v9, 0x40051340, v67
	v_max3_num_f32 v8, v98, v8, v9
	ds_bpermute_b32 v9, v124, v8
	s_wait_dscnt 0x0
	v_max_num_f32_e32 v9, v9, v9
	s_delay_alu instid0(VALU_DEP_1) | instskip(SKIP_3) | instid1(VALU_DEP_1)
	v_max_num_f32_e32 v8, v8, v9
	ds_bpermute_b32 v9, v114, v8
	s_wait_dscnt 0x0
	v_max_num_f32_e32 v9, v9, v9
	v_max_num_f32_e32 v8, v8, v9
	ds_bpermute_b32 v9, v113, v8
	s_wait_dscnt 0x0
	v_max_num_f32_e32 v9, v9, v9
	s_delay_alu instid0(VALU_DEP_1) | instskip(SKIP_3) | instid1(VALU_DEP_1)
	v_max_num_f32_e32 v8, v8, v9
	ds_bpermute_b32 v9, v110, v8
	s_wait_dscnt 0x0
	v_max_num_f32_e32 v9, v9, v9
	v_dual_max_num_f32 v13, v8, v9 :: v_dual_add_nc_u32 v8, v122, v84
	ds_bpermute_b32 v131, v73, v13
	v_ashrrev_i32_e32 v9, 31, v8
	s_wait_alu 0xfffe
	s_cbranch_vccnz .LBB56_34
; %bb.33:                               ;   in Loop: Header=BB56_8 Depth=1
	s_delay_alu instid0(VALU_DEP_1) | instskip(NEXT) | instid1(VALU_DEP_1)
	v_lshlrev_b64_e32 v[120:121], 1, v[8:9]
	v_add_co_u32 v120, vcc_lo, s38, v120
	s_wait_alu 0xfffd
	s_delay_alu instid0(VALU_DEP_2) | instskip(SKIP_3) | instid1(VALU_DEP_1)
	v_add_co_ci_u32_e64 v121, null, s39, v121, vcc_lo
	global_load_u16 v120, v[120:121], off
	s_wait_loadcnt 0x0
	v_cvt_f32_f16_e32 v120, v120
	v_mul_f32_e32 v120, v45, v120
.LBB56_34:                              ;   in Loop: Header=BB56_8 Depth=1
	v_dual_mov_b32 v123, 0 :: v_dual_mov_b32 v132, 0
	s_and_not1_b32 vcc_lo, exec_lo, s9
	s_wait_alu 0xfffe
	s_cbranch_vccnz .LBB56_36
; %bb.35:                               ;   in Loop: Header=BB56_8 Depth=1
	v_lshlrev_b64_e32 v[8:9], 1, v[8:9]
	s_delay_alu instid0(VALU_DEP_1) | instskip(SKIP_1) | instid1(VALU_DEP_2)
	v_add_co_u32 v8, vcc_lo, s38, v8
	s_wait_alu 0xfffd
	v_add_co_ci_u32_e64 v9, null, s39, v9, vcc_lo
	global_load_u16 v8, v[8:9], off offset:64
	s_wait_loadcnt 0x0
	v_cvt_f32_f16_e32 v8, v8
	s_delay_alu instid0(VALU_DEP_1)
	v_mul_f32_e32 v132, v45, v8
.LBB56_36:                              ;   in Loop: Header=BB56_8 Depth=1
	v_add_f32_e32 v121, v11, v120
	s_delay_alu instid0(VALU_DEP_2) | instskip(SKIP_1) | instid1(VALU_DEP_1)
	v_add_f32_e32 v120, v15, v132
	s_and_not1_b32 vcc_lo, exec_lo, s9
	v_dual_add_f32 v8, 0x40051340, v121 :: v_dual_add_f32 v9, 0x40051340, v120
	s_delay_alu instid0(VALU_DEP_1) | instskip(SKIP_3) | instid1(VALU_DEP_1)
	v_max3_num_f32 v8, v97, v8, v9
	ds_bpermute_b32 v9, v124, v8
	s_wait_dscnt 0x0
	v_max_num_f32_e32 v9, v9, v9
	v_max_num_f32_e32 v8, v8, v9
	ds_bpermute_b32 v9, v114, v8
	s_wait_dscnt 0x0
	v_max_num_f32_e32 v9, v9, v9
	s_delay_alu instid0(VALU_DEP_1) | instskip(SKIP_3) | instid1(VALU_DEP_1)
	v_max_num_f32_e32 v8, v8, v9
	ds_bpermute_b32 v9, v113, v8
	s_wait_dscnt 0x0
	v_max_num_f32_e32 v9, v9, v9
	v_max_num_f32_e32 v8, v8, v9
	ds_bpermute_b32 v9, v110, v8
	s_wait_dscnt 0x0
	v_max_num_f32_e32 v9, v9, v9
	s_delay_alu instid0(VALU_DEP_1)
	v_dual_max_num_f32 v11, v8, v9 :: v_dual_add_nc_u32 v8, v122, v86
	ds_bpermute_b32 v15, v73, v11
	v_ashrrev_i32_e32 v9, 31, v8
	s_wait_alu 0xfffe
	s_cbranch_vccnz .LBB56_38
; %bb.37:                               ;   in Loop: Header=BB56_8 Depth=1
	s_delay_alu instid0(VALU_DEP_1) | instskip(NEXT) | instid1(VALU_DEP_1)
	v_lshlrev_b64_e32 v[122:123], 1, v[8:9]
	v_add_co_u32 v122, vcc_lo, s38, v122
	s_wait_alu 0xfffd
	s_delay_alu instid0(VALU_DEP_2) | instskip(SKIP_3) | instid1(VALU_DEP_1)
	v_add_co_ci_u32_e64 v123, null, s39, v123, vcc_lo
	global_load_u16 v122, v[122:123], off
	s_wait_loadcnt 0x0
	v_cvt_f32_f16_e32 v122, v122
	v_mul_f32_e32 v123, v45, v122
.LBB56_38:                              ;   in Loop: Header=BB56_8 Depth=1
	s_and_not1_b32 vcc_lo, exec_lo, s9
	s_wait_alu 0xfffe
	s_cbranch_vccnz .LBB56_40
; %bb.39:                               ;   in Loop: Header=BB56_8 Depth=1
	v_lshlrev_b64_e32 v[8:9], 1, v[8:9]
	s_delay_alu instid0(VALU_DEP_1) | instskip(SKIP_1) | instid1(VALU_DEP_2)
	v_add_co_u32 v8, vcc_lo, s38, v8
	s_wait_alu 0xfffd
	v_add_co_ci_u32_e64 v9, null, s39, v9, vcc_lo
	global_load_u16 v8, v[8:9], off offset:64
	s_wait_loadcnt 0x0
	v_cvt_f32_f16_e32 v8, v8
	s_delay_alu instid0(VALU_DEP_1)
	v_mul_f32_e32 v8, v45, v8
	s_branch .LBB56_41
.LBB56_40:                              ;   in Loop: Header=BB56_8 Depth=1
	v_mov_b32_e32 v8, 0
.LBB56_41:                              ;   in Loop: Header=BB56_8 Depth=1
	s_delay_alu instid0(VALU_DEP_1) | instskip(SKIP_3) | instid1(VALU_DEP_3)
	v_dual_add_f32 v122, v10, v123 :: v_dual_add_f32 v123, v12, v8
	s_wait_dscnt 0x0
	v_max_num_f32_e32 v10, v15, v15
	v_dual_max_num_f32 v72, v72, v72 :: v_dual_max_num_f32 v125, v125, v125
	v_dual_add_f32 v8, 0x40051340, v122 :: v_dual_add_f32 v9, 0x40051340, v123
	v_dual_max_num_f32 v130, v130, v130 :: v_dual_max_num_f32 v127, v127, v127
	s_mul_u64 s[30:31], s[14:15], s[10:11]
	v_max_num_f32_e32 v12, v69, v69
	s_delay_alu instid0(VALU_DEP_3)
	v_max3_num_f32 v15, v96, v8, v9
	v_max_num_f32_e32 v9, v131, v131
	v_dual_max_num_f32 v8, v11, v11 :: v_dual_max_num_f32 v129, v129, v129
	v_max_num_f32_e32 v11, v13, v13
	ds_bpermute_b32 v69, v124, v15
	v_max_num_f32_e32 v126, v126, v126
	v_dual_max_num_f32 v124, v14, v14 :: v_dual_max_num_f32 v71, v71, v71
	v_dual_max_num_f32 v128, v128, v128 :: v_dual_max_num_f32 v13, v11, v9
	v_max_num_f32_e32 v14, v8, v10
	s_wait_alu 0xfffe
	s_lshl_b64 s[30:31], s[30:31], 2
	v_dual_max_num_f32 v12, v124, v12 :: v_dual_max_num_f32 v11, v71, v130
	s_wait_alu 0xfffe
	s_add_nc_u64 s[30:31], s[24:25], s[30:31]
	v_max_num_f32_e32 v9, v127, v128
	s_wait_loadcnt_dscnt 0x0
	s_barrier_signal -1
	s_barrier_wait -1
	global_inv scope:SCOPE_SE
	v_sub_f32_e32 v65, v65, v11
	v_sub_f32_e32 v101, v101, v12
	;; [unrolled: 1-line block ×4, first 2 shown]
	v_max_num_f32_e32 v69, v69, v69
	v_max_num_f32_e32 v8, v125, v126
	v_sub_f32_e32 v135, v117, v9
	v_sub_f32_e32 v137, v118, v9
	s_delay_alu instid0(VALU_DEP_4)
	v_max_num_f32_e32 v15, v15, v69
	s_wait_alu 0xfffe
	v_add_co_u32 v69, vcc_lo, s30, v16
	v_dual_max_num_f32 v10, v72, v129 :: v_dual_sub_f32 v131, v111, v8
	ds_bpermute_b32 v114, v114, v15
	s_wait_alu 0xfffd
	v_add_co_ci_u32_e64 v72, null, s31, v17, vcc_lo
	v_add_co_u32 v124, vcc_lo, s30, v18
	s_wait_alu 0xfffd
	v_add_co_ci_u32_e64 v125, null, s31, v19, vcc_lo
	v_add_co_u32 v126, vcc_lo, s30, v20
	;; [unrolled: 3-line block ×3, first 2 shown]
	s_wait_alu 0xfffd
	v_add_co_ci_u32_e64 v129, null, s31, v23, vcc_lo
	v_sub_f32_e32 v136, v108, v9
	v_add_co_u32 v71, vcc_lo, v69, v90
	v_sub_f32_e32 v130, v107, v8
	s_wait_alu 0xfffd
	v_add_co_ci_u32_e64 v72, null, 0, v72, vcc_lo
	s_wait_dscnt 0x0
	v_max_num_f32_e32 v69, v114, v114
	v_add_co_u32 v107, vcc_lo, v124, v90
	s_wait_alu 0xfffd
	v_add_co_ci_u32_e64 v108, null, 0, v125, vcc_lo
	s_delay_alu instid0(VALU_DEP_3)
	v_max_num_f32_e32 v15, v15, v69
	v_add_co_u32 v117, vcc_lo, v126, v90
	v_sub_f32_e32 v134, v112, v8
	s_wait_alu 0xfffd
	v_add_co_ci_u32_e64 v118, null, 0, v127, vcc_lo
	v_add_co_u32 v132, vcc_lo, v128, v90
	v_mul_f32_e32 v128, 0x3fb8aa3b, v131
	ds_bpermute_b32 v69, v113, v15
	v_dual_mul_f32 v138, 0x3fb8aa3b, v130 :: v_dual_mul_f32 v139, 0x3fb8aa3b, v135
	s_wait_alu 0xfffd
	v_add_co_ci_u32_e64 v133, null, 0, v129, vcc_lo
	v_dual_mul_f32 v129, 0x3fb8aa3b, v134 :: v_dual_mul_f32 v140, 0x3fb8aa3b, v137
	s_delay_alu instid0(VALU_DEP_3)
	v_fma_f32 v142, 0x3fb8aa3b, v130, -v138
	v_fma_f32 v144, 0x3fb8aa3b, v135, -v139
	s_clause 0x1
	global_load_b128 v[111:114], v[71:72], off
	global_load_b128 v[124:127], v[107:108], off
	v_fma_f32 v71, 0x3fb8aa3b, v131, -v128
	v_rndne_f32_e32 v72, v128
	v_fma_f32 v107, 0x3fb8aa3b, v134, -v129
	v_rndne_f32_e32 v108, v129
	v_fmac_f32_e32 v142, 0x32a5705f, v130
	v_rndne_f32_e32 v143, v138
	v_rndne_f32_e32 v145, v139
	;; [unrolled: 1-line block ×3, first 2 shown]
	v_mul_f32_e32 v141, 0x3fb8aa3b, v136
	s_wait_dscnt 0x0
	v_dual_fmac_f32 v144, 0x32a5705f, v135 :: v_dual_max_num_f32 v69, v69, v69
	v_fma_f32 v146, 0x3fb8aa3b, v137, -v140
	v_fmac_f32_e32 v71, 0x32a5705f, v131
	v_sub_f32_e32 v140, v140, v147
	v_fma_f32 v148, 0x3fb8aa3b, v136, -v141
	v_max_num_f32_e32 v15, v15, v69
	v_dual_sub_f32 v69, v128, v72 :: v_dual_fmac_f32 v146, 0x32a5705f, v137
	s_delay_alu instid0(VALU_DEP_3)
	v_dual_fmac_f32 v107, 0x32a5705f, v134 :: v_dual_fmac_f32 v148, 0x32a5705f, v136
	ds_bpermute_b32 v110, v110, v15
	v_dual_sub_f32 v128, v129, v108 :: v_dual_sub_f32 v139, v139, v145
	v_add_f32_e32 v69, v69, v71
	v_cvt_i32_f32_e32 v72, v72
	v_rndne_f32_e32 v149, v141
	s_delay_alu instid0(VALU_DEP_4)
	v_add_f32_e32 v71, v128, v107
	v_cmp_ngt_f32_e32 vcc_lo, 0xc2ce8ed0, v130
	v_exp_f32_e32 v69, v69
	v_cvt_i32_f32_e32 v108, v108
	v_sub_f32_e32 v105, v105, v10
	v_exp_f32_e32 v71, v71
	v_sub_f32_e32 v68, v68, v10
	v_sub_f32_e32 v70, v70, v10
	s_delay_alu instid0(TRANS32_DEP_2) | instskip(SKIP_4) | instid1(TRANS32_DEP_1)
	v_ldexp_f32 v69, v69, v72
	s_wait_dscnt 0x0
	v_max_num_f32_e32 v110, v110, v110
	v_dual_sub_f32 v129, v138, v143 :: v_dual_add_f32 v128, v139, v144
	v_cvt_i32_f32_e32 v138, v143
	v_ldexp_f32 v71, v71, v108
	s_delay_alu instid0(VALU_DEP_3) | instskip(NEXT) | instid1(VALU_DEP_4)
	v_add_f32_e32 v107, v129, v142
	v_exp_f32_e32 v128, v128
	s_delay_alu instid0(VALU_DEP_1) | instskip(NEXT) | instid1(TRANS32_DEP_1)
	v_exp_f32_e32 v107, v107
	v_ldexp_f32 v72, v107, v138
	s_wait_alu 0xfffd
	s_delay_alu instid0(VALU_DEP_1) | instskip(SKIP_1) | instid1(VALU_DEP_2)
	v_dual_sub_f32 v141, v141, v149 :: v_dual_cndmask_b32 v72, 0, v72
	v_cmp_ngt_f32_e32 vcc_lo, 0xc2ce8ed0, v131
	v_add_f32_e32 v139, v141, v148
	v_cvt_i32_f32_e32 v141, v147
	s_wait_alu 0xfffd
	v_cndmask_b32_e32 v69, 0, v69, vcc_lo
	v_cmp_ngt_f32_e32 vcc_lo, 0xc2ce8ed0, v134
	s_wait_alu 0xfffd
	v_cndmask_b32_e32 v71, 0, v71, vcc_lo
	v_cmp_nlt_f32_e32 vcc_lo, 0x42b17218, v130
	s_wait_alu 0xfffd
	v_cndmask_b32_e32 v108, 0x7f800000, v72, vcc_lo
	v_cmp_ngt_f32_e32 vcc_lo, 0xc2ce8ed0, v135
	v_add_f32_e32 v129, v140, v146
	v_cvt_i32_f32_e32 v140, v145
	s_delay_alu instid0(VALU_DEP_1) | instskip(SKIP_1) | instid1(VALU_DEP_1)
	v_ldexp_f32 v107, v128, v140
	s_wait_alu 0xfffd
	v_cndmask_b32_e32 v72, 0, v107, vcc_lo
	v_cmp_nlt_f32_e32 vcc_lo, 0x42b17218, v131
	v_cvt_f16_f32_e32 v107, v108
	v_exp_f32_e32 v142, v129
	s_wait_alu 0xfffd
	v_cndmask_b32_e32 v69, 0x7f800000, v69, vcc_lo
	v_cmp_nlt_f32_e32 vcc_lo, 0x42b17218, v134
	v_and_b32_e32 v107, 0xffff, v107
	s_wait_alu 0xfffd
	v_cndmask_b32_e32 v71, 0x7f800000, v71, vcc_lo
	v_cmp_nlt_f32_e32 vcc_lo, 0x42b17218, v135
	v_max_num_f32_e32 v15, v15, v110
	v_exp_f32_e32 v110, v139
	v_cvt_f16_f32_e64 v139, v69
	v_cvt_f16_f32_e64 v140, v71
	s_wait_alu 0xfffd
	v_cndmask_b32_e32 v138, 0x7f800000, v72, vcc_lo
	v_add_f32_e32 v72, v69, v71
	v_mul_u32_u24_e32 v69, 0x10001, v107
	v_cmp_ngt_f32_e32 vcc_lo, 0xc2ce8ed0, v137
	v_mul_f32_e32 v71, 0x3fb8aa3b, v68
	s_clause 0x1
	global_load_b128 v[128:131], v[117:118], off
	global_load_b128 v[132:135], v[132:133], off
	v_fmac_f32_e32 v72, v106, v108
	v_pk_mul_f16 v106, v63, v69
	v_ldexp_f32 v63, v142, v141
	v_cvt_i32_f32_e32 v69, v149
	v_fma_f32 v108, 0x3fb8aa3b, v68, -v71
	v_mul_f32_e32 v107, 0x3fb8aa3b, v70
	ds_bpermute_b32 v73, v73, v15
	s_wait_alu 0xfffd
	v_cndmask_b32_e32 v63, 0, v63, vcc_lo
	v_cmp_nlt_f32_e32 vcc_lo, 0x42b17218, v137
	v_ldexp_f32 v69, v110, v69
	v_rndne_f32_e32 v110, v71
	v_fmac_f32_e32 v108, 0x32a5705f, v68
	v_fma_f32 v117, 0x3fb8aa3b, v70, -v107
	s_wait_alu 0xfffd
	v_cndmask_b32_e32 v63, 0x7f800000, v63, vcc_lo
	v_cmp_ngt_f32_e32 vcc_lo, 0xc2ce8ed0, v136
	v_rndne_f32_e32 v118, v107
	v_fmac_f32_e32 v117, 0x32a5705f, v70
	s_wait_alu 0xfffd
	v_cndmask_b32_e32 v69, 0, v69, vcc_lo
	v_cmp_nlt_f32_e32 vcc_lo, 0x42b17218, v136
	v_dual_sub_f32 v136, v71, v110 :: v_dual_add_f32 v71, v138, v63
	v_cvt_i32_f32_e32 v110, v110
	s_wait_alu 0xfffd
	s_delay_alu instid0(VALU_DEP_2) | instskip(SKIP_2) | instid1(VALU_DEP_3)
	v_dual_cndmask_b32 v69, 0x7f800000, v69 :: v_dual_add_f32 v108, v136, v108
	v_cmp_ngt_f32_e32 vcc_lo, 0xc2ce8ed0, v68
	v_cvt_f16_f32_e64 v136, v63
	v_cvt_f16_f32_e64 v137, v69
	s_delay_alu instid0(VALU_DEP_4) | instskip(SKIP_1) | instid1(VALU_DEP_2)
	v_exp_f32_e32 v108, v108
	v_fmac_f32_e32 v71, v104, v69
	v_and_b32_e32 v63, 0xffff, v137
	s_delay_alu instid0(VALU_DEP_1) | instskip(NEXT) | instid1(TRANS32_DEP_1)
	v_mul_u32_u24_e32 v63, 0x10001, v63
	v_ldexp_f32 v69, v108, v110
	s_delay_alu instid0(VALU_DEP_2) | instskip(SKIP_1) | instid1(VALU_DEP_2)
	v_pk_mul_f16 v104, v62, v63
	s_wait_alu 0xfffd
	v_cndmask_b32_e32 v69, 0, v69, vcc_lo
	v_sub_f32_e32 v107, v107, v118
	v_cvt_i32_f32_e32 v118, v118
	v_cmp_ngt_f32_e32 vcc_lo, 0xc2ce8ed0, v70
	s_delay_alu instid0(VALU_DEP_3) | instskip(SKIP_1) | instid1(VALU_DEP_2)
	v_add_f32_e32 v107, v107, v117
	v_mul_f32_e32 v117, 0x3fb8aa3b, v105
	v_exp_f32_e32 v107, v107
	s_delay_alu instid0(VALU_DEP_1) | instskip(NEXT) | instid1(VALU_DEP_1)
	v_fma_f32 v137, 0x3fb8aa3b, v105, -v117
	v_fmac_f32_e32 v137, 0x32a5705f, v105
	s_delay_alu instid0(TRANS32_DEP_1) | instskip(SKIP_3) | instid1(VALU_DEP_2)
	v_ldexp_f32 v62, v107, v118
	v_sub_f32_e32 v107, v115, v11
	s_wait_dscnt 0x0
	s_wait_alu 0xfffd
	v_dual_max_num_f32 v73, v73, v73 :: v_dual_cndmask_b32 v62, 0, v62
	v_cmp_nlt_f32_e32 vcc_lo, 0x42b17218, v68
	v_mul_f32_e32 v108, 0x3fb8aa3b, v107
	s_wait_alu 0xfffd
	v_cndmask_b32_e32 v68, 0x7f800000, v69, vcc_lo
	v_cmp_nlt_f32_e32 vcc_lo, 0x42b17218, v70
	v_max_num_f32_e32 v15, v15, v73
	v_cvt_f16_f32_e64 v73, v138
	v_rndne_f32_e32 v138, v117
	v_cvt_f16_f32_e32 v110, v68
	s_wait_alu 0xfffd
	v_cndmask_b32_e32 v62, 0x7f800000, v62, vcc_lo
	v_fma_f32 v115, 0x3fb8aa3b, v107, -v108
	v_dual_sub_f32 v96, v96, v15 :: v_dual_sub_f32 v117, v117, v138
	v_cvt_i32_f32_e32 v70, v138
	s_delay_alu instid0(VALU_DEP_4) | instskip(NEXT) | instid1(VALU_DEP_4)
	v_dual_add_f32 v69, v68, v62 :: v_dual_sub_f32 v68, v103, v11
	v_fmac_f32_e32 v115, 0x32a5705f, v107
	s_delay_alu instid0(VALU_DEP_4) | instskip(SKIP_1) | instid1(VALU_DEP_4)
	v_add_f32_e32 v63, v117, v137
	v_rndne_f32_e32 v117, v108
	v_mul_f32_e32 v103, 0x3fb8aa3b, v68
	s_delay_alu instid0(VALU_DEP_3) | instskip(NEXT) | instid1(TRANS32_DEP_1)
	v_exp_f32_e32 v63, v63
	v_ldexp_f32 v63, v63, v70
	s_delay_alu instid0(VALU_DEP_3) | instskip(SKIP_3) | instid1(VALU_DEP_4)
	v_sub_f32_e32 v70, v108, v117
	v_mul_f32_e32 v108, 0x3fb8aa3b, v65
	v_cmp_ngt_f32_e32 vcc_lo, 0xc2ce8ed0, v105
	v_cvt_i32_f32_e32 v117, v117
	v_add_f32_e32 v70, v70, v115
	v_rndne_f32_e32 v115, v103
	s_wait_alu 0xfffd
	v_cndmask_b32_e32 v63, 0, v63, vcc_lo
	v_cmp_nlt_f32_e32 vcc_lo, 0x42b17218, v105
	v_fma_f32 v105, 0x3fb8aa3b, v68, -v103
	v_exp_f32_e32 v70, v70
	v_fma_f32 v118, 0x3fb8aa3b, v65, -v108
	v_rndne_f32_e32 v137, v108
	s_wait_alu 0xfffd
	v_cndmask_b32_e32 v63, 0x7f800000, v63, vcc_lo
	v_fmac_f32_e32 v105, 0x32a5705f, v68
	v_dual_sub_f32 v103, v103, v115 :: v_dual_fmac_f32 v118, 0x32a5705f, v65
	v_sub_f32_e32 v108, v108, v137
	s_delay_alu instid0(VALU_DEP_4) | instskip(SKIP_1) | instid1(VALU_DEP_4)
	v_cvt_f16_f32_e64 v138, v63
	v_cmp_ngt_f32_e32 vcc_lo, 0xc2ce8ed0, v107
	v_add_f32_e32 v103, v103, v105
	v_cvt_f16_f32_e32 v105, v62
	v_ldexp_f32 v62, v70, v117
	v_add_f32_e32 v70, v108, v118
	v_and_b32_e32 v108, 0xffff, v138
	v_exp_f32_e32 v103, v103
	v_cvt_i32_f32_e32 v115, v115
	s_wait_alu 0xfffd
	v_cndmask_b32_e32 v62, 0, v62, vcc_lo
	v_exp_f32_e32 v70, v70
	v_mul_u32_u24_e32 v108, 0x10001, v108
	v_cmp_nlt_f32_e32 vcc_lo, 0x42b17218, v107
	v_cvt_i32_f32_e32 v107, v137
	v_fmac_f32_e32 v69, v102, v63
	s_delay_alu instid0(VALU_DEP_4)
	v_pk_mul_f16 v108, v61, v108
	s_wait_alu 0xfffd
	v_cndmask_b32_e32 v62, 0x7f800000, v62, vcc_lo
	v_ldexp_f32 v61, v103, v115
	v_cmp_ngt_f32_e32 vcc_lo, 0xc2ce8ed0, v68
	v_ldexp_f32 v63, v70, v107
	v_sub_f32_e32 v103, v116, v12
	v_sub_f32_e32 v107, v109, v12
	v_cvt_f16_f32_e32 v102, v62
	s_wait_alu 0xfffd
	v_cndmask_b32_e32 v61, 0, v61, vcc_lo
	v_cmp_ngt_f32_e32 vcc_lo, 0xc2ce8ed0, v65
	v_mul_f32_e32 v70, 0x3fb8aa3b, v103
	v_mul_f32_e32 v116, 0x3fb8aa3b, v107
	s_wait_alu 0xfffd
	v_cndmask_b32_e32 v63, 0, v63, vcc_lo
	v_cmp_nlt_f32_e32 vcc_lo, 0x42b17218, v68
	v_rndne_f32_e32 v68, v70
	v_rndne_f32_e32 v117, v116
	s_wait_alu 0xfffd
	v_cndmask_b32_e32 v61, 0x7f800000, v61, vcc_lo
	v_cmp_nlt_f32_e32 vcc_lo, 0x42b17218, v65
	v_fma_f32 v65, 0x3fb8aa3b, v103, -v70
	v_sub_f32_e32 v115, v70, v68
	v_cvt_i32_f32_e32 v68, v68
	v_cvt_f16_f32_e32 v109, v61
	s_wait_alu 0xfffd
	v_cndmask_b32_e32 v63, 0x7f800000, v63, vcc_lo
	v_fmac_f32_e32 v65, 0x32a5705f, v103
	v_cmp_ngt_f32_e32 vcc_lo, 0xc2ce8ed0, v103
	s_delay_alu instid0(VALU_DEP_3) | instskip(SKIP_1) | instid1(VALU_DEP_4)
	v_dual_add_f32 v70, v62, v63 :: v_dual_and_b32 v109, 0xffff, v109
	v_mul_f32_e32 v62, 0x3fb8aa3b, v101
	v_add_f32_e32 v65, v115, v65
	v_fma_f32 v115, 0x3fb8aa3b, v107, -v116
	v_sub_f32_e32 v116, v116, v117
	v_fmac_f32_e32 v70, v100, v61
	v_fma_f32 v118, 0x3fb8aa3b, v101, -v62
	v_rndne_f32_e32 v137, v62
	v_exp_f32_e32 v65, v65
	s_delay_alu instid0(VALU_DEP_2) | instskip(NEXT) | instid1(VALU_DEP_2)
	v_dual_fmac_f32 v115, 0x32a5705f, v107 :: v_dual_fmac_f32 v118, 0x32a5705f, v101
	v_sub_f32_e32 v62, v62, v137
	s_delay_alu instid0(VALU_DEP_1)
	v_add_f32_e32 v62, v62, v118
	v_sub_f32_e32 v118, v120, v14
	v_cvt_f16_f32_e64 v138, v63
	v_mul_u32_u24_e32 v63, 0x10001, v109
	v_add_f32_e32 v109, v116, v115
	v_exp_f32_e32 v62, v62
	s_delay_alu instid0(VALU_DEP_2) | instskip(SKIP_1) | instid1(VALU_DEP_3)
	v_pk_mul_f16 v115, v60, v63
	v_ldexp_f32 v60, v65, v68
	v_exp_f32_e32 v61, v109
	v_cvt_i32_f32_e32 v65, v117
	v_sub_f32_e32 v63, v119, v13
	v_cvt_i32_f32_e32 v68, v137
	s_wait_alu 0xfffd
	v_cndmask_b32_e32 v60, 0, v60, vcc_lo
	v_cmp_nlt_f32_e32 vcc_lo, 0x42b17218, v103
	v_mul_f32_e32 v100, 0x3fb8aa3b, v63
	v_ldexp_f32 v62, v62, v68
	s_wait_alu 0xfffd
	v_cndmask_b32_e32 v60, 0x7f800000, v60, vcc_lo
	v_ldexp_f32 v61, v61, v65
	v_cmp_ngt_f32_e32 vcc_lo, 0xc2ce8ed0, v107
	v_fma_f32 v65, 0x3fb8aa3b, v63, -v100
	v_rndne_f32_e32 v103, v100
	s_wait_alu 0xfffd
	v_cndmask_b32_e32 v61, 0, v61, vcc_lo
	v_cmp_ngt_f32_e32 vcc_lo, 0xc2ce8ed0, v101
	v_fmac_f32_e32 v65, 0x32a5705f, v63
	v_sub_f32_e32 v68, v100, v103
	v_mul_f32_e32 v100, 0x3fb8aa3b, v67
	s_wait_alu 0xfffd
	v_cndmask_b32_e32 v62, 0, v62, vcc_lo
	v_cmp_nlt_f32_e32 vcc_lo, 0x42b17218, v107
	v_add_f32_e32 v65, v68, v65
	v_fma_f32 v107, 0x3fb8aa3b, v67, -v100
	v_rndne_f32_e32 v109, v100
	s_wait_alu 0xfffd
	v_cndmask_b32_e32 v61, 0x7f800000, v61, vcc_lo
	v_cmp_nlt_f32_e32 vcc_lo, 0x42b17218, v101
	v_cvt_f16_f32_e32 v101, v60
	v_exp_f32_e32 v65, v65
	s_delay_alu instid0(VALU_DEP_3)
	v_dual_fmac_f32 v107, 0x32a5705f, v67 :: v_dual_add_f32 v68, v60, v61
	s_wait_alu 0xfffd
	v_cndmask_b32_e32 v62, 0x7f800000, v62, vcc_lo
	v_cvt_f16_f32_e32 v116, v61
	v_cvt_i32_f32_e32 v61, v103
	v_sub_f32_e32 v100, v100, v109
	v_cmp_ngt_f32_e32 vcc_lo, 0xc2ce8ed0, v63
	v_cvt_f16_f32_e32 v60, v62
	v_fmac_f32_e32 v68, v99, v62
	s_delay_alu instid0(VALU_DEP_4) | instskip(SKIP_1) | instid1(VALU_DEP_4)
	v_add_f32_e32 v62, v100, v107
	v_cvt_i32_f32_e32 v107, v109
	v_and_b32_e32 v60, 0xffff, v60
	s_delay_alu instid0(VALU_DEP_3) | instskip(NEXT) | instid1(VALU_DEP_1)
	v_exp_f32_e32 v62, v62
	v_mul_u32_u24_e32 v103, 0x10001, v60
	v_ldexp_f32 v60, v65, v61
	v_sub_f32_e32 v61, v121, v14
	v_sub_f32_e32 v65, v98, v13
	s_delay_alu instid0(VALU_DEP_4)
	v_pk_mul_f16 v103, v59, v103
	s_wait_alu 0xfffd
	v_cndmask_b32_e32 v60, 0, v60, vcc_lo
	v_mul_f32_e32 v98, 0x3fb8aa3b, v61
	v_mul_f32_e32 v99, 0x3fb8aa3b, v65
	v_cmp_nlt_f32_e32 vcc_lo, 0x42b17218, v63
	v_ldexp_f32 v62, v62, v107
	s_delay_alu instid0(VALU_DEP_4)
	v_fma_f32 v63, 0x3fb8aa3b, v61, -v98
	v_rndne_f32_e32 v100, v98
	v_fma_f32 v109, 0x3fb8aa3b, v65, -v99
	v_rndne_f32_e32 v117, v99
	s_wait_alu 0xfffd
	v_cndmask_b32_e32 v60, 0x7f800000, v60, vcc_lo
	v_dual_fmac_f32 v63, 0x32a5705f, v61 :: v_dual_sub_f32 v98, v98, v100
	v_fmac_f32_e32 v109, 0x32a5705f, v65
	v_sub_f32_e32 v99, v99, v117
	v_cmp_ngt_f32_e32 vcc_lo, 0xc2ce8ed0, v67
	v_cvt_i32_f32_e32 v100, v100
	v_dual_add_f32 v63, v98, v63 :: v_dual_mul_f32 v98, 0x3fb8aa3b, v118
	s_wait_alu 0xfffd
	v_dual_add_f32 v99, v99, v109 :: v_dual_cndmask_b32 v62, 0, v62
	v_cmp_nlt_f32_e32 vcc_lo, 0x42b17218, v67
	s_delay_alu instid0(VALU_DEP_3)
	v_exp_f32_e32 v63, v63
	v_fma_f32 v107, 0x3fb8aa3b, v118, -v98
	v_rndne_f32_e32 v109, v98
	v_exp_f32_e32 v99, v99
	s_wait_alu 0xfffd
	v_cndmask_b32_e32 v62, 0x7f800000, v62, vcc_lo
	v_cvt_f16_f32_e32 v119, v60
	v_dual_fmac_f32 v107, 0x32a5705f, v118 :: v_dual_sub_f32 v98, v98, v109
	v_cvt_i32_f32_e32 v117, v117
	s_delay_alu instid0(VALU_DEP_4)
	v_add_f32_e32 v67, v60, v62
	v_ldexp_f32 v60, v63, v100
	v_cmp_ngt_f32_e32 vcc_lo, 0xc2ce8ed0, v61
	v_add_f32_e32 v63, v98, v107
	v_cvt_f16_f32_e32 v98, v62
	v_ldexp_f32 v62, v99, v117
	v_cvt_i32_f32_e32 v99, v109
	s_wait_alu 0xfffd
	v_cndmask_b32_e32 v60, 0, v60, vcc_lo
	v_cmp_ngt_f32_e32 vcc_lo, 0xc2ce8ed0, v65
	v_exp_f32_e32 v63, v63
	v_sub_f32_e32 v117, v123, v15
	v_pack_b32_f16 v98, v116, v98
	s_wait_alu 0xfffd
	v_cndmask_b32_e32 v62, 0, v62, vcc_lo
	v_cmp_nlt_f32_e32 vcc_lo, 0x42b17218, v61
	s_wait_alu 0xfffd
	v_cndmask_b32_e32 v100, 0x7f800000, v60, vcc_lo
	v_sub_f32_e32 v60, v122, v15
	v_cmp_nlt_f32_e32 vcc_lo, 0x42b17218, v65
	v_ldexp_f32 v61, v63, v99
	s_delay_alu instid0(VALU_DEP_4) | instskip(NEXT) | instid1(VALU_DEP_4)
	v_cvt_f16_f32_e32 v99, v100
	v_mul_f32_e32 v63, 0x3fb8aa3b, v60
	s_wait_alu 0xfffd
	v_cndmask_b32_e32 v65, 0x7f800000, v62, vcc_lo
	v_cmp_ngt_f32_e32 vcc_lo, 0xc2ce8ed0, v118
	v_mul_f32_e32 v62, 0x3fb8aa3b, v97
	v_fma_f32 v109, 0x3fb8aa3b, v60, -v63
	v_rndne_f32_e32 v120, v63
	s_wait_alu 0xfffd
	v_cndmask_b32_e32 v61, 0, v61, vcc_lo
	v_cmp_nlt_f32_e32 vcc_lo, 0x42b17218, v118
	v_fma_f32 v107, 0x3fb8aa3b, v97, -v62
	v_fmac_f32_e32 v109, 0x32a5705f, v60
	v_sub_f32_e32 v63, v63, v120
	v_rndne_f32_e32 v121, v62
	s_wait_alu 0xfffd
	v_cndmask_b32_e32 v118, 0x7f800000, v61, vcc_lo
	v_mul_f32_e32 v61, 0x3fb8aa3b, v117
	v_fmac_f32_e32 v107, 0x32a5705f, v97
	v_add_f32_e32 v63, v63, v109
	v_dual_mul_f32 v109, 0x3fb8aa3b, v96 :: v_dual_sub_f32 v62, v62, v121
	s_delay_alu instid0(VALU_DEP_4) | instskip(SKIP_1) | instid1(VALU_DEP_4)
	v_fma_f32 v122, 0x3fb8aa3b, v117, -v61
	v_rndne_f32_e32 v123, v61
	v_exp_f32_e32 v63, v63
	s_delay_alu instid0(VALU_DEP_3) | instskip(SKIP_1) | instid1(VALU_DEP_3)
	v_fma_f32 v137, 0x3fb8aa3b, v96, -v109
	v_rndne_f32_e32 v141, v109
	v_dual_fmac_f32 v122, 0x32a5705f, v117 :: v_dual_sub_f32 v61, v61, v123
	v_add_f32_e32 v62, v62, v107
	v_cvt_i32_f32_e32 v107, v120
	v_fmac_f32_e32 v137, 0x32a5705f, v96
	v_sub_f32_e32 v109, v109, v141
	v_add_f32_e32 v61, v61, v122
	v_exp_f32_e32 v62, v62
	v_ldexp_f32 v63, v63, v107
	v_cmp_ngt_f32_e32 vcc_lo, 0xc2ce8ed0, v60
	v_add_f32_e32 v107, v109, v137
	v_exp_f32_e32 v61, v61
	v_cvt_i32_f32_e32 v109, v121
	v_cvt_i32_f32_e32 v121, v123
	s_wait_alu 0xfffd
	v_cndmask_b32_e32 v63, 0, v63, vcc_lo
	v_cmp_nlt_f32_e32 vcc_lo, 0x42b17218, v60
	v_exp_f32_e32 v107, v107
	v_ldexp_f32 v62, v62, v109
	v_cvt_i32_f32_e32 v60, v141
	v_cvt_f16_f32_e32 v120, v118
	s_wait_alu 0xfffd
	v_cndmask_b32_e32 v109, 0x7f800000, v63, vcc_lo
	v_ldexp_f32 v61, v61, v121
	v_cmp_ngt_f32_e32 vcc_lo, 0xc2ce8ed0, v117
	v_fmac_f32_e32 v67, v95, v65
	s_delay_alu instid0(VALU_DEP_4)
	v_cvt_f16_f32_e32 v63, v109
	v_ldexp_f32 v60, v107, v60
	s_wait_alu 0xfffd
	v_cndmask_b32_e32 v61, 0, v61, vcc_lo
	v_cmp_ngt_f32_e32 vcc_lo, 0xc2ce8ed0, v97
	v_pack_b32_f16 v63, v99, v63
	s_wait_alu 0xfffd
	v_cndmask_b32_e32 v62, 0, v62, vcc_lo
	v_cmp_nlt_f32_e32 vcc_lo, 0x42b17218, v117
	s_wait_alu 0xfffd
	v_cndmask_b32_e32 v107, 0x7f800000, v61, vcc_lo
	v_cmp_ngt_f32_e32 vcc_lo, 0xc2ce8ed0, v96
	v_pack_b32_f16 v61, v110, v102
	s_wait_alu 0xfffd
	v_cndmask_b32_e32 v60, 0, v60, vcc_lo
	v_cmp_nlt_f32_e32 vcc_lo, 0x42b17218, v97
	v_cvt_f16_f32_e32 v97, v107
	s_wait_alu 0xfffd
	v_cndmask_b32_e32 v117, 0x7f800000, v62, vcc_lo
	v_cmp_nlt_f32_e32 vcc_lo, 0x42b17218, v96
	v_pack_b32_f16 v62, v101, v119
	v_pack_b32_f16 v99, v120, v97
	;; [unrolled: 1-line block ×4, first 2 shown]
	s_wait_alu 0xfffd
	v_cndmask_b32_e32 v121, 0x7f800000, v60, vcc_lo
	v_pack_b32_f16 v60, v139, v73
	v_cvt_f16_f32_e32 v73, v65
	v_cvt_f16_f32_e32 v101, v117
	ds_store_b128 v91, v[60:63]
	ds_store_b128 v91, v[96:99] offset:512
	s_wait_loadcnt 0x3
	ds_store_b128 v85, v[111:114]
	s_wait_loadcnt 0x2
	ds_store_b128 v87, v[124:127]
	;; [unrolled: 2-line block ×4, first 2 shown]
	v_cvt_f16_f32_e32 v102, v121
	s_wait_dscnt 0x0
	s_barrier_signal -1
	s_barrier_wait -1
	global_inv scope:SCOPE_SE
	ds_load_b128 v[60:63], v46
	v_and_b32_e32 v73, 0xffff, v73
	v_and_b32_e32 v59, 0xffff, v101
	;; [unrolled: 1-line block ×3, first 2 shown]
	v_add_f32_e32 v65, v109, v107
	s_delay_alu instid0(VALU_DEP_4)
	v_mul_u32_u24_e32 v96, 0x10001, v73
	v_add_f32_e32 v73, v100, v118
	v_mul_u32_u24_e32 v59, 0x10001, v59
	v_mul_u32_u24_e32 v95, 0x10001, v95
	v_fmac_f32_e32 v65, v94, v121
	v_pk_mul_f16 v105, v58, v96
	v_fmac_f32_e32 v73, v93, v117
	v_pk_mul_f16 v107, v57, v59
	v_pk_mul_f16 v109, v56, v95
	ds_load_2addr_b32 v[101:102], v43 offset1:32
	ds_load_b128 v[56:59], v46 offset:16
	ds_load_b128 v[93:96], v46 offset:32
	;; [unrolled: 1-line block ×3, first 2 shown]
	s_wait_dscnt 0x4
	v_lshrrev_b32_e32 v112, 16, v62
	v_and_b32_e32 v62, 0xffff, v62
	v_lshrrev_b32_e32 v110, 16, v60
	v_and_b32_e32 v60, 0xffff, v60
	v_lshrrev_b32_e32 v111, 16, v61
	v_lshrrev_b32_e32 v113, 16, v63
	v_and_b32_e32 v61, 0xffff, v61
	v_and_b32_e32 v63, 0xffff, v63
	v_mul_u32_u24_e32 v62, 0x10001, v62
	v_mul_u32_u24_e32 v112, 0x10001, v112
	;; [unrolled: 1-line block ×8, first 2 shown]
	s_wait_dscnt 0x3
	v_pk_fma_f16 v62, v101, v62, v103
	v_pk_fma_f16 v103, v101, v112, v105
	s_wait_dscnt 0x2
	v_lshrrev_b32_e32 v105, 16, v56
	v_and_b32_e32 v56, 0xffff, v56
	v_pk_fma_f16 v60, v101, v60, v106
	v_pk_fma_f16 v104, v101, v110, v104
	;; [unrolled: 1-line block ×6, first 2 shown]
	v_lshrrev_b32_e32 v109, 16, v59
	v_mul_u32_u24_e32 v56, 0x10001, v56
	v_and_b32_e32 v59, 0xffff, v59
	v_lshrrev_b32_e32 v107, 16, v57
	v_lshrrev_b32_e32 v108, 16, v58
	v_and_b32_e32 v57, 0xffff, v57
	v_and_b32_e32 v58, 0xffff, v58
	v_mul_u32_u24_e32 v110, 0x10001, v59
	v_pk_fma_f16 v56, v102, v56, v60
	ds_load_2addr_b32 v[59:60], v43 offset0:64 offset1:96
	v_mul_u32_u24_e32 v105, 0x10001, v105
	v_mul_u32_u24_e32 v57, 0x10001, v57
	;; [unrolled: 1-line block ×6, first 2 shown]
	v_pk_fma_f16 v104, v102, v105, v104
	v_pk_fma_f16 v57, v102, v57, v61
	;; [unrolled: 1-line block ×7, first 2 shown]
	s_wait_dscnt 0x2
	v_lshrrev_b32_e32 v102, 16, v93
	v_and_b32_e32 v93, 0xffff, v93
	v_lshrrev_b32_e32 v103, 16, v94
	v_lshrrev_b32_e32 v105, 16, v95
	;; [unrolled: 1-line block ×3, first 2 shown]
	v_and_b32_e32 v94, 0xffff, v94
	v_mul_u32_u24_e32 v93, 0x10001, v93
	v_and_b32_e32 v95, 0xffff, v95
	v_and_b32_e32 v96, 0xffff, v96
	v_mul_u32_u24_e32 v102, 0x10001, v102
	v_mul_u32_u24_e32 v94, 0x10001, v94
	;; [unrolled: 1-line block ×7, first 2 shown]
	s_wait_dscnt 0x0
	v_pk_fma_f16 v93, v59, v93, v56
	v_and_b32_e32 v56, 0xffff, v97
	v_pk_fma_f16 v102, v59, v102, v104
	v_pk_fma_f16 v94, v59, v94, v57
	;; [unrolled: 1-line block ×7, first 2 shown]
	v_lshrrev_b32_e32 v97, 16, v97
	v_lshrrev_b32_e32 v101, 16, v98
	;; [unrolled: 1-line block ×4, first 2 shown]
	v_mul_u32_u24_e32 v105, 0x10001, v56
	v_and_b32_e32 v98, 0xffff, v98
	ds_load_b128 v[56:59], v46 offset:64
	v_and_b32_e32 v99, 0xffff, v99
	v_and_b32_e32 v100, 0xffff, v100
	v_mul_u32_u24_e32 v97, 0x10001, v97
	v_mul_u32_u24_e32 v98, 0x10001, v98
	;; [unrolled: 1-line block ×7, first 2 shown]
	v_pk_fma_f16 v105, v60, v105, v93
	v_pk_fma_f16 v97, v60, v97, v102
	;; [unrolled: 1-line block ×6, first 2 shown]
	ds_load_2addr_b32 v[93:94], v43 offset0:128 offset1:160
	v_pk_fma_f16 v100, v60, v100, v63
	v_pk_fma_f16 v96, v60, v104, v96
	ds_load_b128 v[60:63], v46 offset:80
	s_wait_dscnt 0x2
	v_lshrrev_b32_e32 v102, 16, v56
	v_and_b32_e32 v56, 0xffff, v56
	v_lshrrev_b32_e32 v103, 16, v57
	v_lshrrev_b32_e32 v104, 16, v58
	v_lshrrev_b32_e32 v106, 16, v59
	v_and_b32_e32 v57, 0xffff, v57
	v_mul_u32_u24_e32 v56, 0x10001, v56
	v_and_b32_e32 v58, 0xffff, v58
	v_and_b32_e32 v59, 0xffff, v59
	v_mul_u32_u24_e32 v102, 0x10001, v102
	v_mul_u32_u24_e32 v57, 0x10001, v57
	;; [unrolled: 1-line block ×7, first 2 shown]
	s_wait_dscnt 0x1
	v_pk_fma_f16 v105, v93, v56, v105
	v_pk_fma_f16 v97, v93, v102, v97
	;; [unrolled: 1-line block ×3, first 2 shown]
	s_wait_dscnt 0x0
	v_and_b32_e32 v56, 0xffff, v60
	v_pk_fma_f16 v101, v93, v103, v101
	v_pk_fma_f16 v95, v93, v58, v95
	;; [unrolled: 1-line block ×5, first 2 shown]
	v_lshrrev_b32_e32 v60, 16, v60
	v_lshrrev_b32_e32 v96, 16, v61
	;; [unrolled: 1-line block ×4, first 2 shown]
	v_mul_u32_u24_e32 v104, 0x10001, v56
	v_and_b32_e32 v61, 0xffff, v61
	ds_load_b128 v[56:59], v46 offset:96
	v_and_b32_e32 v62, 0xffff, v62
	v_and_b32_e32 v63, 0xffff, v63
	v_mul_u32_u24_e32 v60, 0x10001, v60
	v_mul_u32_u24_e32 v61, 0x10001, v61
	;; [unrolled: 1-line block ×5, first 2 shown]
	v_pk_fma_f16 v104, v94, v104, v105
	v_pk_fma_f16 v97, v94, v60, v97
	;; [unrolled: 1-line block ×5, first 2 shown]
	ds_load_2addr_b32 v[95:96], v43 offset0:192 offset1:224
	v_pk_fma_f16 v100, v94, v63, v100
	ds_load_b128 v[60:63], v46 offset:112
	v_mul_u32_u24_e32 v102, 0x10001, v102
	v_mul_u32_u24_e32 v103, 0x10001, v103
	s_wait_dscnt 0x2
	v_lshrrev_b32_e32 v106, 16, v59
	s_delay_alu instid0(VALU_DEP_3) | instskip(NEXT) | instid1(VALU_DEP_3)
	v_pk_fma_f16 v99, v94, v102, v99
	v_pk_fma_f16 v93, v94, v103, v93
	v_lshrrev_b32_e32 v94, 16, v56
	v_and_b32_e32 v56, 0xffff, v56
	v_lshrrev_b32_e32 v102, 16, v57
	v_lshrrev_b32_e32 v103, 16, v58
	v_and_b32_e32 v57, 0xffff, v57
	v_and_b32_e32 v58, 0xffff, v58
	v_mul_u32_u24_e32 v56, 0x10001, v56
	v_and_b32_e32 v59, 0xffff, v59
	v_mul_u32_u24_e32 v94, 0x10001, v94
	v_mul_u32_u24_e32 v57, 0x10001, v57
	;; [unrolled: 1-line block ×7, first 2 shown]
	s_wait_dscnt 0x1
	v_pk_fma_f16 v104, v95, v56, v104
	s_wait_dscnt 0x0
	v_and_b32_e32 v56, 0xffff, v60
	v_pk_fma_f16 v94, v95, v94, v97
	v_pk_fma_f16 v97, v95, v57, v98
	;; [unrolled: 1-line block ×7, first 2 shown]
	v_lshrrev_b32_e32 v60, 16, v60
	v_lshrrev_b32_e32 v93, 16, v61
	;; [unrolled: 1-line block ×4, first 2 shown]
	v_mul_u32_u24_e32 v105, 0x10001, v56
	v_and_b32_e32 v61, 0xffff, v61
	v_and_b32_e32 v62, 0xffff, v62
	ds_load_b128 v[56:59], v46 offset:128
	v_and_b32_e32 v63, 0xffff, v63
	v_mul_u32_u24_e32 v60, 0x10001, v60
	v_mul_u32_u24_e32 v61, 0x10001, v61
	;; [unrolled: 1-line block ×5, first 2 shown]
	v_add_nc_u32_e32 v106, 0x400, v43
	v_pk_fma_f16 v104, v96, v105, v104
	v_pk_fma_f16 v105, v96, v60, v94
	v_pk_fma_f16 v97, v96, v61, v97
	v_pk_fma_f16 v98, v96, v93, v98
	v_pk_fma_f16 v101, v96, v62, v101
	ds_load_2addr_b32 v[93:94], v106 offset1:32
	v_pk_fma_f16 v100, v96, v63, v100
	ds_load_b128 v[60:63], v46 offset:144
	v_mul_u32_u24_e32 v102, 0x10001, v102
	v_mul_u32_u24_e32 v103, 0x10001, v103
	s_wait_dscnt 0x2
	v_lshrrev_b32_e32 v107, 16, v59
	s_delay_alu instid0(VALU_DEP_3) | instskip(NEXT) | instid1(VALU_DEP_3)
	v_pk_fma_f16 v99, v96, v102, v99
	v_pk_fma_f16 v95, v96, v103, v95
	v_lshrrev_b32_e32 v96, 16, v56
	v_and_b32_e32 v56, 0xffff, v56
	v_lshrrev_b32_e32 v102, 16, v57
	v_lshrrev_b32_e32 v103, 16, v58
	v_and_b32_e32 v57, 0xffff, v57
	v_and_b32_e32 v58, 0xffff, v58
	v_mul_u32_u24_e32 v56, 0x10001, v56
	v_and_b32_e32 v59, 0xffff, v59
	v_mul_u32_u24_e32 v96, 0x10001, v96
	v_mul_u32_u24_e32 v57, 0x10001, v57
	v_mul_u32_u24_e32 v102, 0x10001, v102
	v_mul_u32_u24_e32 v58, 0x10001, v58
	v_mul_u32_u24_e32 v103, 0x10001, v103
	v_mul_u32_u24_e32 v59, 0x10001, v59
	v_mul_u32_u24_e32 v107, 0x10001, v107
	s_wait_dscnt 0x1
	v_pk_fma_f16 v104, v93, v56, v104
	s_wait_dscnt 0x0
	v_and_b32_e32 v56, 0xffff, v60
	v_pk_fma_f16 v96, v93, v96, v105
	v_pk_fma_f16 v97, v93, v57, v97
	v_pk_fma_f16 v98, v93, v102, v98
	v_pk_fma_f16 v101, v93, v58, v101
	v_pk_fma_f16 v99, v93, v103, v99
	v_pk_fma_f16 v100, v93, v59, v100
	v_pk_fma_f16 v93, v93, v107, v95
	v_lshrrev_b32_e32 v60, 16, v60
	v_lshrrev_b32_e32 v95, 16, v61
	v_lshrrev_b32_e32 v102, 16, v62
	v_lshrrev_b32_e32 v103, 16, v63
	v_mul_u32_u24_e32 v105, 0x10001, v56
	v_and_b32_e32 v61, 0xffff, v61
	ds_load_b128 v[56:59], v46 offset:160
	v_and_b32_e32 v62, 0xffff, v62
	v_and_b32_e32 v63, 0xffff, v63
	v_mul_u32_u24_e32 v60, 0x10001, v60
	v_mul_u32_u24_e32 v61, 0x10001, v61
	v_mul_u32_u24_e32 v95, 0x10001, v95
	v_mul_u32_u24_e32 v62, 0x10001, v62
	v_mul_u32_u24_e32 v63, 0x10001, v63
	v_pk_fma_f16 v104, v94, v105, v104
	v_pk_fma_f16 v105, v94, v60, v96
	v_pk_fma_f16 v97, v94, v61, v97
	v_pk_fma_f16 v98, v94, v95, v98
	v_pk_fma_f16 v101, v94, v62, v101
	ds_load_2addr_b32 v[95:96], v106 offset0:64 offset1:96
	v_pk_fma_f16 v100, v94, v63, v100
	ds_load_b128 v[60:63], v46 offset:176
	v_mul_u32_u24_e32 v102, 0x10001, v102
	v_mul_u32_u24_e32 v103, 0x10001, v103
	s_wait_dscnt 0x2
	v_lshrrev_b32_e32 v107, 16, v59
	s_delay_alu instid0(VALU_DEP_3) | instskip(NEXT) | instid1(VALU_DEP_3)
	v_pk_fma_f16 v99, v94, v102, v99
	v_pk_fma_f16 v93, v94, v103, v93
	v_lshrrev_b32_e32 v94, 16, v56
	v_and_b32_e32 v56, 0xffff, v56
	v_lshrrev_b32_e32 v102, 16, v57
	v_lshrrev_b32_e32 v103, 16, v58
	v_and_b32_e32 v57, 0xffff, v57
	v_and_b32_e32 v58, 0xffff, v58
	v_mul_u32_u24_e32 v56, 0x10001, v56
	v_and_b32_e32 v59, 0xffff, v59
	v_mul_u32_u24_e32 v94, 0x10001, v94
	v_mul_u32_u24_e32 v57, 0x10001, v57
	v_mul_u32_u24_e32 v102, 0x10001, v102
	v_mul_u32_u24_e32 v58, 0x10001, v58
	v_mul_u32_u24_e32 v103, 0x10001, v103
	v_mul_u32_u24_e32 v59, 0x10001, v59
	v_mul_u32_u24_e32 v107, 0x10001, v107
	s_wait_dscnt 0x1
	v_pk_fma_f16 v104, v95, v56, v104
	s_wait_dscnt 0x0
	v_and_b32_e32 v56, 0xffff, v60
	v_pk_fma_f16 v94, v95, v94, v105
	v_pk_fma_f16 v97, v95, v57, v97
	v_pk_fma_f16 v98, v95, v102, v98
	v_pk_fma_f16 v101, v95, v58, v101
	v_pk_fma_f16 v99, v95, v103, v99
	v_pk_fma_f16 v100, v95, v59, v100
	v_pk_fma_f16 v95, v95, v107, v93
	v_lshrrev_b32_e32 v60, 16, v60
	v_lshrrev_b32_e32 v93, 16, v61
	v_lshrrev_b32_e32 v102, 16, v62
	v_lshrrev_b32_e32 v103, 16, v63
	v_mul_u32_u24_e32 v105, 0x10001, v56
	v_and_b32_e32 v61, 0xffff, v61
	ds_load_b128 v[56:59], v46 offset:192
	v_and_b32_e32 v62, 0xffff, v62
	v_and_b32_e32 v63, 0xffff, v63
	v_mul_u32_u24_e32 v60, 0x10001, v60
	v_mul_u32_u24_e32 v61, 0x10001, v61
	v_mul_u32_u24_e32 v93, 0x10001, v93
	v_mul_u32_u24_e32 v62, 0x10001, v62
	v_mul_u32_u24_e32 v63, 0x10001, v63
	v_pk_fma_f16 v104, v96, v105, v104
	v_pk_fma_f16 v105, v96, v60, v94
	v_pk_fma_f16 v97, v96, v61, v97
	v_pk_fma_f16 v98, v96, v93, v98
	v_pk_fma_f16 v101, v96, v62, v101
	ds_load_2addr_b32 v[93:94], v106 offset0:128 offset1:160
	;; [unrolled: 55-line block ×3, first 2 shown]
	v_pk_fma_f16 v100, v94, v63, v100
	ds_load_b128 v[60:63], v46 offset:240
	v_mul_u32_u24_e32 v102, 0x10001, v102
	v_mul_u32_u24_e32 v103, 0x10001, v103
	s_wait_dscnt 0x2
	v_lshrrev_b32_e32 v106, 16, v59
	s_delay_alu instid0(VALU_DEP_3) | instskip(NEXT) | instid1(VALU_DEP_3)
	v_pk_fma_f16 v99, v94, v102, v99
	v_pk_fma_f16 v93, v94, v103, v93
	v_lshrrev_b32_e32 v94, 16, v56
	v_and_b32_e32 v56, 0xffff, v56
	v_lshrrev_b32_e32 v102, 16, v57
	v_lshrrev_b32_e32 v103, 16, v58
	v_and_b32_e32 v57, 0xffff, v57
	v_and_b32_e32 v58, 0xffff, v58
	v_mul_u32_u24_e32 v56, 0x10001, v56
	v_and_b32_e32 v59, 0xffff, v59
	v_mul_u32_u24_e32 v94, 0x10001, v94
	v_mul_u32_u24_e32 v57, 0x10001, v57
	;; [unrolled: 1-line block ×7, first 2 shown]
	s_wait_dscnt 0x1
	v_pk_fma_f16 v104, v95, v56, v104
	s_wait_dscnt 0x0
	v_and_b32_e32 v56, 0xffff, v60
	v_pk_fma_f16 v94, v95, v94, v105
	v_pk_fma_f16 v97, v95, v57, v97
	;; [unrolled: 1-line block ×7, first 2 shown]
	v_lshrrev_b32_e32 v60, 16, v60
	v_lshrrev_b32_e32 v93, 16, v61
	;; [unrolled: 1-line block ×4, first 2 shown]
	v_mul_u32_u24_e32 v105, 0x10001, v56
	v_and_b32_e32 v61, 0xffff, v61
	v_and_b32_e32 v62, 0xffff, v62
	ds_load_b128 v[56:59], v46 offset:256
	v_and_b32_e32 v63, 0xffff, v63
	v_mul_u32_u24_e32 v60, 0x10001, v60
	v_mul_u32_u24_e32 v61, 0x10001, v61
	;; [unrolled: 1-line block ×5, first 2 shown]
	v_add_nc_u32_e32 v106, 0x800, v43
	v_pk_fma_f16 v104, v96, v105, v104
	v_pk_fma_f16 v105, v96, v60, v94
	;; [unrolled: 1-line block ×5, first 2 shown]
	ds_load_2addr_b32 v[93:94], v106 offset1:32
	v_pk_fma_f16 v100, v96, v63, v100
	ds_load_b128 v[60:63], v46 offset:272
	v_mul_u32_u24_e32 v102, 0x10001, v102
	v_mul_u32_u24_e32 v103, 0x10001, v103
	s_wait_dscnt 0x2
	v_lshrrev_b32_e32 v107, 16, v59
	s_delay_alu instid0(VALU_DEP_3) | instskip(NEXT) | instid1(VALU_DEP_3)
	v_pk_fma_f16 v99, v96, v102, v99
	v_pk_fma_f16 v95, v96, v103, v95
	v_lshrrev_b32_e32 v96, 16, v56
	v_and_b32_e32 v56, 0xffff, v56
	v_lshrrev_b32_e32 v102, 16, v57
	v_lshrrev_b32_e32 v103, 16, v58
	v_and_b32_e32 v57, 0xffff, v57
	v_and_b32_e32 v58, 0xffff, v58
	v_mul_u32_u24_e32 v56, 0x10001, v56
	v_and_b32_e32 v59, 0xffff, v59
	v_mul_u32_u24_e32 v96, 0x10001, v96
	v_mul_u32_u24_e32 v57, 0x10001, v57
	v_mul_u32_u24_e32 v102, 0x10001, v102
	v_mul_u32_u24_e32 v58, 0x10001, v58
	v_mul_u32_u24_e32 v103, 0x10001, v103
	v_mul_u32_u24_e32 v59, 0x10001, v59
	v_mul_u32_u24_e32 v107, 0x10001, v107
	s_wait_dscnt 0x1
	v_pk_fma_f16 v104, v93, v56, v104
	s_wait_dscnt 0x0
	v_and_b32_e32 v56, 0xffff, v60
	v_pk_fma_f16 v96, v93, v96, v105
	v_pk_fma_f16 v97, v93, v57, v97
	v_pk_fma_f16 v98, v93, v102, v98
	v_pk_fma_f16 v101, v93, v58, v101
	v_pk_fma_f16 v99, v93, v103, v99
	v_pk_fma_f16 v100, v93, v59, v100
	v_pk_fma_f16 v93, v93, v107, v95
	v_lshrrev_b32_e32 v60, 16, v60
	v_lshrrev_b32_e32 v95, 16, v61
	v_lshrrev_b32_e32 v102, 16, v62
	v_lshrrev_b32_e32 v103, 16, v63
	v_mul_u32_u24_e32 v105, 0x10001, v56
	v_and_b32_e32 v61, 0xffff, v61
	ds_load_b128 v[56:59], v46 offset:288
	v_and_b32_e32 v62, 0xffff, v62
	v_and_b32_e32 v63, 0xffff, v63
	v_mul_u32_u24_e32 v60, 0x10001, v60
	v_mul_u32_u24_e32 v61, 0x10001, v61
	v_mul_u32_u24_e32 v95, 0x10001, v95
	v_mul_u32_u24_e32 v62, 0x10001, v62
	v_mul_u32_u24_e32 v63, 0x10001, v63
	v_pk_fma_f16 v104, v94, v105, v104
	v_pk_fma_f16 v105, v94, v60, v96
	v_pk_fma_f16 v97, v94, v61, v97
	v_pk_fma_f16 v98, v94, v95, v98
	v_pk_fma_f16 v101, v94, v62, v101
	ds_load_2addr_b32 v[95:96], v106 offset0:64 offset1:96
	v_pk_fma_f16 v100, v94, v63, v100
	ds_load_b128 v[60:63], v46 offset:304
	v_mul_u32_u24_e32 v102, 0x10001, v102
	v_mul_u32_u24_e32 v103, 0x10001, v103
	s_wait_dscnt 0x2
	v_lshrrev_b32_e32 v107, 16, v59
	s_delay_alu instid0(VALU_DEP_3) | instskip(NEXT) | instid1(VALU_DEP_3)
	v_pk_fma_f16 v99, v94, v102, v99
	v_pk_fma_f16 v93, v94, v103, v93
	v_lshrrev_b32_e32 v94, 16, v56
	v_and_b32_e32 v56, 0xffff, v56
	v_lshrrev_b32_e32 v102, 16, v57
	v_lshrrev_b32_e32 v103, 16, v58
	v_and_b32_e32 v57, 0xffff, v57
	v_and_b32_e32 v58, 0xffff, v58
	v_mul_u32_u24_e32 v56, 0x10001, v56
	v_and_b32_e32 v59, 0xffff, v59
	v_mul_u32_u24_e32 v94, 0x10001, v94
	v_mul_u32_u24_e32 v57, 0x10001, v57
	v_mul_u32_u24_e32 v102, 0x10001, v102
	v_mul_u32_u24_e32 v58, 0x10001, v58
	v_mul_u32_u24_e32 v103, 0x10001, v103
	v_mul_u32_u24_e32 v59, 0x10001, v59
	v_mul_u32_u24_e32 v107, 0x10001, v107
	s_wait_dscnt 0x1
	v_pk_fma_f16 v104, v95, v56, v104
	s_wait_dscnt 0x0
	v_and_b32_e32 v56, 0xffff, v60
	v_pk_fma_f16 v94, v95, v94, v105
	v_pk_fma_f16 v97, v95, v57, v97
	v_pk_fma_f16 v98, v95, v102, v98
	v_pk_fma_f16 v101, v95, v58, v101
	v_pk_fma_f16 v99, v95, v103, v99
	v_pk_fma_f16 v100, v95, v59, v100
	v_pk_fma_f16 v95, v95, v107, v93
	v_lshrrev_b32_e32 v60, 16, v60
	v_lshrrev_b32_e32 v93, 16, v61
	v_lshrrev_b32_e32 v102, 16, v62
	v_lshrrev_b32_e32 v103, 16, v63
	v_mul_u32_u24_e32 v105, 0x10001, v56
	v_and_b32_e32 v61, 0xffff, v61
	ds_load_b128 v[56:59], v46 offset:320
	v_and_b32_e32 v62, 0xffff, v62
	v_and_b32_e32 v63, 0xffff, v63
	v_mul_u32_u24_e32 v60, 0x10001, v60
	v_mul_u32_u24_e32 v61, 0x10001, v61
	v_mul_u32_u24_e32 v93, 0x10001, v93
	v_mul_u32_u24_e32 v62, 0x10001, v62
	v_mul_u32_u24_e32 v63, 0x10001, v63
	v_pk_fma_f16 v104, v96, v105, v104
	v_pk_fma_f16 v105, v96, v60, v94
	v_pk_fma_f16 v97, v96, v61, v97
	v_pk_fma_f16 v98, v96, v93, v98
	v_pk_fma_f16 v101, v96, v62, v101
	ds_load_2addr_b32 v[93:94], v106 offset0:128 offset1:160
	;; [unrolled: 55-line block ×3, first 2 shown]
	v_pk_fma_f16 v100, v94, v63, v100
	ds_load_b128 v[60:63], v46 offset:368
	v_mul_u32_u24_e32 v102, 0x10001, v102
	v_mul_u32_u24_e32 v103, 0x10001, v103
	s_wait_dscnt 0x2
	v_lshrrev_b32_e32 v106, 16, v59
	s_delay_alu instid0(VALU_DEP_3) | instskip(NEXT) | instid1(VALU_DEP_3)
	v_pk_fma_f16 v99, v94, v102, v99
	v_pk_fma_f16 v93, v94, v103, v93
	v_lshrrev_b32_e32 v94, 16, v56
	v_and_b32_e32 v56, 0xffff, v56
	v_lshrrev_b32_e32 v102, 16, v57
	v_lshrrev_b32_e32 v103, 16, v58
	v_and_b32_e32 v57, 0xffff, v57
	v_and_b32_e32 v58, 0xffff, v58
	v_mul_u32_u24_e32 v56, 0x10001, v56
	v_and_b32_e32 v59, 0xffff, v59
	v_mul_u32_u24_e32 v94, 0x10001, v94
	v_mul_u32_u24_e32 v57, 0x10001, v57
	;; [unrolled: 1-line block ×7, first 2 shown]
	s_wait_dscnt 0x1
	v_pk_fma_f16 v104, v95, v56, v104
	s_wait_dscnt 0x0
	v_and_b32_e32 v56, 0xffff, v60
	v_pk_fma_f16 v94, v95, v94, v105
	v_pk_fma_f16 v97, v95, v57, v97
	;; [unrolled: 1-line block ×7, first 2 shown]
	v_lshrrev_b32_e32 v60, 16, v60
	v_lshrrev_b32_e32 v93, 16, v61
	;; [unrolled: 1-line block ×4, first 2 shown]
	v_mul_u32_u24_e32 v105, 0x10001, v56
	v_and_b32_e32 v61, 0xffff, v61
	v_and_b32_e32 v62, 0xffff, v62
	ds_load_b128 v[56:59], v46 offset:384
	v_and_b32_e32 v63, 0xffff, v63
	v_mul_u32_u24_e32 v60, 0x10001, v60
	v_mul_u32_u24_e32 v61, 0x10001, v61
	;; [unrolled: 1-line block ×5, first 2 shown]
	v_add_nc_u32_e32 v106, 0xc00, v43
	v_pk_fma_f16 v104, v96, v105, v104
	v_pk_fma_f16 v105, v96, v60, v94
	v_pk_fma_f16 v97, v96, v61, v97
	v_pk_fma_f16 v98, v96, v93, v98
	v_pk_fma_f16 v101, v96, v62, v101
	ds_load_2addr_b32 v[93:94], v106 offset1:32
	v_pk_fma_f16 v100, v96, v63, v100
	ds_load_b128 v[60:63], v46 offset:400
	v_mul_u32_u24_e32 v102, 0x10001, v102
	v_mul_u32_u24_e32 v103, 0x10001, v103
	s_wait_dscnt 0x2
	v_lshrrev_b32_e32 v107, 16, v59
	s_delay_alu instid0(VALU_DEP_3) | instskip(NEXT) | instid1(VALU_DEP_3)
	v_pk_fma_f16 v99, v96, v102, v99
	v_pk_fma_f16 v95, v96, v103, v95
	v_lshrrev_b32_e32 v96, 16, v56
	v_and_b32_e32 v56, 0xffff, v56
	v_lshrrev_b32_e32 v102, 16, v57
	v_lshrrev_b32_e32 v103, 16, v58
	v_and_b32_e32 v57, 0xffff, v57
	v_and_b32_e32 v58, 0xffff, v58
	v_mul_u32_u24_e32 v56, 0x10001, v56
	v_and_b32_e32 v59, 0xffff, v59
	v_mul_u32_u24_e32 v96, 0x10001, v96
	v_mul_u32_u24_e32 v57, 0x10001, v57
	v_mul_u32_u24_e32 v102, 0x10001, v102
	v_mul_u32_u24_e32 v58, 0x10001, v58
	v_mul_u32_u24_e32 v103, 0x10001, v103
	v_mul_u32_u24_e32 v59, 0x10001, v59
	v_mul_u32_u24_e32 v107, 0x10001, v107
	s_wait_dscnt 0x1
	v_pk_fma_f16 v104, v93, v56, v104
	s_wait_dscnt 0x0
	v_and_b32_e32 v56, 0xffff, v60
	v_pk_fma_f16 v96, v93, v96, v105
	v_pk_fma_f16 v97, v93, v57, v97
	v_pk_fma_f16 v98, v93, v102, v98
	v_pk_fma_f16 v101, v93, v58, v101
	v_pk_fma_f16 v99, v93, v103, v99
	v_pk_fma_f16 v100, v93, v59, v100
	v_pk_fma_f16 v93, v93, v107, v95
	v_lshrrev_b32_e32 v60, 16, v60
	v_lshrrev_b32_e32 v95, 16, v61
	v_lshrrev_b32_e32 v102, 16, v62
	v_lshrrev_b32_e32 v103, 16, v63
	v_mul_u32_u24_e32 v105, 0x10001, v56
	v_and_b32_e32 v61, 0xffff, v61
	ds_load_b128 v[56:59], v46 offset:416
	v_and_b32_e32 v62, 0xffff, v62
	v_and_b32_e32 v63, 0xffff, v63
	v_mul_u32_u24_e32 v60, 0x10001, v60
	v_mul_u32_u24_e32 v61, 0x10001, v61
	v_mul_u32_u24_e32 v95, 0x10001, v95
	v_mul_u32_u24_e32 v62, 0x10001, v62
	v_mul_u32_u24_e32 v63, 0x10001, v63
	v_pk_fma_f16 v104, v94, v105, v104
	v_pk_fma_f16 v105, v94, v60, v96
	v_pk_fma_f16 v97, v94, v61, v97
	v_pk_fma_f16 v98, v94, v95, v98
	v_pk_fma_f16 v101, v94, v62, v101
	ds_load_2addr_b32 v[95:96], v106 offset0:64 offset1:96
	v_pk_fma_f16 v100, v94, v63, v100
	ds_load_b128 v[60:63], v46 offset:432
	v_mul_u32_u24_e32 v102, 0x10001, v102
	v_mul_u32_u24_e32 v103, 0x10001, v103
	s_wait_dscnt 0x2
	v_lshrrev_b32_e32 v107, 16, v59
	s_delay_alu instid0(VALU_DEP_3) | instskip(NEXT) | instid1(VALU_DEP_3)
	v_pk_fma_f16 v99, v94, v102, v99
	v_pk_fma_f16 v93, v94, v103, v93
	v_lshrrev_b32_e32 v94, 16, v56
	v_and_b32_e32 v56, 0xffff, v56
	v_lshrrev_b32_e32 v102, 16, v57
	v_lshrrev_b32_e32 v103, 16, v58
	v_and_b32_e32 v57, 0xffff, v57
	v_and_b32_e32 v58, 0xffff, v58
	v_mul_u32_u24_e32 v56, 0x10001, v56
	v_and_b32_e32 v59, 0xffff, v59
	v_mul_u32_u24_e32 v94, 0x10001, v94
	v_mul_u32_u24_e32 v57, 0x10001, v57
	v_mul_u32_u24_e32 v102, 0x10001, v102
	v_mul_u32_u24_e32 v58, 0x10001, v58
	v_mul_u32_u24_e32 v103, 0x10001, v103
	v_mul_u32_u24_e32 v59, 0x10001, v59
	v_mul_u32_u24_e32 v107, 0x10001, v107
	s_wait_dscnt 0x1
	v_pk_fma_f16 v104, v95, v56, v104
	s_wait_dscnt 0x0
	v_and_b32_e32 v56, 0xffff, v60
	v_pk_fma_f16 v94, v95, v94, v105
	v_pk_fma_f16 v97, v95, v57, v97
	v_pk_fma_f16 v98, v95, v102, v98
	v_pk_fma_f16 v101, v95, v58, v101
	v_pk_fma_f16 v99, v95, v103, v99
	v_pk_fma_f16 v100, v95, v59, v100
	v_pk_fma_f16 v95, v95, v107, v93
	v_lshrrev_b32_e32 v60, 16, v60
	v_lshrrev_b32_e32 v93, 16, v61
	v_lshrrev_b32_e32 v102, 16, v62
	v_lshrrev_b32_e32 v103, 16, v63
	v_mul_u32_u24_e32 v105, 0x10001, v56
	v_and_b32_e32 v61, 0xffff, v61
	ds_load_b128 v[56:59], v46 offset:448
	v_and_b32_e32 v62, 0xffff, v62
	v_and_b32_e32 v63, 0xffff, v63
	v_mul_u32_u24_e32 v60, 0x10001, v60
	v_mul_u32_u24_e32 v61, 0x10001, v61
	v_mul_u32_u24_e32 v93, 0x10001, v93
	v_mul_u32_u24_e32 v62, 0x10001, v62
	v_mul_u32_u24_e32 v63, 0x10001, v63
	v_pk_fma_f16 v104, v96, v105, v104
	v_pk_fma_f16 v105, v96, v60, v94
	v_pk_fma_f16 v97, v96, v61, v97
	v_pk_fma_f16 v98, v96, v93, v98
	v_pk_fma_f16 v101, v96, v62, v101
	ds_load_2addr_b32 v[93:94], v106 offset0:128 offset1:160
	;; [unrolled: 55-line block ×3, first 2 shown]
	v_pk_fma_f16 v100, v94, v63, v100
	ds_load_b128 v[60:63], v46 offset:496
	v_mul_u32_u24_e32 v102, 0x10001, v102
	v_mul_u32_u24_e32 v103, 0x10001, v103
	s_wait_dscnt 0x2
	v_lshrrev_b32_e32 v106, 16, v59
	s_delay_alu instid0(VALU_DEP_3) | instskip(NEXT) | instid1(VALU_DEP_3)
	v_pk_fma_f16 v99, v94, v102, v99
	v_pk_fma_f16 v93, v94, v103, v93
	v_lshrrev_b32_e32 v94, 16, v56
	v_and_b32_e32 v56, 0xffff, v56
	v_lshrrev_b32_e32 v102, 16, v57
	v_lshrrev_b32_e32 v103, 16, v58
	v_and_b32_e32 v57, 0xffff, v57
	v_and_b32_e32 v58, 0xffff, v58
	v_mul_u32_u24_e32 v56, 0x10001, v56
	v_and_b32_e32 v59, 0xffff, v59
	v_mul_u32_u24_e32 v94, 0x10001, v94
	v_mul_u32_u24_e32 v57, 0x10001, v57
	;; [unrolled: 1-line block ×7, first 2 shown]
	s_wait_dscnt 0x1
	v_pk_fma_f16 v104, v95, v56, v104
	s_wait_dscnt 0x0
	v_and_b32_e32 v56, 0xffff, v60
	v_pk_fma_f16 v94, v95, v94, v105
	v_pk_fma_f16 v97, v95, v57, v97
	;; [unrolled: 1-line block ×7, first 2 shown]
	v_lshrrev_b32_e32 v60, 16, v60
	v_lshrrev_b32_e32 v93, 16, v61
	;; [unrolled: 1-line block ×4, first 2 shown]
	v_mul_u32_u24_e32 v105, 0x10001, v56
	v_and_b32_e32 v61, 0xffff, v61
	v_and_b32_e32 v62, 0xffff, v62
	ds_load_b128 v[56:59], v46 offset:512
	v_and_b32_e32 v63, 0xffff, v63
	v_mul_u32_u24_e32 v60, 0x10001, v60
	v_mul_u32_u24_e32 v61, 0x10001, v61
	;; [unrolled: 1-line block ×5, first 2 shown]
	v_add_nc_u32_e32 v106, 0x1000, v43
	v_pk_fma_f16 v104, v96, v105, v104
	v_pk_fma_f16 v105, v96, v60, v94
	;; [unrolled: 1-line block ×5, first 2 shown]
	ds_load_2addr_b32 v[93:94], v106 offset1:32
	v_pk_fma_f16 v100, v96, v63, v100
	ds_load_b128 v[60:63], v46 offset:528
	v_mul_u32_u24_e32 v102, 0x10001, v102
	v_mul_u32_u24_e32 v103, 0x10001, v103
	s_wait_dscnt 0x2
	v_lshrrev_b32_e32 v107, 16, v59
	s_delay_alu instid0(VALU_DEP_3) | instskip(NEXT) | instid1(VALU_DEP_3)
	v_pk_fma_f16 v99, v96, v102, v99
	v_pk_fma_f16 v95, v96, v103, v95
	v_lshrrev_b32_e32 v96, 16, v56
	v_and_b32_e32 v56, 0xffff, v56
	v_lshrrev_b32_e32 v102, 16, v57
	v_lshrrev_b32_e32 v103, 16, v58
	v_and_b32_e32 v57, 0xffff, v57
	v_and_b32_e32 v58, 0xffff, v58
	v_mul_u32_u24_e32 v56, 0x10001, v56
	v_and_b32_e32 v59, 0xffff, v59
	v_mul_u32_u24_e32 v96, 0x10001, v96
	v_mul_u32_u24_e32 v57, 0x10001, v57
	v_mul_u32_u24_e32 v102, 0x10001, v102
	v_mul_u32_u24_e32 v58, 0x10001, v58
	v_mul_u32_u24_e32 v103, 0x10001, v103
	v_mul_u32_u24_e32 v59, 0x10001, v59
	v_mul_u32_u24_e32 v107, 0x10001, v107
	s_wait_dscnt 0x1
	v_pk_fma_f16 v104, v93, v56, v104
	s_wait_dscnt 0x0
	v_and_b32_e32 v56, 0xffff, v60
	v_pk_fma_f16 v96, v93, v96, v105
	v_pk_fma_f16 v97, v93, v57, v97
	v_pk_fma_f16 v98, v93, v102, v98
	v_pk_fma_f16 v101, v93, v58, v101
	v_pk_fma_f16 v99, v93, v103, v99
	v_pk_fma_f16 v100, v93, v59, v100
	v_pk_fma_f16 v93, v93, v107, v95
	v_lshrrev_b32_e32 v60, 16, v60
	v_lshrrev_b32_e32 v95, 16, v61
	v_lshrrev_b32_e32 v102, 16, v62
	v_lshrrev_b32_e32 v103, 16, v63
	v_mul_u32_u24_e32 v105, 0x10001, v56
	v_and_b32_e32 v61, 0xffff, v61
	ds_load_b128 v[56:59], v46 offset:544
	v_and_b32_e32 v62, 0xffff, v62
	v_and_b32_e32 v63, 0xffff, v63
	v_mul_u32_u24_e32 v60, 0x10001, v60
	v_mul_u32_u24_e32 v61, 0x10001, v61
	v_mul_u32_u24_e32 v95, 0x10001, v95
	v_mul_u32_u24_e32 v62, 0x10001, v62
	v_mul_u32_u24_e32 v63, 0x10001, v63
	v_pk_fma_f16 v104, v94, v105, v104
	v_pk_fma_f16 v105, v94, v60, v96
	v_pk_fma_f16 v97, v94, v61, v97
	v_pk_fma_f16 v98, v94, v95, v98
	v_pk_fma_f16 v101, v94, v62, v101
	ds_load_2addr_b32 v[95:96], v106 offset0:64 offset1:96
	v_pk_fma_f16 v100, v94, v63, v100
	ds_load_b128 v[60:63], v46 offset:560
	v_mul_u32_u24_e32 v102, 0x10001, v102
	v_mul_u32_u24_e32 v103, 0x10001, v103
	s_wait_dscnt 0x2
	v_lshrrev_b32_e32 v107, 16, v59
	s_delay_alu instid0(VALU_DEP_3) | instskip(NEXT) | instid1(VALU_DEP_3)
	v_pk_fma_f16 v99, v94, v102, v99
	v_pk_fma_f16 v93, v94, v103, v93
	v_lshrrev_b32_e32 v94, 16, v56
	v_and_b32_e32 v56, 0xffff, v56
	v_lshrrev_b32_e32 v102, 16, v57
	v_lshrrev_b32_e32 v103, 16, v58
	v_and_b32_e32 v57, 0xffff, v57
	v_and_b32_e32 v58, 0xffff, v58
	v_mul_u32_u24_e32 v56, 0x10001, v56
	v_and_b32_e32 v59, 0xffff, v59
	v_mul_u32_u24_e32 v94, 0x10001, v94
	v_mul_u32_u24_e32 v57, 0x10001, v57
	v_mul_u32_u24_e32 v102, 0x10001, v102
	v_mul_u32_u24_e32 v58, 0x10001, v58
	v_mul_u32_u24_e32 v103, 0x10001, v103
	v_mul_u32_u24_e32 v59, 0x10001, v59
	v_mul_u32_u24_e32 v107, 0x10001, v107
	s_wait_dscnt 0x1
	v_pk_fma_f16 v104, v95, v56, v104
	s_wait_dscnt 0x0
	v_and_b32_e32 v56, 0xffff, v60
	v_pk_fma_f16 v94, v95, v94, v105
	v_pk_fma_f16 v97, v95, v57, v97
	v_pk_fma_f16 v98, v95, v102, v98
	v_pk_fma_f16 v101, v95, v58, v101
	v_pk_fma_f16 v99, v95, v103, v99
	v_pk_fma_f16 v100, v95, v59, v100
	v_pk_fma_f16 v95, v95, v107, v93
	v_lshrrev_b32_e32 v60, 16, v60
	v_lshrrev_b32_e32 v93, 16, v61
	v_lshrrev_b32_e32 v102, 16, v62
	v_lshrrev_b32_e32 v103, 16, v63
	v_mul_u32_u24_e32 v105, 0x10001, v56
	v_and_b32_e32 v61, 0xffff, v61
	ds_load_b128 v[56:59], v46 offset:576
	v_and_b32_e32 v62, 0xffff, v62
	v_and_b32_e32 v63, 0xffff, v63
	v_mul_u32_u24_e32 v60, 0x10001, v60
	v_mul_u32_u24_e32 v61, 0x10001, v61
	v_mul_u32_u24_e32 v93, 0x10001, v93
	v_mul_u32_u24_e32 v62, 0x10001, v62
	v_mul_u32_u24_e32 v63, 0x10001, v63
	v_pk_fma_f16 v104, v96, v105, v104
	v_pk_fma_f16 v105, v96, v60, v94
	v_pk_fma_f16 v97, v96, v61, v97
	v_pk_fma_f16 v98, v96, v93, v98
	v_pk_fma_f16 v101, v96, v62, v101
	ds_load_2addr_b32 v[93:94], v106 offset0:128 offset1:160
	;; [unrolled: 55-line block ×3, first 2 shown]
	v_pk_fma_f16 v100, v94, v63, v100
	ds_load_b128 v[60:63], v46 offset:624
	v_mul_u32_u24_e32 v102, 0x10001, v102
	v_mul_u32_u24_e32 v103, 0x10001, v103
	s_wait_dscnt 0x2
	v_lshrrev_b32_e32 v106, 16, v59
	s_delay_alu instid0(VALU_DEP_3) | instskip(NEXT) | instid1(VALU_DEP_3)
	v_pk_fma_f16 v99, v94, v102, v99
	v_pk_fma_f16 v93, v94, v103, v93
	v_lshrrev_b32_e32 v94, 16, v56
	v_and_b32_e32 v56, 0xffff, v56
	v_lshrrev_b32_e32 v102, 16, v57
	v_lshrrev_b32_e32 v103, 16, v58
	v_and_b32_e32 v57, 0xffff, v57
	v_and_b32_e32 v58, 0xffff, v58
	v_mul_u32_u24_e32 v56, 0x10001, v56
	v_and_b32_e32 v59, 0xffff, v59
	v_mul_u32_u24_e32 v94, 0x10001, v94
	v_mul_u32_u24_e32 v57, 0x10001, v57
	;; [unrolled: 1-line block ×7, first 2 shown]
	s_wait_dscnt 0x1
	v_pk_fma_f16 v104, v95, v56, v104
	s_wait_dscnt 0x0
	v_and_b32_e32 v56, 0xffff, v60
	v_pk_fma_f16 v94, v95, v94, v105
	v_pk_fma_f16 v97, v95, v57, v97
	;; [unrolled: 1-line block ×7, first 2 shown]
	v_lshrrev_b32_e32 v60, 16, v60
	v_lshrrev_b32_e32 v93, 16, v61
	;; [unrolled: 1-line block ×4, first 2 shown]
	v_mul_u32_u24_e32 v105, 0x10001, v56
	v_and_b32_e32 v61, 0xffff, v61
	v_and_b32_e32 v62, 0xffff, v62
	ds_load_b128 v[56:59], v46 offset:640
	v_and_b32_e32 v63, 0xffff, v63
	v_mul_u32_u24_e32 v60, 0x10001, v60
	v_mul_u32_u24_e32 v61, 0x10001, v61
	;; [unrolled: 1-line block ×5, first 2 shown]
	v_add_nc_u32_e32 v106, 0x1400, v43
	v_pk_fma_f16 v104, v96, v105, v104
	v_pk_fma_f16 v105, v96, v60, v94
	;; [unrolled: 1-line block ×5, first 2 shown]
	ds_load_2addr_b32 v[93:94], v106 offset1:32
	v_pk_fma_f16 v100, v96, v63, v100
	ds_load_b128 v[60:63], v46 offset:656
	v_mul_u32_u24_e32 v102, 0x10001, v102
	v_mul_u32_u24_e32 v103, 0x10001, v103
	s_wait_dscnt 0x2
	v_lshrrev_b32_e32 v107, 16, v59
	s_delay_alu instid0(VALU_DEP_3) | instskip(NEXT) | instid1(VALU_DEP_3)
	v_pk_fma_f16 v99, v96, v102, v99
	v_pk_fma_f16 v95, v96, v103, v95
	v_lshrrev_b32_e32 v96, 16, v56
	v_and_b32_e32 v56, 0xffff, v56
	v_lshrrev_b32_e32 v102, 16, v57
	v_lshrrev_b32_e32 v103, 16, v58
	v_and_b32_e32 v57, 0xffff, v57
	v_and_b32_e32 v58, 0xffff, v58
	v_mul_u32_u24_e32 v56, 0x10001, v56
	v_and_b32_e32 v59, 0xffff, v59
	v_mul_u32_u24_e32 v96, 0x10001, v96
	v_mul_u32_u24_e32 v57, 0x10001, v57
	v_mul_u32_u24_e32 v102, 0x10001, v102
	v_mul_u32_u24_e32 v58, 0x10001, v58
	v_mul_u32_u24_e32 v103, 0x10001, v103
	v_mul_u32_u24_e32 v59, 0x10001, v59
	v_mul_u32_u24_e32 v107, 0x10001, v107
	s_wait_dscnt 0x1
	v_pk_fma_f16 v104, v93, v56, v104
	s_wait_dscnt 0x0
	v_and_b32_e32 v56, 0xffff, v60
	v_pk_fma_f16 v96, v93, v96, v105
	v_pk_fma_f16 v97, v93, v57, v97
	v_pk_fma_f16 v98, v93, v102, v98
	v_pk_fma_f16 v101, v93, v58, v101
	v_pk_fma_f16 v99, v93, v103, v99
	v_pk_fma_f16 v100, v93, v59, v100
	v_pk_fma_f16 v93, v93, v107, v95
	v_lshrrev_b32_e32 v60, 16, v60
	v_lshrrev_b32_e32 v95, 16, v61
	v_lshrrev_b32_e32 v102, 16, v62
	v_lshrrev_b32_e32 v103, 16, v63
	v_mul_u32_u24_e32 v105, 0x10001, v56
	v_and_b32_e32 v61, 0xffff, v61
	ds_load_b128 v[56:59], v46 offset:672
	v_and_b32_e32 v62, 0xffff, v62
	v_and_b32_e32 v63, 0xffff, v63
	v_mul_u32_u24_e32 v60, 0x10001, v60
	v_mul_u32_u24_e32 v61, 0x10001, v61
	v_mul_u32_u24_e32 v95, 0x10001, v95
	v_mul_u32_u24_e32 v62, 0x10001, v62
	v_mul_u32_u24_e32 v63, 0x10001, v63
	v_pk_fma_f16 v104, v94, v105, v104
	v_pk_fma_f16 v105, v94, v60, v96
	v_pk_fma_f16 v97, v94, v61, v97
	v_pk_fma_f16 v98, v94, v95, v98
	v_pk_fma_f16 v101, v94, v62, v101
	ds_load_2addr_b32 v[95:96], v106 offset0:64 offset1:96
	v_pk_fma_f16 v100, v94, v63, v100
	ds_load_b128 v[60:63], v46 offset:688
	v_mul_u32_u24_e32 v102, 0x10001, v102
	v_mul_u32_u24_e32 v103, 0x10001, v103
	s_wait_dscnt 0x2
	v_lshrrev_b32_e32 v107, 16, v59
	s_delay_alu instid0(VALU_DEP_3) | instskip(NEXT) | instid1(VALU_DEP_3)
	v_pk_fma_f16 v99, v94, v102, v99
	v_pk_fma_f16 v93, v94, v103, v93
	v_lshrrev_b32_e32 v94, 16, v56
	v_and_b32_e32 v56, 0xffff, v56
	v_lshrrev_b32_e32 v102, 16, v57
	v_lshrrev_b32_e32 v103, 16, v58
	v_and_b32_e32 v57, 0xffff, v57
	v_and_b32_e32 v58, 0xffff, v58
	v_mul_u32_u24_e32 v56, 0x10001, v56
	v_and_b32_e32 v59, 0xffff, v59
	v_mul_u32_u24_e32 v94, 0x10001, v94
	v_mul_u32_u24_e32 v57, 0x10001, v57
	v_mul_u32_u24_e32 v102, 0x10001, v102
	v_mul_u32_u24_e32 v58, 0x10001, v58
	v_mul_u32_u24_e32 v103, 0x10001, v103
	v_mul_u32_u24_e32 v59, 0x10001, v59
	v_mul_u32_u24_e32 v107, 0x10001, v107
	s_wait_dscnt 0x1
	v_pk_fma_f16 v104, v95, v56, v104
	s_wait_dscnt 0x0
	v_and_b32_e32 v56, 0xffff, v60
	v_pk_fma_f16 v94, v95, v94, v105
	v_pk_fma_f16 v97, v95, v57, v97
	v_pk_fma_f16 v98, v95, v102, v98
	v_pk_fma_f16 v101, v95, v58, v101
	v_pk_fma_f16 v99, v95, v103, v99
	v_pk_fma_f16 v100, v95, v59, v100
	v_pk_fma_f16 v95, v95, v107, v93
	v_lshrrev_b32_e32 v60, 16, v60
	v_lshrrev_b32_e32 v93, 16, v61
	v_lshrrev_b32_e32 v102, 16, v62
	v_lshrrev_b32_e32 v103, 16, v63
	v_mul_u32_u24_e32 v105, 0x10001, v56
	v_and_b32_e32 v61, 0xffff, v61
	ds_load_b128 v[56:59], v46 offset:704
	v_and_b32_e32 v62, 0xffff, v62
	v_and_b32_e32 v63, 0xffff, v63
	v_mul_u32_u24_e32 v60, 0x10001, v60
	v_mul_u32_u24_e32 v61, 0x10001, v61
	v_mul_u32_u24_e32 v93, 0x10001, v93
	v_mul_u32_u24_e32 v62, 0x10001, v62
	v_mul_u32_u24_e32 v63, 0x10001, v63
	v_pk_fma_f16 v104, v96, v105, v104
	v_pk_fma_f16 v105, v96, v60, v94
	v_pk_fma_f16 v97, v96, v61, v97
	v_pk_fma_f16 v98, v96, v93, v98
	v_pk_fma_f16 v101, v96, v62, v101
	ds_load_2addr_b32 v[93:94], v106 offset0:128 offset1:160
	;; [unrolled: 55-line block ×3, first 2 shown]
	v_pk_fma_f16 v100, v94, v63, v100
	ds_load_b128 v[60:63], v46 offset:752
	v_mul_u32_u24_e32 v102, 0x10001, v102
	v_mul_u32_u24_e32 v103, 0x10001, v103
	s_wait_dscnt 0x2
	v_lshrrev_b32_e32 v106, 16, v59
	s_delay_alu instid0(VALU_DEP_3) | instskip(NEXT) | instid1(VALU_DEP_3)
	v_pk_fma_f16 v99, v94, v102, v99
	v_pk_fma_f16 v93, v94, v103, v93
	v_lshrrev_b32_e32 v94, 16, v56
	v_and_b32_e32 v56, 0xffff, v56
	v_lshrrev_b32_e32 v102, 16, v57
	v_lshrrev_b32_e32 v103, 16, v58
	v_and_b32_e32 v57, 0xffff, v57
	v_and_b32_e32 v58, 0xffff, v58
	v_mul_u32_u24_e32 v56, 0x10001, v56
	v_and_b32_e32 v59, 0xffff, v59
	v_mul_u32_u24_e32 v94, 0x10001, v94
	v_mul_u32_u24_e32 v57, 0x10001, v57
	;; [unrolled: 1-line block ×7, first 2 shown]
	s_wait_dscnt 0x1
	v_pk_fma_f16 v104, v95, v56, v104
	s_wait_dscnt 0x0
	v_and_b32_e32 v56, 0xffff, v60
	v_pk_fma_f16 v94, v95, v94, v105
	v_pk_fma_f16 v97, v95, v57, v97
	;; [unrolled: 1-line block ×7, first 2 shown]
	v_lshrrev_b32_e32 v60, 16, v60
	v_lshrrev_b32_e32 v93, 16, v61
	;; [unrolled: 1-line block ×4, first 2 shown]
	v_mul_u32_u24_e32 v105, 0x10001, v56
	v_and_b32_e32 v61, 0xffff, v61
	v_and_b32_e32 v62, 0xffff, v62
	ds_load_b128 v[56:59], v46 offset:768
	v_and_b32_e32 v63, 0xffff, v63
	v_mul_u32_u24_e32 v60, 0x10001, v60
	v_mul_u32_u24_e32 v61, 0x10001, v61
	;; [unrolled: 1-line block ×5, first 2 shown]
	v_add_nc_u32_e32 v106, 0x1800, v43
	v_pk_fma_f16 v104, v96, v105, v104
	v_pk_fma_f16 v105, v96, v60, v94
	;; [unrolled: 1-line block ×5, first 2 shown]
	ds_load_2addr_b32 v[93:94], v106 offset1:32
	v_pk_fma_f16 v100, v96, v63, v100
	ds_load_b128 v[60:63], v46 offset:784
	v_mul_u32_u24_e32 v102, 0x10001, v102
	v_mul_u32_u24_e32 v103, 0x10001, v103
	s_wait_dscnt 0x2
	v_lshrrev_b32_e32 v107, 16, v59
	s_delay_alu instid0(VALU_DEP_3) | instskip(NEXT) | instid1(VALU_DEP_3)
	v_pk_fma_f16 v99, v96, v102, v99
	v_pk_fma_f16 v95, v96, v103, v95
	v_lshrrev_b32_e32 v96, 16, v56
	v_and_b32_e32 v56, 0xffff, v56
	v_lshrrev_b32_e32 v102, 16, v57
	v_lshrrev_b32_e32 v103, 16, v58
	v_and_b32_e32 v57, 0xffff, v57
	v_and_b32_e32 v58, 0xffff, v58
	v_mul_u32_u24_e32 v56, 0x10001, v56
	v_and_b32_e32 v59, 0xffff, v59
	v_mul_u32_u24_e32 v96, 0x10001, v96
	v_mul_u32_u24_e32 v57, 0x10001, v57
	v_mul_u32_u24_e32 v102, 0x10001, v102
	v_mul_u32_u24_e32 v58, 0x10001, v58
	v_mul_u32_u24_e32 v103, 0x10001, v103
	v_mul_u32_u24_e32 v59, 0x10001, v59
	v_mul_u32_u24_e32 v107, 0x10001, v107
	s_wait_dscnt 0x1
	v_pk_fma_f16 v104, v93, v56, v104
	s_wait_dscnt 0x0
	v_and_b32_e32 v56, 0xffff, v60
	v_pk_fma_f16 v96, v93, v96, v105
	v_pk_fma_f16 v97, v93, v57, v97
	v_pk_fma_f16 v98, v93, v102, v98
	v_pk_fma_f16 v101, v93, v58, v101
	v_pk_fma_f16 v99, v93, v103, v99
	v_pk_fma_f16 v100, v93, v59, v100
	v_pk_fma_f16 v93, v93, v107, v95
	v_lshrrev_b32_e32 v60, 16, v60
	v_lshrrev_b32_e32 v95, 16, v61
	v_lshrrev_b32_e32 v102, 16, v62
	v_lshrrev_b32_e32 v103, 16, v63
	v_mul_u32_u24_e32 v105, 0x10001, v56
	v_and_b32_e32 v61, 0xffff, v61
	ds_load_b128 v[56:59], v46 offset:800
	v_and_b32_e32 v62, 0xffff, v62
	v_and_b32_e32 v63, 0xffff, v63
	v_mul_u32_u24_e32 v60, 0x10001, v60
	v_mul_u32_u24_e32 v61, 0x10001, v61
	v_mul_u32_u24_e32 v95, 0x10001, v95
	v_mul_u32_u24_e32 v62, 0x10001, v62
	v_mul_u32_u24_e32 v63, 0x10001, v63
	v_pk_fma_f16 v104, v94, v105, v104
	v_pk_fma_f16 v105, v94, v60, v96
	v_pk_fma_f16 v97, v94, v61, v97
	v_pk_fma_f16 v98, v94, v95, v98
	v_pk_fma_f16 v101, v94, v62, v101
	ds_load_2addr_b32 v[95:96], v106 offset0:64 offset1:96
	v_pk_fma_f16 v100, v94, v63, v100
	ds_load_b128 v[60:63], v46 offset:816
	v_mul_u32_u24_e32 v102, 0x10001, v102
	v_mul_u32_u24_e32 v103, 0x10001, v103
	s_wait_dscnt 0x2
	v_lshrrev_b32_e32 v107, 16, v59
	s_delay_alu instid0(VALU_DEP_3) | instskip(NEXT) | instid1(VALU_DEP_3)
	v_pk_fma_f16 v99, v94, v102, v99
	v_pk_fma_f16 v93, v94, v103, v93
	v_lshrrev_b32_e32 v94, 16, v56
	v_and_b32_e32 v56, 0xffff, v56
	v_lshrrev_b32_e32 v102, 16, v57
	v_lshrrev_b32_e32 v103, 16, v58
	v_and_b32_e32 v57, 0xffff, v57
	v_and_b32_e32 v58, 0xffff, v58
	v_mul_u32_u24_e32 v56, 0x10001, v56
	v_and_b32_e32 v59, 0xffff, v59
	v_mul_u32_u24_e32 v94, 0x10001, v94
	v_mul_u32_u24_e32 v57, 0x10001, v57
	v_mul_u32_u24_e32 v102, 0x10001, v102
	v_mul_u32_u24_e32 v58, 0x10001, v58
	v_mul_u32_u24_e32 v103, 0x10001, v103
	v_mul_u32_u24_e32 v59, 0x10001, v59
	v_mul_u32_u24_e32 v107, 0x10001, v107
	s_wait_dscnt 0x1
	v_pk_fma_f16 v104, v95, v56, v104
	s_wait_dscnt 0x0
	v_and_b32_e32 v56, 0xffff, v60
	v_pk_fma_f16 v94, v95, v94, v105
	v_pk_fma_f16 v97, v95, v57, v97
	v_pk_fma_f16 v98, v95, v102, v98
	v_pk_fma_f16 v101, v95, v58, v101
	v_pk_fma_f16 v99, v95, v103, v99
	v_pk_fma_f16 v100, v95, v59, v100
	v_pk_fma_f16 v95, v95, v107, v93
	v_lshrrev_b32_e32 v60, 16, v60
	v_lshrrev_b32_e32 v93, 16, v61
	v_lshrrev_b32_e32 v102, 16, v62
	v_lshrrev_b32_e32 v103, 16, v63
	v_mul_u32_u24_e32 v105, 0x10001, v56
	v_and_b32_e32 v61, 0xffff, v61
	ds_load_b128 v[56:59], v46 offset:832
	v_and_b32_e32 v62, 0xffff, v62
	v_and_b32_e32 v63, 0xffff, v63
	v_mul_u32_u24_e32 v60, 0x10001, v60
	v_mul_u32_u24_e32 v61, 0x10001, v61
	v_mul_u32_u24_e32 v93, 0x10001, v93
	v_mul_u32_u24_e32 v62, 0x10001, v62
	v_mul_u32_u24_e32 v63, 0x10001, v63
	v_pk_fma_f16 v104, v96, v105, v104
	v_pk_fma_f16 v105, v96, v60, v94
	v_pk_fma_f16 v97, v96, v61, v97
	v_pk_fma_f16 v98, v96, v93, v98
	v_pk_fma_f16 v101, v96, v62, v101
	ds_load_2addr_b32 v[93:94], v106 offset0:128 offset1:160
	v_pk_fma_f16 v100, v96, v63, v100
	ds_load_b128 v[60:63], v46 offset:848
	v_mul_u32_u24_e32 v102, 0x10001, v102
	v_mul_u32_u24_e32 v103, 0x10001, v103
	s_wait_dscnt 0x2
	v_lshrrev_b32_e32 v107, 16, v59
	s_delay_alu instid0(VALU_DEP_3) | instskip(NEXT) | instid1(VALU_DEP_3)
	v_pk_fma_f16 v99, v96, v102, v99
	v_pk_fma_f16 v95, v96, v103, v95
	v_lshrrev_b32_e32 v96, 16, v56
	v_and_b32_e32 v56, 0xffff, v56
	v_lshrrev_b32_e32 v102, 16, v57
	v_lshrrev_b32_e32 v103, 16, v58
	v_and_b32_e32 v57, 0xffff, v57
	v_and_b32_e32 v58, 0xffff, v58
	v_mul_u32_u24_e32 v56, 0x10001, v56
	v_and_b32_e32 v59, 0xffff, v59
	v_mul_u32_u24_e32 v96, 0x10001, v96
	v_mul_u32_u24_e32 v57, 0x10001, v57
	v_mul_u32_u24_e32 v102, 0x10001, v102
	v_mul_u32_u24_e32 v58, 0x10001, v58
	v_mul_u32_u24_e32 v103, 0x10001, v103
	v_mul_u32_u24_e32 v59, 0x10001, v59
	v_mul_u32_u24_e32 v107, 0x10001, v107
	s_wait_dscnt 0x1
	v_pk_fma_f16 v104, v93, v56, v104
	s_wait_dscnt 0x0
	v_and_b32_e32 v56, 0xffff, v60
	v_pk_fma_f16 v96, v93, v96, v105
	v_pk_fma_f16 v97, v93, v57, v97
	v_pk_fma_f16 v98, v93, v102, v98
	v_pk_fma_f16 v101, v93, v58, v101
	v_pk_fma_f16 v99, v93, v103, v99
	v_pk_fma_f16 v100, v93, v59, v100
	v_pk_fma_f16 v93, v93, v107, v95
	v_lshrrev_b32_e32 v60, 16, v60
	v_lshrrev_b32_e32 v95, 16, v61
	v_lshrrev_b32_e32 v102, 16, v62
	v_lshrrev_b32_e32 v103, 16, v63
	v_mul_u32_u24_e32 v105, 0x10001, v56
	v_and_b32_e32 v61, 0xffff, v61
	ds_load_b128 v[56:59], v46 offset:864
	v_and_b32_e32 v62, 0xffff, v62
	v_and_b32_e32 v63, 0xffff, v63
	v_mul_u32_u24_e32 v60, 0x10001, v60
	v_mul_u32_u24_e32 v61, 0x10001, v61
	v_mul_u32_u24_e32 v95, 0x10001, v95
	v_mul_u32_u24_e32 v62, 0x10001, v62
	v_mul_u32_u24_e32 v63, 0x10001, v63
	v_pk_fma_f16 v104, v94, v105, v104
	v_pk_fma_f16 v105, v94, v60, v96
	v_pk_fma_f16 v97, v94, v61, v97
	v_pk_fma_f16 v98, v94, v95, v98
	v_pk_fma_f16 v101, v94, v62, v101
	ds_load_2addr_b32 v[95:96], v106 offset0:192 offset1:224
	v_pk_fma_f16 v100, v94, v63, v100
	ds_load_b128 v[60:63], v46 offset:880
	v_mul_u32_u24_e32 v102, 0x10001, v102
	v_mul_u32_u24_e32 v103, 0x10001, v103
	s_wait_dscnt 0x2
	v_lshrrev_b32_e32 v106, 16, v59
	s_delay_alu instid0(VALU_DEP_3) | instskip(NEXT) | instid1(VALU_DEP_3)
	v_pk_fma_f16 v99, v94, v102, v99
	v_pk_fma_f16 v93, v94, v103, v93
	v_lshrrev_b32_e32 v94, 16, v56
	v_and_b32_e32 v56, 0xffff, v56
	v_lshrrev_b32_e32 v102, 16, v57
	v_lshrrev_b32_e32 v103, 16, v58
	v_and_b32_e32 v57, 0xffff, v57
	v_and_b32_e32 v58, 0xffff, v58
	v_mul_u32_u24_e32 v56, 0x10001, v56
	v_and_b32_e32 v59, 0xffff, v59
	v_mul_u32_u24_e32 v94, 0x10001, v94
	v_mul_u32_u24_e32 v57, 0x10001, v57
	;; [unrolled: 1-line block ×7, first 2 shown]
	s_wait_dscnt 0x1
	v_pk_fma_f16 v104, v95, v56, v104
	s_wait_dscnt 0x0
	v_and_b32_e32 v56, 0xffff, v60
	v_pk_fma_f16 v94, v95, v94, v105
	v_pk_fma_f16 v97, v95, v57, v97
	;; [unrolled: 1-line block ×7, first 2 shown]
	v_lshrrev_b32_e32 v60, 16, v60
	v_lshrrev_b32_e32 v93, 16, v61
	;; [unrolled: 1-line block ×4, first 2 shown]
	v_mul_u32_u24_e32 v105, 0x10001, v56
	v_and_b32_e32 v61, 0xffff, v61
	v_and_b32_e32 v62, 0xffff, v62
	ds_load_b128 v[56:59], v46 offset:896
	v_and_b32_e32 v63, 0xffff, v63
	v_mul_u32_u24_e32 v60, 0x10001, v60
	v_mul_u32_u24_e32 v61, 0x10001, v61
	;; [unrolled: 1-line block ×5, first 2 shown]
	v_add_nc_u32_e32 v106, 0x1c00, v43
	v_pk_fma_f16 v104, v96, v105, v104
	v_pk_fma_f16 v105, v96, v60, v94
	;; [unrolled: 1-line block ×5, first 2 shown]
	ds_load_2addr_b32 v[93:94], v106 offset1:32
	v_pk_fma_f16 v100, v96, v63, v100
	ds_load_b128 v[60:63], v46 offset:912
	v_mul_u32_u24_e32 v102, 0x10001, v102
	v_mul_u32_u24_e32 v103, 0x10001, v103
	s_wait_dscnt 0x2
	v_lshrrev_b32_e32 v107, 16, v59
	s_delay_alu instid0(VALU_DEP_3) | instskip(NEXT) | instid1(VALU_DEP_3)
	v_pk_fma_f16 v99, v96, v102, v99
	v_pk_fma_f16 v95, v96, v103, v95
	v_lshrrev_b32_e32 v96, 16, v56
	v_and_b32_e32 v56, 0xffff, v56
	v_lshrrev_b32_e32 v102, 16, v57
	v_lshrrev_b32_e32 v103, 16, v58
	v_and_b32_e32 v57, 0xffff, v57
	v_and_b32_e32 v58, 0xffff, v58
	v_mul_u32_u24_e32 v56, 0x10001, v56
	v_and_b32_e32 v59, 0xffff, v59
	v_mul_u32_u24_e32 v96, 0x10001, v96
	v_mul_u32_u24_e32 v57, 0x10001, v57
	v_mul_u32_u24_e32 v102, 0x10001, v102
	v_mul_u32_u24_e32 v58, 0x10001, v58
	v_mul_u32_u24_e32 v103, 0x10001, v103
	v_mul_u32_u24_e32 v59, 0x10001, v59
	v_mul_u32_u24_e32 v107, 0x10001, v107
	s_wait_dscnt 0x1
	v_pk_fma_f16 v104, v93, v56, v104
	s_wait_dscnt 0x0
	v_and_b32_e32 v56, 0xffff, v60
	v_pk_fma_f16 v96, v93, v96, v105
	v_pk_fma_f16 v97, v93, v57, v97
	v_pk_fma_f16 v98, v93, v102, v98
	v_pk_fma_f16 v101, v93, v58, v101
	v_pk_fma_f16 v99, v93, v103, v99
	v_pk_fma_f16 v100, v93, v59, v100
	v_pk_fma_f16 v93, v93, v107, v95
	v_lshrrev_b32_e32 v60, 16, v60
	v_lshrrev_b32_e32 v95, 16, v61
	v_lshrrev_b32_e32 v102, 16, v62
	v_lshrrev_b32_e32 v103, 16, v63
	v_mul_u32_u24_e32 v105, 0x10001, v56
	v_and_b32_e32 v61, 0xffff, v61
	ds_load_b128 v[56:59], v46 offset:928
	v_and_b32_e32 v62, 0xffff, v62
	v_and_b32_e32 v63, 0xffff, v63
	v_mul_u32_u24_e32 v60, 0x10001, v60
	v_mul_u32_u24_e32 v61, 0x10001, v61
	v_mul_u32_u24_e32 v95, 0x10001, v95
	v_mul_u32_u24_e32 v62, 0x10001, v62
	v_mul_u32_u24_e32 v63, 0x10001, v63
	v_pk_fma_f16 v104, v94, v105, v104
	v_pk_fma_f16 v105, v94, v60, v96
	v_pk_fma_f16 v97, v94, v61, v97
	v_pk_fma_f16 v98, v94, v95, v98
	v_pk_fma_f16 v101, v94, v62, v101
	ds_load_2addr_b32 v[95:96], v106 offset0:64 offset1:96
	v_pk_fma_f16 v100, v94, v63, v100
	ds_load_b128 v[60:63], v46 offset:944
	v_mul_u32_u24_e32 v102, 0x10001, v102
	v_mul_u32_u24_e32 v103, 0x10001, v103
	s_wait_dscnt 0x2
	v_lshrrev_b32_e32 v107, 16, v59
	s_delay_alu instid0(VALU_DEP_3) | instskip(NEXT) | instid1(VALU_DEP_3)
	v_pk_fma_f16 v99, v94, v102, v99
	v_pk_fma_f16 v93, v94, v103, v93
	v_lshrrev_b32_e32 v94, 16, v56
	v_and_b32_e32 v56, 0xffff, v56
	v_lshrrev_b32_e32 v102, 16, v57
	v_lshrrev_b32_e32 v103, 16, v58
	v_and_b32_e32 v57, 0xffff, v57
	v_and_b32_e32 v58, 0xffff, v58
	v_mul_u32_u24_e32 v56, 0x10001, v56
	v_and_b32_e32 v59, 0xffff, v59
	v_mul_u32_u24_e32 v94, 0x10001, v94
	v_mul_u32_u24_e32 v57, 0x10001, v57
	v_mul_u32_u24_e32 v102, 0x10001, v102
	v_mul_u32_u24_e32 v58, 0x10001, v58
	v_mul_u32_u24_e32 v103, 0x10001, v103
	v_mul_u32_u24_e32 v59, 0x10001, v59
	v_mul_u32_u24_e32 v107, 0x10001, v107
	s_wait_dscnt 0x1
	v_pk_fma_f16 v104, v95, v56, v104
	s_wait_dscnt 0x0
	v_and_b32_e32 v56, 0xffff, v60
	v_pk_fma_f16 v94, v95, v94, v105
	v_pk_fma_f16 v97, v95, v57, v97
	v_pk_fma_f16 v98, v95, v102, v98
	v_pk_fma_f16 v101, v95, v58, v101
	v_pk_fma_f16 v99, v95, v103, v99
	v_pk_fma_f16 v100, v95, v59, v100
	v_pk_fma_f16 v95, v95, v107, v93
	v_lshrrev_b32_e32 v60, 16, v60
	v_lshrrev_b32_e32 v93, 16, v61
	v_lshrrev_b32_e32 v102, 16, v62
	v_lshrrev_b32_e32 v103, 16, v63
	v_mul_u32_u24_e32 v105, 0x10001, v56
	v_and_b32_e32 v61, 0xffff, v61
	ds_load_b128 v[56:59], v46 offset:960
	v_and_b32_e32 v62, 0xffff, v62
	v_and_b32_e32 v63, 0xffff, v63
	v_mul_u32_u24_e32 v60, 0x10001, v60
	v_mul_u32_u24_e32 v61, 0x10001, v61
	v_mul_u32_u24_e32 v93, 0x10001, v93
	v_mul_u32_u24_e32 v62, 0x10001, v62
	v_mul_u32_u24_e32 v63, 0x10001, v63
	v_pk_fma_f16 v104, v96, v105, v104
	v_pk_fma_f16 v105, v96, v60, v94
	v_pk_fma_f16 v97, v96, v61, v97
	v_pk_fma_f16 v98, v96, v93, v98
	v_pk_fma_f16 v101, v96, v62, v101
	ds_load_2addr_b32 v[93:94], v106 offset0:128 offset1:160
	;; [unrolled: 55-line block ×3, first 2 shown]
	v_pk_fma_f16 v100, v94, v63, v100
	ds_load_b128 v[60:63], v46 offset:1008
	v_mul_u32_u24_e32 v102, 0x10001, v102
	v_mul_u32_u24_e32 v103, 0x10001, v103
	s_wait_loadcnt_dscnt 0x0
	s_barrier_signal -1
	s_barrier_wait -1
	global_inv scope:SCOPE_SE
	s_load_b32 s15, s[26:27], 0x4
	v_pk_fma_f16 v99, v94, v102, v99
	v_pk_fma_f16 v93, v94, v103, v93
	v_lshrrev_b32_e32 v94, 16, v56
	v_and_b32_e32 v56, 0xffff, v56
	v_lshrrev_b32_e32 v102, 16, v57
	v_lshrrev_b32_e32 v103, 16, v58
	;; [unrolled: 1-line block ×3, first 2 shown]
	v_and_b32_e32 v57, 0xffff, v57
	v_and_b32_e32 v58, 0xffff, v58
	;; [unrolled: 1-line block ×3, first 2 shown]
	v_mul_u32_u24_e32 v56, 0x10001, v56
	v_mul_u32_u24_e32 v94, 0x10001, v94
	;; [unrolled: 1-line block ×8, first 2 shown]
	v_pk_fma_f16 v56, v95, v56, v104
	v_pk_fma_f16 v94, v95, v94, v105
	;; [unrolled: 1-line block ×8, first 2 shown]
	v_lshrrev_b32_e32 v59, 16, v60
	v_lshrrev_b32_e32 v95, 16, v61
	;; [unrolled: 1-line block ×3, first 2 shown]
	v_and_b32_e32 v60, 0xffff, v60
	v_lshrrev_b32_e32 v101, 16, v63
	v_and_b32_e32 v61, 0xffff, v61
	v_and_b32_e32 v62, 0xffff, v62
	;; [unrolled: 1-line block ×3, first 2 shown]
	v_mul_u32_u24_e32 v60, 0x10001, v60
	v_mul_u32_u24_e32 v59, 0x10001, v59
	;; [unrolled: 1-line block ×8, first 2 shown]
	s_wait_kmcnt 0x0
	s_lshl_b32 s15, s15, 6
	v_pk_fma_f16 v63, v96, v60, v56
	v_pk_fma_f16 v62, v96, v59, v94
	;; [unrolled: 1-line block ×8, first 2 shown]
	s_wait_alu 0xfffe
	s_add_co_i32 s14, s15, s14
	s_wait_alu 0xfffe
	s_cmp_lt_i32 s14, s3
	s_cbranch_scc0 .LBB56_44
; %bb.42:                               ;   in Loop: Header=BB56_8 Depth=1
	v_dual_mov_b32 v107, v8 :: v_dual_mov_b32 v108, v9
	v_dual_mov_b32 v105, v10 :: v_dual_mov_b32 v98, v13
	;; [unrolled: 1-line block ×8, first 2 shown]
	s_branch .LBB56_8
.LBB56_43:
	v_dual_mov_b32 v8, 0xfeffffff :: v_dual_mov_b32 v63, 0
	v_dual_mov_b32 v73, 0 :: v_dual_mov_b32 v70, 0
	;; [unrolled: 1-line block ×3, first 2 shown]
	s_delay_alu instid0(VALU_DEP_3)
	v_dual_mov_b32 v9, v8 :: v_dual_mov_b32 v10, v8
	v_dual_mov_b32 v11, v8 :: v_dual_mov_b32 v12, v8
	;; [unrolled: 1-line block ×8, first 2 shown]
	v_mov_b32_e32 v57, 0
.LBB56_44:
	v_lshlrev_b32_e32 v44, 1, v38
	s_cmp_gt_i32 s2, s14
	s_cbranch_scc1 .LBB56_47
; %bb.45:
	v_mbcnt_lo_u32_b32 v0, -1, 0
	v_mov_b32_e32 v20, 32
	s_delay_alu instid0(VALU_DEP_2)
	v_xor_b32_e32 v23, 16, v0
	v_xor_b32_e32 v22, 8, v0
	;; [unrolled: 1-line block ×5, first 2 shown]
	s_cbranch_execz .LBB56_48
; %bb.46:
	v_mov_b32_e32 v41, v0
	s_branch .LBB56_128
.LBB56_47:
                                        ; implicit-def: $vgpr0
                                        ; implicit-def: $vgpr20
                                        ; implicit-def: $vgpr23
                                        ; implicit-def: $vgpr22
                                        ; implicit-def: $vgpr21
                                        ; implicit-def: $vgpr19
                                        ; implicit-def: $vgpr18
.LBB56_48:
	v_lshl_add_u32 v66, v64, 2, v66
	s_ashr_i32 s15, s14, 31
	s_ashr_i32 s5, s4, 31
	v_dual_mov_b32 v77, 0 :: v_dual_and_b32 v2, 28, v43
	s_delay_alu instid0(VALU_DEP_2)
	v_mul_lo_u32 v16, s4, v66
	s_wait_alu 0xfffe
	s_mul_u64 s[30:31], s[14:15], s[4:5]
	s_sub_co_i32 s9, s2, s14
	s_wait_alu 0xfffe
	s_lshl_b64 s[2:3], s[30:31], 2
	s_mov_b32 s40, 0
	s_add_nc_u64 s[6:7], s[6:7], s[2:3]
	s_mov_b32 s41, s40
	s_mov_b32 s42, s40
	v_ashrrev_i32_e32 v17, 31, v16
	v_lshlrev_b32_e32 v64, 2, v2
	v_dual_mov_b32 v4, s40 :: v_dual_add_nc_u32 v75, 32, v66
	v_mov_b32_e32 v5, s41
	s_delay_alu instid0(VALU_DEP_4)
	v_lshlrev_b64_e32 v[0:1], 2, v[16:17]
	v_cmp_gt_i32_e64 s5, s9, v66
	s_mov_b64 s[26:27], src_private_base
	v_dual_mov_b32 v6, s42 :: v_dual_mov_b32 v89, 0
	s_clause 0x1
	scratch_store_b32 off, v77, off
	scratch_store_b96 off, v[4:6], off offset:4
	v_add_co_u32 v0, vcc_lo, s6, v0
	s_wait_alu 0xfffd
	v_add_co_ci_u32_e64 v1, null, s7, v1, vcc_lo
	s_lshl_b32 s2, s4, 4
	v_add_co_u32 v0, vcc_lo, v0, v64
	s_wait_alu 0xfffd
	v_add_co_ci_u32_e64 v1, null, 0, v1, vcc_lo
	v_dual_mov_b32 v87, 0 :: v_dual_add_nc_u32 v16, s2, v16
	s_delay_alu instid0(VALU_DEP_3) | instskip(SKIP_1) | instid1(VALU_DEP_3)
	v_cndmask_b32_e64 v0, 0, v0, s5
	s_wait_alu 0xfffe
	v_cndmask_b32_e64 v1, s27, v1, s5
	v_dual_mov_b32 v85, 0 :: v_dual_add_nc_u32 v74, 16, v66
	v_ashrrev_i32_e32 v17, 31, v16
	v_mad_u32_u24 v19, 0x90, v66, v64
	flat_load_b128 v[0:3], v[0:1]
	v_cmp_gt_i32_e64 s4, s9, v74
	s_clause 0x1
	scratch_store_b32 off, v77, off
	scratch_store_b96 off, v[4:6], off offset:4
	v_lshlrev_b64_e32 v[17:18], 2, v[16:17]
	v_dual_mov_b32 v83, 0 :: v_dual_add_nc_u32 v16, s2, v16
	v_cmp_gt_i32_e64 s3, s9, v75
	v_dual_mov_b32 v79, 0 :: v_dual_add_nc_u32 v76, 48, v66
	s_delay_alu instid0(VALU_DEP_4) | instskip(SKIP_3) | instid1(VALU_DEP_3)
	v_add_co_u32 v7, vcc_lo, s6, v17
	s_wait_alu 0xfffd
	v_add_co_ci_u32_e64 v17, null, s7, v18, vcc_lo
	v_dual_mov_b32 v80, 0 :: v_dual_mov_b32 v91, 0
	v_add_co_u32 v7, vcc_lo, v7, v64
	s_wait_alu 0xfffd
	s_delay_alu instid0(VALU_DEP_3)
	v_add_co_ci_u32_e64 v17, null, 0, v17, vcc_lo
	v_mov_b32_e32 v78, 0
	v_mov_b32_e32 v92, 0
	;; [unrolled: 1-line block ×3, first 2 shown]
	s_wait_alu 0xf1ff
	v_cndmask_b32_e64 v18, s27, v17, s4
	v_cndmask_b32_e64 v17, 0, v7, s4
	v_mov_b32_e32 v88, 0
	v_mov_b32_e32 v86, 0
	;; [unrolled: 1-line block ×4, first 2 shown]
	s_cmp_lg_u64 s[38:39], 0
	v_mov_b32_e32 v81, 0
	s_wait_loadcnt_dscnt 0x0
	ds_store_b128 v19, v[0:3]
	flat_load_b128 v[0:3], v[17:18]
	v_ashrrev_i32_e32 v17, 31, v16
	s_clause 0x1
	scratch_store_b32 off, v77, off
	scratch_store_b96 off, v[4:6], off offset:4
	v_lshlrev_b64_e32 v[17:18], 2, v[16:17]
	v_add_nc_u32_e32 v16, s2, v16
	v_cmp_gt_i32_e64 s2, s9, v76
	s_delay_alu instid0(VALU_DEP_3) | instskip(SKIP_1) | instid1(VALU_DEP_4)
	v_add_co_u32 v7, vcc_lo, s6, v17
	s_wait_alu 0xfffd
	v_add_co_ci_u32_e64 v17, null, s7, v18, vcc_lo
	s_delay_alu instid0(VALU_DEP_2) | instskip(SKIP_1) | instid1(VALU_DEP_2)
	v_add_co_u32 v7, vcc_lo, v7, v64
	s_wait_alu 0xfffd
	v_add_co_ci_u32_e64 v17, null, 0, v17, vcc_lo
	s_delay_alu instid0(VALU_DEP_1) | instskip(NEXT) | instid1(VALU_DEP_3)
	v_cndmask_b32_e64 v18, s27, v17, s3
	v_cndmask_b32_e64 v17, 0, v7, s3
	s_wait_loadcnt_dscnt 0x0
	ds_store_b128 v19, v[0:3] offset:2304
	flat_load_b128 v[0:3], v[17:18]
	v_ashrrev_i32_e32 v17, 31, v16
	s_clause 0x1
	scratch_store_b32 off, v77, off
	scratch_store_b96 off, v[4:6], off offset:4
	v_lshlrev_b64_e32 v[16:17], 2, v[16:17]
	s_delay_alu instid0(VALU_DEP_1) | instskip(SKIP_1) | instid1(VALU_DEP_2)
	v_add_co_u32 v7, vcc_lo, s6, v16
	s_wait_alu 0xfffd
	v_add_co_ci_u32_e64 v16, null, s7, v17, vcc_lo
	s_cselect_b32 s7, -1, 0
	v_add_co_u32 v7, vcc_lo, v7, v64
	s_wait_alu 0xfffd
	v_add_co_ci_u32_e64 v16, null, 0, v16, vcc_lo
	v_cmp_gt_i32_e64 s6, s9, v38
	s_wait_alu 0xf1ff
	s_delay_alu instid0(VALU_DEP_2)
	v_cndmask_b32_e64 v17, s27, v16, s2
	v_cndmask_b32_e64 v16, 0, v7, s2
	s_wait_loadcnt_dscnt 0x0
	ds_store_b128 v19, v[0:3] offset:4608
	flat_load_b128 v[0:3], v[16:17]
	s_wait_loadcnt_dscnt 0x0
	ds_store_b128 v19, v[0:3] offset:6912
	s_wait_storecnt_dscnt 0x0
	s_barrier_signal -1
	s_barrier_wait -1
	global_inv scope:SCOPE_SE
	ds_load_b128 v[0:3], v55
	ds_load_b128 v[4:7], v42 offset:13312
	ds_load_b128 v[16:19], v42 offset:13440
	;; [unrolled: 1-line block ×9, first 2 shown]
	s_wait_dscnt 0x8
	;;#ASMSTART
	v_dot2_f32_f16 v89, v0, v4, v89
	;;#ASMEND
	;;#ASMSTART
	v_dot2_f32_f16 v89, v1, v5, v89
	;;#ASMEND
	;;#ASMSTART
	v_dot2_f32_f16 v89, v2, v6, v89
	;;#ASMEND
	;;#ASMSTART
	v_dot2_f32_f16 v89, v3, v7, v89
	;;#ASMEND
	s_wait_dscnt 0x7
	;;#ASMSTART
	v_dot2_f32_f16 v87, v0, v16, v87
	;;#ASMEND
	;;#ASMSTART
	v_dot2_f32_f16 v87, v1, v17, v87
	;;#ASMEND
	;;#ASMSTART
	v_dot2_f32_f16 v87, v2, v18, v87
	;;#ASMEND
	;;#ASMSTART
	v_dot2_f32_f16 v87, v3, v19, v87
	;;#ASMEND
	;; [unrolled: 13-line block ×8, first 2 shown]
	;;#ASMSTART
	v_dot2_f32_f16 v92, v97, v4, v92
	;;#ASMEND
	;;#ASMSTART
	v_dot2_f32_f16 v92, v98, v5, v92
	;;#ASMEND
	;;#ASMSTART
	v_dot2_f32_f16 v92, v99, v6, v92
	;;#ASMEND
	;;#ASMSTART
	v_dot2_f32_f16 v92, v100, v7, v92
	;;#ASMEND
	;;#ASMSTART
	v_dot2_f32_f16 v91, v97, v16, v91
	;;#ASMEND
	;;#ASMSTART
	v_dot2_f32_f16 v91, v98, v17, v91
	;;#ASMEND
	;;#ASMSTART
	v_dot2_f32_f16 v91, v99, v18, v91
	;;#ASMEND
	;;#ASMSTART
	v_dot2_f32_f16 v91, v100, v19, v91
	;;#ASMEND
	;;#ASMSTART
	v_dot2_f32_f16 v90, v97, v20, v90
	;;#ASMEND
	;;#ASMSTART
	v_dot2_f32_f16 v90, v98, v21, v90
	;;#ASMEND
	;;#ASMSTART
	v_dot2_f32_f16 v90, v99, v22, v90
	;;#ASMEND
	;;#ASMSTART
	v_dot2_f32_f16 v90, v100, v23, v90
	;;#ASMEND
	;;#ASMSTART
	v_dot2_f32_f16 v88, v97, v93, v88
	;;#ASMEND
	;;#ASMSTART
	v_dot2_f32_f16 v88, v98, v94, v88
	;;#ASMEND
	;;#ASMSTART
	v_dot2_f32_f16 v88, v99, v95, v88
	;;#ASMEND
	;;#ASMSTART
	v_dot2_f32_f16 v88, v100, v96, v88
	;;#ASMEND
	;;#ASMSTART
	v_dot2_f32_f16 v86, v97, v101, v86
	;;#ASMEND
	;;#ASMSTART
	v_dot2_f32_f16 v86, v98, v102, v86
	;;#ASMEND
	;;#ASMSTART
	v_dot2_f32_f16 v86, v99, v103, v86
	;;#ASMEND
	;;#ASMSTART
	v_dot2_f32_f16 v86, v100, v104, v86
	;;#ASMEND
	;;#ASMSTART
	v_dot2_f32_f16 v84, v97, v105, v84
	;;#ASMEND
	;;#ASMSTART
	v_dot2_f32_f16 v84, v98, v106, v84
	;;#ASMEND
	;;#ASMSTART
	v_dot2_f32_f16 v84, v99, v107, v84
	;;#ASMEND
	;;#ASMSTART
	v_dot2_f32_f16 v84, v100, v108, v84
	;;#ASMEND
	;;#ASMSTART
	v_dot2_f32_f16 v82, v97, v109, v82
	;;#ASMEND
	;;#ASMSTART
	v_dot2_f32_f16 v82, v98, v110, v82
	;;#ASMEND
	;;#ASMSTART
	v_dot2_f32_f16 v82, v99, v111, v82
	;;#ASMEND
	;;#ASMSTART
	v_dot2_f32_f16 v82, v100, v112, v82
	;;#ASMEND
	;;#ASMSTART
	v_dot2_f32_f16 v77, v97, v113, v77
	;;#ASMEND
	;;#ASMSTART
	v_dot2_f32_f16 v77, v98, v114, v77
	;;#ASMEND
	;;#ASMSTART
	v_dot2_f32_f16 v77, v99, v115, v77
	;;#ASMEND
	;;#ASMSTART
	v_dot2_f32_f16 v77, v100, v116, v77
	;;#ASMEND
	ds_load_b128 v[0:3], v55 offset:16
	ds_load_b128 v[4:7], v42 offset:13328
	;; [unrolled: 1-line block ×10, first 2 shown]
	s_wait_dscnt 0x8
	;;#ASMSTART
	v_dot2_f32_f16 v89, v0, v4, v89
	;;#ASMEND
	;;#ASMSTART
	v_dot2_f32_f16 v89, v1, v5, v89
	;;#ASMEND
	;;#ASMSTART
	v_dot2_f32_f16 v89, v2, v6, v89
	;;#ASMEND
	;;#ASMSTART
	v_dot2_f32_f16 v89, v3, v7, v89
	;;#ASMEND
	s_wait_dscnt 0x7
	;;#ASMSTART
	v_dot2_f32_f16 v87, v0, v16, v87
	;;#ASMEND
	;;#ASMSTART
	v_dot2_f32_f16 v87, v1, v17, v87
	;;#ASMEND
	;;#ASMSTART
	v_dot2_f32_f16 v87, v2, v18, v87
	;;#ASMEND
	;;#ASMSTART
	v_dot2_f32_f16 v87, v3, v19, v87
	;;#ASMEND
	;; [unrolled: 13-line block ×8, first 2 shown]
	;;#ASMSTART
	v_dot2_f32_f16 v92, v97, v4, v92
	;;#ASMEND
	;;#ASMSTART
	v_dot2_f32_f16 v92, v98, v5, v92
	;;#ASMEND
	;; [unrolled: 3-line block ×32, first 2 shown]
	ds_load_b128 v[0:3], v55 offset:32
	ds_load_b128 v[4:7], v42 offset:13344
	;; [unrolled: 1-line block ×10, first 2 shown]
	s_wait_dscnt 0x8
	;;#ASMSTART
	v_dot2_f32_f16 v89, v0, v4, v89
	;;#ASMEND
	;;#ASMSTART
	v_dot2_f32_f16 v89, v1, v5, v89
	;;#ASMEND
	;;#ASMSTART
	v_dot2_f32_f16 v89, v2, v6, v89
	;;#ASMEND
	;;#ASMSTART
	v_dot2_f32_f16 v89, v3, v7, v89
	;;#ASMEND
	s_wait_dscnt 0x7
	;;#ASMSTART
	v_dot2_f32_f16 v87, v0, v16, v87
	;;#ASMEND
	;;#ASMSTART
	v_dot2_f32_f16 v87, v1, v17, v87
	;;#ASMEND
	;;#ASMSTART
	v_dot2_f32_f16 v87, v2, v18, v87
	;;#ASMEND
	;;#ASMSTART
	v_dot2_f32_f16 v87, v3, v19, v87
	;;#ASMEND
	;; [unrolled: 13-line block ×8, first 2 shown]
	;;#ASMSTART
	v_dot2_f32_f16 v92, v97, v4, v92
	;;#ASMEND
	;;#ASMSTART
	v_dot2_f32_f16 v92, v98, v5, v92
	;;#ASMEND
	;;#ASMSTART
	v_dot2_f32_f16 v92, v99, v6, v92
	;;#ASMEND
	;;#ASMSTART
	v_dot2_f32_f16 v92, v100, v7, v92
	;;#ASMEND
	;;#ASMSTART
	v_dot2_f32_f16 v91, v97, v16, v91
	;;#ASMEND
	;;#ASMSTART
	v_dot2_f32_f16 v91, v98, v17, v91
	;;#ASMEND
	;;#ASMSTART
	v_dot2_f32_f16 v91, v99, v18, v91
	;;#ASMEND
	;;#ASMSTART
	v_dot2_f32_f16 v91, v100, v19, v91
	;;#ASMEND
	;;#ASMSTART
	v_dot2_f32_f16 v90, v97, v20, v90
	;;#ASMEND
	;;#ASMSTART
	v_dot2_f32_f16 v90, v98, v21, v90
	;;#ASMEND
	;;#ASMSTART
	v_dot2_f32_f16 v90, v99, v22, v90
	;;#ASMEND
	;;#ASMSTART
	v_dot2_f32_f16 v90, v100, v23, v90
	;;#ASMEND
	;;#ASMSTART
	v_dot2_f32_f16 v88, v97, v93, v88
	;;#ASMEND
	;;#ASMSTART
	v_dot2_f32_f16 v88, v98, v94, v88
	;;#ASMEND
	;;#ASMSTART
	v_dot2_f32_f16 v88, v99, v95, v88
	;;#ASMEND
	;;#ASMSTART
	v_dot2_f32_f16 v88, v100, v96, v88
	;;#ASMEND
	;;#ASMSTART
	v_dot2_f32_f16 v86, v97, v101, v86
	;;#ASMEND
	;;#ASMSTART
	v_dot2_f32_f16 v86, v98, v102, v86
	;;#ASMEND
	;;#ASMSTART
	v_dot2_f32_f16 v86, v99, v103, v86
	;;#ASMEND
	;;#ASMSTART
	v_dot2_f32_f16 v86, v100, v104, v86
	;;#ASMEND
	;;#ASMSTART
	v_dot2_f32_f16 v84, v97, v105, v84
	;;#ASMEND
	;;#ASMSTART
	v_dot2_f32_f16 v84, v98, v106, v84
	;;#ASMEND
	;;#ASMSTART
	v_dot2_f32_f16 v84, v99, v107, v84
	;;#ASMEND
	;;#ASMSTART
	v_dot2_f32_f16 v84, v100, v108, v84
	;;#ASMEND
	;;#ASMSTART
	v_dot2_f32_f16 v82, v97, v109, v82
	;;#ASMEND
	;;#ASMSTART
	v_dot2_f32_f16 v82, v98, v110, v82
	;;#ASMEND
	;;#ASMSTART
	v_dot2_f32_f16 v82, v99, v111, v82
	;;#ASMEND
	;;#ASMSTART
	v_dot2_f32_f16 v82, v100, v112, v82
	;;#ASMEND
	;;#ASMSTART
	v_dot2_f32_f16 v77, v97, v113, v77
	;;#ASMEND
	;;#ASMSTART
	v_dot2_f32_f16 v77, v98, v114, v77
	;;#ASMEND
	;;#ASMSTART
	v_dot2_f32_f16 v77, v99, v115, v77
	;;#ASMEND
	;;#ASMSTART
	v_dot2_f32_f16 v77, v100, v116, v77
	;;#ASMEND
	ds_load_b128 v[0:3], v55 offset:48
	ds_load_b128 v[4:7], v42 offset:13360
	;; [unrolled: 1-line block ×10, first 2 shown]
	s_wait_dscnt 0x8
	;;#ASMSTART
	v_dot2_f32_f16 v89, v0, v4, v89
	;;#ASMEND
	;;#ASMSTART
	v_dot2_f32_f16 v89, v1, v5, v89
	;;#ASMEND
	;;#ASMSTART
	v_dot2_f32_f16 v89, v2, v6, v89
	;;#ASMEND
	;;#ASMSTART
	v_dot2_f32_f16 v89, v3, v7, v89
	;;#ASMEND
	s_wait_dscnt 0x7
	;;#ASMSTART
	v_dot2_f32_f16 v87, v0, v16, v87
	;;#ASMEND
	;;#ASMSTART
	v_dot2_f32_f16 v87, v1, v17, v87
	;;#ASMEND
	;;#ASMSTART
	v_dot2_f32_f16 v87, v2, v18, v87
	;;#ASMEND
	;;#ASMSTART
	v_dot2_f32_f16 v87, v3, v19, v87
	;;#ASMEND
	;; [unrolled: 13-line block ×8, first 2 shown]
	;;#ASMSTART
	v_dot2_f32_f16 v92, v97, v4, v92
	;;#ASMEND
	;;#ASMSTART
	v_dot2_f32_f16 v92, v98, v5, v92
	;;#ASMEND
	;; [unrolled: 3-line block ×32, first 2 shown]
	ds_load_b128 v[0:3], v55 offset:64
	ds_load_b128 v[4:7], v42 offset:13376
	;; [unrolled: 1-line block ×10, first 2 shown]
	s_wait_dscnt 0x8
	;;#ASMSTART
	v_dot2_f32_f16 v89, v0, v4, v89
	;;#ASMEND
	;;#ASMSTART
	v_dot2_f32_f16 v89, v1, v5, v89
	;;#ASMEND
	;;#ASMSTART
	v_dot2_f32_f16 v89, v2, v6, v89
	;;#ASMEND
	;;#ASMSTART
	v_dot2_f32_f16 v89, v3, v7, v89
	;;#ASMEND
	s_wait_dscnt 0x7
	;;#ASMSTART
	v_dot2_f32_f16 v87, v0, v16, v87
	;;#ASMEND
	;;#ASMSTART
	v_dot2_f32_f16 v87, v1, v17, v87
	;;#ASMEND
	;;#ASMSTART
	v_dot2_f32_f16 v87, v2, v18, v87
	;;#ASMEND
	;;#ASMSTART
	v_dot2_f32_f16 v87, v3, v19, v87
	;;#ASMEND
	;; [unrolled: 13-line block ×8, first 2 shown]
	;;#ASMSTART
	v_dot2_f32_f16 v92, v97, v4, v92
	;;#ASMEND
	;;#ASMSTART
	v_dot2_f32_f16 v92, v98, v5, v92
	;;#ASMEND
	;; [unrolled: 3-line block ×32, first 2 shown]
	ds_load_b128 v[0:3], v55 offset:80
	ds_load_b128 v[4:7], v42 offset:13392
	;; [unrolled: 1-line block ×10, first 2 shown]
	s_wait_dscnt 0x8
	;;#ASMSTART
	v_dot2_f32_f16 v89, v0, v4, v89
	;;#ASMEND
	;;#ASMSTART
	v_dot2_f32_f16 v89, v1, v5, v89
	;;#ASMEND
	;;#ASMSTART
	v_dot2_f32_f16 v89, v2, v6, v89
	;;#ASMEND
	;;#ASMSTART
	v_dot2_f32_f16 v89, v3, v7, v89
	;;#ASMEND
	s_wait_dscnt 0x7
	;;#ASMSTART
	v_dot2_f32_f16 v87, v0, v16, v87
	;;#ASMEND
	;;#ASMSTART
	v_dot2_f32_f16 v87, v1, v17, v87
	;;#ASMEND
	;;#ASMSTART
	v_dot2_f32_f16 v87, v2, v18, v87
	;;#ASMEND
	;;#ASMSTART
	v_dot2_f32_f16 v87, v3, v19, v87
	;;#ASMEND
	;; [unrolled: 13-line block ×8, first 2 shown]
	;;#ASMSTART
	v_dot2_f32_f16 v92, v97, v4, v92
	;;#ASMEND
	;;#ASMSTART
	v_dot2_f32_f16 v92, v98, v5, v92
	;;#ASMEND
	;; [unrolled: 3-line block ×32, first 2 shown]
	ds_load_b128 v[0:3], v55 offset:96
	ds_load_b128 v[4:7], v42 offset:13408
	;; [unrolled: 1-line block ×10, first 2 shown]
	s_wait_dscnt 0x8
	;;#ASMSTART
	v_dot2_f32_f16 v89, v0, v4, v89
	;;#ASMEND
	;;#ASMSTART
	v_dot2_f32_f16 v89, v1, v5, v89
	;;#ASMEND
	;;#ASMSTART
	v_dot2_f32_f16 v89, v2, v6, v89
	;;#ASMEND
	;;#ASMSTART
	v_dot2_f32_f16 v89, v3, v7, v89
	;;#ASMEND
	s_wait_dscnt 0x7
	;;#ASMSTART
	v_dot2_f32_f16 v87, v0, v16, v87
	;;#ASMEND
	;;#ASMSTART
	v_dot2_f32_f16 v87, v1, v17, v87
	;;#ASMEND
	;;#ASMSTART
	v_dot2_f32_f16 v87, v2, v18, v87
	;;#ASMEND
	;;#ASMSTART
	v_dot2_f32_f16 v87, v3, v19, v87
	;;#ASMEND
	;; [unrolled: 13-line block ×8, first 2 shown]
	;;#ASMSTART
	v_dot2_f32_f16 v92, v97, v4, v92
	;;#ASMEND
	;;#ASMSTART
	v_dot2_f32_f16 v92, v98, v5, v92
	;;#ASMEND
	;; [unrolled: 3-line block ×32, first 2 shown]
	ds_load_b128 v[19:22], v55 offset:112
	ds_load_b128 v[94:97], v42 offset:13424
	;; [unrolled: 1-line block ×10, first 2 shown]
	s_wait_dscnt 0x8
	;;#ASMSTART
	v_dot2_f32_f16 v89, v19, v94, v89
	;;#ASMEND
	;;#ASMSTART
	v_dot2_f32_f16 v89, v20, v95, v89
	;;#ASMEND
	;;#ASMSTART
	v_dot2_f32_f16 v89, v21, v96, v89
	;;#ASMEND
	;;#ASMSTART
	v_dot2_f32_f16 v89, v22, v97, v89
	;;#ASMEND
	s_wait_dscnt 0x7
	;;#ASMSTART
	v_dot2_f32_f16 v87, v19, v98, v87
	;;#ASMEND
	;;#ASMSTART
	v_dot2_f32_f16 v87, v20, v99, v87
	;;#ASMEND
	;;#ASMSTART
	v_dot2_f32_f16 v87, v21, v100, v87
	;;#ASMEND
	;;#ASMSTART
	v_dot2_f32_f16 v87, v22, v101, v87
	;;#ASMEND
	;; [unrolled: 13-line block ×8, first 2 shown]
	;;#ASMSTART
	v_dot2_f32_f16 v92, v110, v94, v92
	;;#ASMEND
	;;#ASMSTART
	v_dot2_f32_f16 v92, v111, v95, v92
	;;#ASMEND
	;; [unrolled: 3-line block ×21, first 2 shown]
	v_mad_co_u64_u32 v[16:17], null, v53, s28, s[14:15]
	;;#ASMSTART
	v_dot2_f32_f16 v84, v111, v119, v84
	;;#ASMEND
	;;#ASMSTART
	v_dot2_f32_f16 v84, v112, v120, v84
	;;#ASMEND
	v_mov_b32_e32 v0, v8
	;;#ASMSTART
	v_dot2_f32_f16 v84, v113, v121, v84
	;;#ASMEND
	;;#ASMSTART
	v_dot2_f32_f16 v82, v110, v122, v82
	;;#ASMEND
	v_dual_mov_b32 v18, 0 :: v_dual_mov_b32 v1, v9
	v_dual_mov_b32 v2, v10 :: v_dual_mov_b32 v3, v11
	v_dual_mov_b32 v4, v12 :: v_dual_mov_b32 v5, v13
	v_dual_mov_b32 v6, v14 :: v_dual_mov_b32 v7, v15
	s_wait_alu 0xfffe
	v_cndmask_b32_e64 v93, 0, 1, s7
	;;#ASMSTART
	v_dot2_f32_f16 v82, v111, v123, v82
	;;#ASMEND
	;;#ASMSTART
	v_dot2_f32_f16 v82, v112, v124, v82
	;;#ASMEND
	;; [unrolled: 3-line block ×7, first 2 shown]
	s_and_saveexec_b32 s11, s6
	s_cbranch_execz .LBB56_52
; %bb.49:
	s_and_not1_b32 vcc_lo, exec_lo, s7
	s_wait_alu 0xfffe
	s_cbranch_vccnz .LBB56_51
; %bb.50:
	v_add_nc_u32_e32 v0, v16, v38
	s_delay_alu instid0(VALU_DEP_1) | instskip(NEXT) | instid1(VALU_DEP_1)
	v_ashrrev_i32_e32 v1, 31, v0
	v_lshlrev_b64_e32 v[0:1], 1, v[0:1]
	s_delay_alu instid0(VALU_DEP_1) | instskip(SKIP_1) | instid1(VALU_DEP_2)
	v_add_co_u32 v0, vcc_lo, s38, v0
	s_wait_alu 0xfffd
	v_add_co_ci_u32_e64 v1, null, s39, v1, vcc_lo
	global_load_u16 v0, v[0:1], off
	s_wait_loadcnt 0x0
	v_cvt_f32_f16_e32 v0, v0
	s_delay_alu instid0(VALU_DEP_1)
	v_mul_f32_e32 v18, v45, v0
.LBB56_51:
	s_delay_alu instid0(VALU_DEP_1) | instskip(NEXT) | instid1(VALU_DEP_1)
	v_add_f32_e32 v89, v89, v18
	v_dual_max_num_f32 v1, v8, v8 :: v_dual_add_f32 v0, 0x40051340, v89
	s_delay_alu instid0(VALU_DEP_1) | instskip(SKIP_3) | instid1(VALU_DEP_4)
	v_dual_max_num_f32 v17, v1, v0 :: v_dual_mov_b32 v0, v8
	v_dual_mov_b32 v1, v9 :: v_dual_mov_b32 v4, v12
	v_dual_mov_b32 v2, v10 :: v_dual_mov_b32 v3, v11
	;; [unrolled: 1-line block ×4, first 2 shown]
.LBB56_52:
	s_wait_alu 0xfffe
	s_or_b32 exec_lo, exec_lo, s11
	v_add_nc_u32_e32 v53, 32, v38
	s_delay_alu instid0(VALU_DEP_1)
	v_cmp_gt_i32_e64 s7, s9, v53
	s_and_saveexec_b32 s11, s7
	s_cbranch_execz .LBB56_57
; %bb.53:
	v_cmp_ne_u32_e32 vcc_lo, 1, v93
	s_cbranch_vccnz .LBB56_55
; %bb.54:
	v_ashrrev_i32_e32 v17, 31, v16
	v_add_co_u32 v16, vcc_lo, v16, v38
	s_wait_alu 0xfffd
	s_delay_alu instid0(VALU_DEP_2) | instskip(NEXT) | instid1(VALU_DEP_1)
	v_add_co_ci_u32_e64 v17, null, 0, v17, vcc_lo
	v_lshlrev_b64_e32 v[16:17], 1, v[16:17]
	s_delay_alu instid0(VALU_DEP_1) | instskip(SKIP_1) | instid1(VALU_DEP_2)
	v_add_co_u32 v16, vcc_lo, s38, v16
	s_wait_alu 0xfffd
	v_add_co_ci_u32_e64 v17, null, s39, v17, vcc_lo
	global_load_u16 v16, v[16:17], off offset:64
	s_wait_loadcnt 0x0
	v_cvt_f32_f16_e32 v16, v16
	s_delay_alu instid0(VALU_DEP_1)
	v_mul_f32_e32 v16, v45, v16
	s_branch .LBB56_56
.LBB56_55:
	v_mov_b32_e32 v16, 0
.LBB56_56:
	s_delay_alu instid0(VALU_DEP_1) | instskip(SKIP_1) | instid1(VALU_DEP_2)
	v_add_f32_e32 v92, v92, v16
	v_max_num_f32_e32 v0, v0, v0
	v_add_f32_e32 v16, 0x40051340, v92
	s_delay_alu instid0(VALU_DEP_1)
	v_max_num_f32_e32 v0, v0, v16
.LBB56_57:
	s_wait_alu 0xfffe
	s_or_b32 exec_lo, exec_lo, s11
	v_xor_b32_e32 v23, 16, v41
	v_xor_b32_e32 v22, 8, v41
	;; [unrolled: 1-line block ×5, first 2 shown]
	v_cmp_gt_i32_e32 vcc_lo, 32, v23
	v_mul_hi_u32 v20, s20, v54
	s_wait_alu 0xfffd
	v_cndmask_b32_e32 v16, v41, v23, vcc_lo
	v_cmp_gt_i32_e32 vcc_lo, 32, v22
	s_wait_alu 0xfffd
	v_cndmask_b32_e32 v17, v41, v22, vcc_lo
	v_cmp_gt_i32_e32 vcc_lo, 32, v21
	s_delay_alu instid0(VALU_DEP_2) | instskip(SKIP_3) | instid1(VALU_DEP_2)
	v_lshlrev_b32_e32 v94, 2, v17
	s_wait_alu 0xfffd
	v_cndmask_b32_e32 v17, v41, v21, vcc_lo
	v_cmp_gt_i32_e32 vcc_lo, 32, v19
	v_lshlrev_b32_e32 v95, 2, v17
	v_lshlrev_b32_e32 v55, 2, v16
	s_wait_alu 0xfffd
	v_cndmask_b32_e32 v17, v41, v19, vcc_lo
	v_cmp_gt_i32_e32 vcc_lo, 32, v18
	ds_bpermute_b32 v16, v55, v0
	v_max_num_f32_e32 v0, v0, v0
	s_wait_alu 0xfffd
	v_dual_cndmask_b32 v17, v41, v18 :: v_dual_lshlrev_b32 v96, 2, v17
	s_wait_dscnt 0x0
	s_delay_alu instid0(VALU_DEP_1) | instskip(NEXT) | instid1(VALU_DEP_1)
	v_dual_max_num_f32 v16, v16, v16 :: v_dual_lshlrev_b32 v97, 2, v17
	v_max_num_f32_e32 v0, v0, v16
	ds_bpermute_b32 v16, v94, v0
	s_wait_dscnt 0x0
	v_max_num_f32_e32 v16, v16, v16
	s_delay_alu instid0(VALU_DEP_1) | instskip(SKIP_3) | instid1(VALU_DEP_1)
	v_max_num_f32_e32 v0, v0, v16
	ds_bpermute_b32 v16, v95, v0
	s_wait_dscnt 0x0
	v_max_num_f32_e32 v16, v16, v16
	v_max_num_f32_e32 v0, v0, v16
	ds_bpermute_b32 v16, v96, v0
	s_wait_dscnt 0x0
	v_max_num_f32_e32 v16, v16, v16
	s_delay_alu instid0(VALU_DEP_1) | instskip(SKIP_4) | instid1(VALU_DEP_1)
	v_max_num_f32_e32 v0, v0, v16
	v_add_nc_u32_e32 v16, v54, v20
	v_mov_b32_e32 v20, 32
	ds_bpermute_b32 v17, v97, v0
	v_lshrrev_b32_e32 v16, s21, v16
	v_mul_lo_u32 v16, v16, s22
	s_delay_alu instid0(VALU_DEP_1) | instskip(SKIP_2) | instid1(VALU_DEP_2)
	v_sub_nc_u32_e32 v16, v54, v16
	s_wait_dscnt 0x0
	v_max_num_f32_e32 v54, v17, v17
	v_mad_co_u64_u32 v[16:17], null, v16, s28, s[14:15]
	s_delay_alu instid0(VALU_DEP_2)
	v_max_num_f32_e32 v0, v0, v54
	s_and_saveexec_b32 s11, s6
	s_cbranch_execz .LBB56_62
; %bb.58:
	v_cmp_ne_u32_e32 vcc_lo, 1, v93
	s_cbranch_vccnz .LBB56_60
; %bb.59:
	s_delay_alu instid0(VALU_DEP_3) | instskip(NEXT) | instid1(VALU_DEP_1)
	v_add_nc_u32_e32 v98, v16, v38
	v_ashrrev_i32_e32 v99, 31, v98
	s_delay_alu instid0(VALU_DEP_1) | instskip(NEXT) | instid1(VALU_DEP_1)
	v_lshlrev_b64_e32 v[98:99], 1, v[98:99]
	v_add_co_u32 v98, vcc_lo, s38, v98
	s_wait_alu 0xfffd
	s_delay_alu instid0(VALU_DEP_2) | instskip(SKIP_3) | instid1(VALU_DEP_1)
	v_add_co_ci_u32_e64 v99, null, s39, v99, vcc_lo
	global_load_u16 v17, v[98:99], off
	s_wait_loadcnt 0x0
	v_cvt_f32_f16_e32 v17, v17
	v_mul_f32_e32 v17, v45, v17
	s_branch .LBB56_61
.LBB56_60:
	v_mov_b32_e32 v17, 0
.LBB56_61:
	s_delay_alu instid0(VALU_DEP_1) | instskip(SKIP_1) | instid1(VALU_DEP_2)
	v_add_f32_e32 v87, v87, v17
	v_max_num_f32_e32 v1, v1, v1
	v_add_f32_e32 v17, 0x40051340, v87
	s_delay_alu instid0(VALU_DEP_1)
	v_max_num_f32_e32 v1, v1, v17
.LBB56_62:
	s_wait_alu 0xfffe
	s_or_b32 exec_lo, exec_lo, s11
	s_and_saveexec_b32 s11, s7
	s_cbranch_execz .LBB56_67
; %bb.63:
	v_cmp_ne_u32_e32 vcc_lo, 1, v93
	s_cbranch_vccnz .LBB56_65
; %bb.64:
	v_ashrrev_i32_e32 v17, 31, v16
	v_add_co_u32 v16, vcc_lo, v16, v38
	s_wait_alu 0xfffd
	s_delay_alu instid0(VALU_DEP_2) | instskip(NEXT) | instid1(VALU_DEP_1)
	v_add_co_ci_u32_e64 v17, null, 0, v17, vcc_lo
	v_lshlrev_b64_e32 v[16:17], 1, v[16:17]
	s_delay_alu instid0(VALU_DEP_1) | instskip(SKIP_1) | instid1(VALU_DEP_2)
	v_add_co_u32 v16, vcc_lo, s38, v16
	s_wait_alu 0xfffd
	v_add_co_ci_u32_e64 v17, null, s39, v17, vcc_lo
	global_load_u16 v16, v[16:17], off offset:64
	s_wait_loadcnt 0x0
	v_cvt_f32_f16_e32 v16, v16
	s_delay_alu instid0(VALU_DEP_1)
	v_mul_f32_e32 v16, v45, v16
	s_branch .LBB56_66
.LBB56_65:
	v_mov_b32_e32 v16, 0
.LBB56_66:
	s_delay_alu instid0(VALU_DEP_1) | instskip(NEXT) | instid1(VALU_DEP_1)
	v_add_f32_e32 v91, v91, v16
	v_dual_max_num_f32 v1, v1, v1 :: v_dual_add_f32 v16, 0x40051340, v91
	s_delay_alu instid0(VALU_DEP_1)
	v_max_num_f32_e32 v1, v1, v16
.LBB56_67:
	s_wait_alu 0xfffe
	s_or_b32 exec_lo, exec_lo, s11
	ds_bpermute_b32 v16, v55, v1
	v_mul_hi_u32 v17, s20, v52
	s_wait_dscnt 0x0
	v_dual_max_num_f32 v1, v1, v1 :: v_dual_max_num_f32 v16, v16, v16
	s_delay_alu instid0(VALU_DEP_1) | instskip(SKIP_3) | instid1(VALU_DEP_1)
	v_max_num_f32_e32 v1, v1, v16
	ds_bpermute_b32 v16, v94, v1
	s_wait_dscnt 0x0
	v_max_num_f32_e32 v16, v16, v16
	v_max_num_f32_e32 v1, v1, v16
	ds_bpermute_b32 v16, v95, v1
	s_wait_dscnt 0x0
	v_max_num_f32_e32 v16, v16, v16
	s_delay_alu instid0(VALU_DEP_1) | instskip(SKIP_3) | instid1(VALU_DEP_1)
	v_max_num_f32_e32 v1, v1, v16
	ds_bpermute_b32 v16, v96, v1
	s_wait_dscnt 0x0
	v_max_num_f32_e32 v16, v16, v16
	v_dual_max_num_f32 v1, v1, v16 :: v_dual_add_nc_u32 v16, v52, v17
	ds_bpermute_b32 v17, v97, v1
	v_lshrrev_b32_e32 v16, s21, v16
	s_delay_alu instid0(VALU_DEP_1) | instskip(NEXT) | instid1(VALU_DEP_1)
	v_mul_lo_u32 v16, v16, s22
	v_sub_nc_u32_e32 v16, v52, v16
	s_wait_dscnt 0x0
	v_max_num_f32_e32 v52, v17, v17
	s_delay_alu instid0(VALU_DEP_2) | instskip(NEXT) | instid1(VALU_DEP_2)
	v_mad_co_u64_u32 v[16:17], null, v16, s28, s[14:15]
	v_max_num_f32_e32 v1, v1, v52
	s_and_saveexec_b32 s11, s6
	s_cbranch_execz .LBB56_72
; %bb.68:
	v_cmp_ne_u32_e32 vcc_lo, 1, v93
	s_cbranch_vccnz .LBB56_70
; %bb.69:
	s_delay_alu instid0(VALU_DEP_3) | instskip(NEXT) | instid1(VALU_DEP_1)
	v_add_nc_u32_e32 v98, v16, v38
	v_ashrrev_i32_e32 v99, 31, v98
	s_delay_alu instid0(VALU_DEP_1) | instskip(NEXT) | instid1(VALU_DEP_1)
	v_lshlrev_b64_e32 v[98:99], 1, v[98:99]
	v_add_co_u32 v98, vcc_lo, s38, v98
	s_wait_alu 0xfffd
	s_delay_alu instid0(VALU_DEP_2) | instskip(SKIP_3) | instid1(VALU_DEP_1)
	v_add_co_ci_u32_e64 v99, null, s39, v99, vcc_lo
	global_load_u16 v17, v[98:99], off
	s_wait_loadcnt 0x0
	v_cvt_f32_f16_e32 v17, v17
	v_mul_f32_e32 v17, v45, v17
	s_branch .LBB56_71
.LBB56_70:
	v_mov_b32_e32 v17, 0
.LBB56_71:
	s_delay_alu instid0(VALU_DEP_1) | instskip(NEXT) | instid1(VALU_DEP_1)
	v_dual_add_f32 v85, v85, v17 :: v_dual_max_num_f32 v2, v2, v2
	v_add_f32_e32 v17, 0x40051340, v85
	s_delay_alu instid0(VALU_DEP_1)
	v_max_num_f32_e32 v2, v2, v17
.LBB56_72:
	s_wait_alu 0xfffe
	s_or_b32 exec_lo, exec_lo, s11
	s_and_saveexec_b32 s11, s7
	s_cbranch_execz .LBB56_77
; %bb.73:
	v_cmp_ne_u32_e32 vcc_lo, 1, v93
	s_cbranch_vccnz .LBB56_75
; %bb.74:
	v_ashrrev_i32_e32 v17, 31, v16
	v_add_co_u32 v16, vcc_lo, v16, v38
	s_wait_alu 0xfffd
	s_delay_alu instid0(VALU_DEP_2) | instskip(NEXT) | instid1(VALU_DEP_1)
	v_add_co_ci_u32_e64 v17, null, 0, v17, vcc_lo
	v_lshlrev_b64_e32 v[16:17], 1, v[16:17]
	s_delay_alu instid0(VALU_DEP_1) | instskip(SKIP_1) | instid1(VALU_DEP_2)
	v_add_co_u32 v16, vcc_lo, s38, v16
	s_wait_alu 0xfffd
	v_add_co_ci_u32_e64 v17, null, s39, v17, vcc_lo
	global_load_u16 v16, v[16:17], off offset:64
	s_wait_loadcnt 0x0
	v_cvt_f32_f16_e32 v16, v16
	s_delay_alu instid0(VALU_DEP_1)
	v_mul_f32_e32 v16, v45, v16
	s_branch .LBB56_76
.LBB56_75:
	v_mov_b32_e32 v16, 0
.LBB56_76:
	s_delay_alu instid0(VALU_DEP_1) | instskip(SKIP_1) | instid1(VALU_DEP_2)
	v_add_f32_e32 v90, v90, v16
	v_max_num_f32_e32 v2, v2, v2
	v_add_f32_e32 v16, 0x40051340, v90
	s_delay_alu instid0(VALU_DEP_1)
	v_max_num_f32_e32 v2, v2, v16
.LBB56_77:
	s_wait_alu 0xfffe
	s_or_b32 exec_lo, exec_lo, s11
	ds_bpermute_b32 v16, v55, v2
	v_max_num_f32_e32 v2, v2, v2
	v_mul_hi_u32 v17, s20, v51
	s_wait_dscnt 0x0
	v_max_num_f32_e32 v16, v16, v16
	s_delay_alu instid0(VALU_DEP_1) | instskip(SKIP_3) | instid1(VALU_DEP_1)
	v_max_num_f32_e32 v2, v2, v16
	ds_bpermute_b32 v16, v94, v2
	s_wait_dscnt 0x0
	v_max_num_f32_e32 v16, v16, v16
	v_max_num_f32_e32 v2, v2, v16
	ds_bpermute_b32 v16, v95, v2
	s_wait_dscnt 0x0
	v_max_num_f32_e32 v16, v16, v16
	s_delay_alu instid0(VALU_DEP_1) | instskip(SKIP_3) | instid1(VALU_DEP_1)
	v_max_num_f32_e32 v2, v2, v16
	ds_bpermute_b32 v16, v96, v2
	s_wait_dscnt 0x0
	v_max_num_f32_e32 v16, v16, v16
	v_max_num_f32_e32 v2, v2, v16
	v_add_nc_u32_e32 v16, v51, v17
	ds_bpermute_b32 v17, v97, v2
	v_lshrrev_b32_e32 v16, s21, v16
	s_delay_alu instid0(VALU_DEP_1) | instskip(NEXT) | instid1(VALU_DEP_1)
	v_mul_lo_u32 v16, v16, s22
	v_sub_nc_u32_e32 v16, v51, v16
	s_wait_dscnt 0x0
	v_max_num_f32_e32 v51, v17, v17
	s_delay_alu instid0(VALU_DEP_2) | instskip(NEXT) | instid1(VALU_DEP_2)
	v_mad_co_u64_u32 v[16:17], null, v16, s28, s[14:15]
	v_max_num_f32_e32 v2, v2, v51
	s_and_saveexec_b32 s11, s6
	s_cbranch_execz .LBB56_82
; %bb.78:
	v_cmp_ne_u32_e32 vcc_lo, 1, v93
	s_cbranch_vccnz .LBB56_80
; %bb.79:
	s_delay_alu instid0(VALU_DEP_3) | instskip(NEXT) | instid1(VALU_DEP_1)
	v_add_nc_u32_e32 v51, v16, v38
	v_ashrrev_i32_e32 v52, 31, v51
	s_delay_alu instid0(VALU_DEP_1) | instskip(NEXT) | instid1(VALU_DEP_1)
	v_lshlrev_b64_e32 v[51:52], 1, v[51:52]
	v_add_co_u32 v51, vcc_lo, s38, v51
	s_wait_alu 0xfffd
	s_delay_alu instid0(VALU_DEP_2) | instskip(SKIP_3) | instid1(VALU_DEP_1)
	v_add_co_ci_u32_e64 v52, null, s39, v52, vcc_lo
	global_load_u16 v17, v[51:52], off
	s_wait_loadcnt 0x0
	v_cvt_f32_f16_e32 v17, v17
	v_mul_f32_e32 v17, v45, v17
	s_branch .LBB56_81
.LBB56_80:
	v_mov_b32_e32 v17, 0
.LBB56_81:
	s_delay_alu instid0(VALU_DEP_1) | instskip(SKIP_1) | instid1(VALU_DEP_2)
	v_add_f32_e32 v83, v83, v17
	v_max_num_f32_e32 v3, v3, v3
	v_add_f32_e32 v17, 0x40051340, v83
	s_delay_alu instid0(VALU_DEP_1)
	v_max_num_f32_e32 v3, v3, v17
.LBB56_82:
	s_wait_alu 0xfffe
	s_or_b32 exec_lo, exec_lo, s11
	s_and_saveexec_b32 s11, s7
	s_cbranch_execz .LBB56_87
; %bb.83:
	v_cmp_ne_u32_e32 vcc_lo, 1, v93
	s_cbranch_vccnz .LBB56_85
; %bb.84:
	v_ashrrev_i32_e32 v17, 31, v16
	v_add_co_u32 v16, vcc_lo, v16, v38
	s_wait_alu 0xfffd
	s_delay_alu instid0(VALU_DEP_2) | instskip(NEXT) | instid1(VALU_DEP_1)
	v_add_co_ci_u32_e64 v17, null, 0, v17, vcc_lo
	v_lshlrev_b64_e32 v[16:17], 1, v[16:17]
	s_delay_alu instid0(VALU_DEP_1) | instskip(SKIP_1) | instid1(VALU_DEP_2)
	v_add_co_u32 v16, vcc_lo, s38, v16
	s_wait_alu 0xfffd
	v_add_co_ci_u32_e64 v17, null, s39, v17, vcc_lo
	global_load_u16 v16, v[16:17], off offset:64
	s_wait_loadcnt 0x0
	v_cvt_f32_f16_e32 v16, v16
	s_delay_alu instid0(VALU_DEP_1)
	v_mul_f32_e32 v16, v45, v16
	s_branch .LBB56_86
.LBB56_85:
	v_mov_b32_e32 v16, 0
.LBB56_86:
	s_delay_alu instid0(VALU_DEP_1) | instskip(NEXT) | instid1(VALU_DEP_1)
	v_dual_add_f32 v88, v88, v16 :: v_dual_max_num_f32 v3, v3, v3
	v_add_f32_e32 v16, 0x40051340, v88
	s_delay_alu instid0(VALU_DEP_1)
	v_max_num_f32_e32 v3, v3, v16
.LBB56_87:
	s_wait_alu 0xfffe
	s_or_b32 exec_lo, exec_lo, s11
	ds_bpermute_b32 v16, v55, v3
	v_mul_hi_u32 v17, s20, v50
	s_wait_dscnt 0x0
	v_dual_max_num_f32 v3, v3, v3 :: v_dual_max_num_f32 v16, v16, v16
	s_delay_alu instid0(VALU_DEP_1) | instskip(SKIP_3) | instid1(VALU_DEP_1)
	v_max_num_f32_e32 v3, v3, v16
	ds_bpermute_b32 v16, v94, v3
	s_wait_dscnt 0x0
	v_max_num_f32_e32 v16, v16, v16
	v_max_num_f32_e32 v3, v3, v16
	ds_bpermute_b32 v16, v95, v3
	s_wait_dscnt 0x0
	v_max_num_f32_e32 v16, v16, v16
	s_delay_alu instid0(VALU_DEP_1) | instskip(SKIP_3) | instid1(VALU_DEP_1)
	v_max_num_f32_e32 v3, v3, v16
	ds_bpermute_b32 v16, v96, v3
	s_wait_dscnt 0x0
	v_max_num_f32_e32 v16, v16, v16
	v_dual_max_num_f32 v3, v3, v16 :: v_dual_add_nc_u32 v16, v50, v17
	ds_bpermute_b32 v17, v97, v3
	v_lshrrev_b32_e32 v16, s21, v16
	s_delay_alu instid0(VALU_DEP_1) | instskip(NEXT) | instid1(VALU_DEP_1)
	v_mul_lo_u32 v16, v16, s22
	v_sub_nc_u32_e32 v16, v50, v16
	s_wait_dscnt 0x0
	v_max_num_f32_e32 v50, v17, v17
	s_delay_alu instid0(VALU_DEP_2) | instskip(NEXT) | instid1(VALU_DEP_2)
	v_mad_co_u64_u32 v[16:17], null, v16, s28, s[14:15]
	v_max_num_f32_e32 v3, v3, v50
	s_and_saveexec_b32 s11, s6
	s_cbranch_execz .LBB56_92
; %bb.88:
	v_cmp_ne_u32_e32 vcc_lo, 1, v93
	s_cbranch_vccnz .LBB56_90
; %bb.89:
	s_delay_alu instid0(VALU_DEP_3) | instskip(NEXT) | instid1(VALU_DEP_1)
	v_add_nc_u32_e32 v50, v16, v38
	v_ashrrev_i32_e32 v51, 31, v50
	s_delay_alu instid0(VALU_DEP_1) | instskip(NEXT) | instid1(VALU_DEP_1)
	v_lshlrev_b64_e32 v[50:51], 1, v[50:51]
	v_add_co_u32 v50, vcc_lo, s38, v50
	s_wait_alu 0xfffd
	s_delay_alu instid0(VALU_DEP_2) | instskip(SKIP_3) | instid1(VALU_DEP_1)
	v_add_co_ci_u32_e64 v51, null, s39, v51, vcc_lo
	global_load_u16 v17, v[50:51], off
	s_wait_loadcnt 0x0
	v_cvt_f32_f16_e32 v17, v17
	v_mul_f32_e32 v17, v45, v17
	s_branch .LBB56_91
.LBB56_90:
	v_mov_b32_e32 v17, 0
.LBB56_91:
	s_delay_alu instid0(VALU_DEP_1) | instskip(NEXT) | instid1(VALU_DEP_1)
	v_dual_add_f32 v81, v81, v17 :: v_dual_max_num_f32 v4, v4, v4
	v_add_f32_e32 v17, 0x40051340, v81
	s_delay_alu instid0(VALU_DEP_1)
	v_max_num_f32_e32 v4, v4, v17
.LBB56_92:
	s_wait_alu 0xfffe
	s_or_b32 exec_lo, exec_lo, s11
	s_and_saveexec_b32 s11, s7
	s_cbranch_execz .LBB56_97
; %bb.93:
	v_cmp_ne_u32_e32 vcc_lo, 1, v93
	s_cbranch_vccnz .LBB56_95
; %bb.94:
	v_ashrrev_i32_e32 v17, 31, v16
	v_add_co_u32 v16, vcc_lo, v16, v38
	s_wait_alu 0xfffd
	s_delay_alu instid0(VALU_DEP_2) | instskip(NEXT) | instid1(VALU_DEP_1)
	v_add_co_ci_u32_e64 v17, null, 0, v17, vcc_lo
	v_lshlrev_b64_e32 v[16:17], 1, v[16:17]
	s_delay_alu instid0(VALU_DEP_1) | instskip(SKIP_1) | instid1(VALU_DEP_2)
	v_add_co_u32 v16, vcc_lo, s38, v16
	s_wait_alu 0xfffd
	v_add_co_ci_u32_e64 v17, null, s39, v17, vcc_lo
	global_load_u16 v16, v[16:17], off offset:64
	s_wait_loadcnt 0x0
	v_cvt_f32_f16_e32 v16, v16
	s_delay_alu instid0(VALU_DEP_1)
	v_mul_f32_e32 v16, v45, v16
	s_branch .LBB56_96
.LBB56_95:
	v_mov_b32_e32 v16, 0
.LBB56_96:
	s_delay_alu instid0(VALU_DEP_1) | instskip(SKIP_1) | instid1(VALU_DEP_2)
	v_add_f32_e32 v86, v86, v16
	v_max_num_f32_e32 v4, v4, v4
	v_add_f32_e32 v16, 0x40051340, v86
	s_delay_alu instid0(VALU_DEP_1)
	v_max_num_f32_e32 v4, v4, v16
.LBB56_97:
	s_wait_alu 0xfffe
	s_or_b32 exec_lo, exec_lo, s11
	ds_bpermute_b32 v16, v55, v4
	v_max_num_f32_e32 v4, v4, v4
	v_mul_hi_u32 v17, s20, v49
	s_wait_dscnt 0x0
	v_max_num_f32_e32 v16, v16, v16
	s_delay_alu instid0(VALU_DEP_1) | instskip(SKIP_3) | instid1(VALU_DEP_1)
	v_max_num_f32_e32 v4, v4, v16
	ds_bpermute_b32 v16, v94, v4
	s_wait_dscnt 0x0
	v_max_num_f32_e32 v16, v16, v16
	v_max_num_f32_e32 v4, v4, v16
	ds_bpermute_b32 v16, v95, v4
	s_wait_dscnt 0x0
	v_max_num_f32_e32 v16, v16, v16
	s_delay_alu instid0(VALU_DEP_1) | instskip(SKIP_3) | instid1(VALU_DEP_1)
	v_max_num_f32_e32 v4, v4, v16
	ds_bpermute_b32 v16, v96, v4
	s_wait_dscnt 0x0
	v_max_num_f32_e32 v16, v16, v16
	v_max_num_f32_e32 v4, v4, v16
	v_add_nc_u32_e32 v16, v49, v17
	ds_bpermute_b32 v17, v97, v4
	v_lshrrev_b32_e32 v16, s21, v16
	s_delay_alu instid0(VALU_DEP_1) | instskip(NEXT) | instid1(VALU_DEP_1)
	v_mul_lo_u32 v16, v16, s22
	v_sub_nc_u32_e32 v16, v49, v16
	s_wait_dscnt 0x0
	v_max_num_f32_e32 v49, v17, v17
	s_delay_alu instid0(VALU_DEP_2) | instskip(NEXT) | instid1(VALU_DEP_2)
	v_mad_co_u64_u32 v[16:17], null, v16, s28, s[14:15]
	v_max_num_f32_e32 v4, v4, v49
	s_and_saveexec_b32 s11, s6
	s_cbranch_execz .LBB56_102
; %bb.98:
	v_cmp_ne_u32_e32 vcc_lo, 1, v93
	s_cbranch_vccnz .LBB56_100
; %bb.99:
	s_delay_alu instid0(VALU_DEP_3) | instskip(NEXT) | instid1(VALU_DEP_1)
	v_add_nc_u32_e32 v49, v16, v38
	v_ashrrev_i32_e32 v50, 31, v49
	s_delay_alu instid0(VALU_DEP_1) | instskip(NEXT) | instid1(VALU_DEP_1)
	v_lshlrev_b64_e32 v[49:50], 1, v[49:50]
	v_add_co_u32 v49, vcc_lo, s38, v49
	s_wait_alu 0xfffd
	s_delay_alu instid0(VALU_DEP_2) | instskip(SKIP_3) | instid1(VALU_DEP_1)
	v_add_co_ci_u32_e64 v50, null, s39, v50, vcc_lo
	global_load_u16 v17, v[49:50], off
	s_wait_loadcnt 0x0
	v_cvt_f32_f16_e32 v17, v17
	v_mul_f32_e32 v17, v45, v17
	s_branch .LBB56_101
.LBB56_100:
	v_mov_b32_e32 v17, 0
.LBB56_101:
	s_delay_alu instid0(VALU_DEP_1) | instskip(SKIP_1) | instid1(VALU_DEP_2)
	v_add_f32_e32 v80, v80, v17
	v_max_num_f32_e32 v5, v5, v5
	v_add_f32_e32 v17, 0x40051340, v80
	s_delay_alu instid0(VALU_DEP_1)
	v_max_num_f32_e32 v5, v5, v17
.LBB56_102:
	s_wait_alu 0xfffe
	s_or_b32 exec_lo, exec_lo, s11
	s_and_saveexec_b32 s11, s7
	s_cbranch_execz .LBB56_107
; %bb.103:
	v_cmp_ne_u32_e32 vcc_lo, 1, v93
	s_cbranch_vccnz .LBB56_105
; %bb.104:
	v_ashrrev_i32_e32 v17, 31, v16
	v_add_co_u32 v16, vcc_lo, v16, v38
	s_wait_alu 0xfffd
	s_delay_alu instid0(VALU_DEP_2) | instskip(NEXT) | instid1(VALU_DEP_1)
	v_add_co_ci_u32_e64 v17, null, 0, v17, vcc_lo
	v_lshlrev_b64_e32 v[16:17], 1, v[16:17]
	s_delay_alu instid0(VALU_DEP_1) | instskip(SKIP_1) | instid1(VALU_DEP_2)
	v_add_co_u32 v16, vcc_lo, s38, v16
	s_wait_alu 0xfffd
	v_add_co_ci_u32_e64 v17, null, s39, v17, vcc_lo
	global_load_u16 v16, v[16:17], off offset:64
	s_wait_loadcnt 0x0
	v_cvt_f32_f16_e32 v16, v16
	s_delay_alu instid0(VALU_DEP_1)
	v_mul_f32_e32 v16, v45, v16
	s_branch .LBB56_106
.LBB56_105:
	v_mov_b32_e32 v16, 0
.LBB56_106:
	s_delay_alu instid0(VALU_DEP_1) | instskip(NEXT) | instid1(VALU_DEP_1)
	v_dual_add_f32 v84, v84, v16 :: v_dual_max_num_f32 v5, v5, v5
	v_add_f32_e32 v16, 0x40051340, v84
	s_delay_alu instid0(VALU_DEP_1)
	v_max_num_f32_e32 v5, v5, v16
.LBB56_107:
	s_wait_alu 0xfffe
	s_or_b32 exec_lo, exec_lo, s11
	ds_bpermute_b32 v16, v55, v5
	v_mul_hi_u32 v17, s20, v48
	s_wait_dscnt 0x0
	v_dual_max_num_f32 v5, v5, v5 :: v_dual_max_num_f32 v16, v16, v16
	s_delay_alu instid0(VALU_DEP_1) | instskip(SKIP_3) | instid1(VALU_DEP_1)
	v_max_num_f32_e32 v5, v5, v16
	ds_bpermute_b32 v16, v94, v5
	s_wait_dscnt 0x0
	v_max_num_f32_e32 v16, v16, v16
	v_max_num_f32_e32 v5, v5, v16
	ds_bpermute_b32 v16, v95, v5
	s_wait_dscnt 0x0
	v_max_num_f32_e32 v16, v16, v16
	s_delay_alu instid0(VALU_DEP_1) | instskip(SKIP_3) | instid1(VALU_DEP_1)
	v_max_num_f32_e32 v5, v5, v16
	ds_bpermute_b32 v16, v96, v5
	s_wait_dscnt 0x0
	v_max_num_f32_e32 v16, v16, v16
	v_dual_max_num_f32 v5, v5, v16 :: v_dual_add_nc_u32 v16, v48, v17
	ds_bpermute_b32 v17, v97, v5
	v_lshrrev_b32_e32 v16, s21, v16
	s_delay_alu instid0(VALU_DEP_1) | instskip(NEXT) | instid1(VALU_DEP_1)
	v_mul_lo_u32 v16, v16, s22
	v_sub_nc_u32_e32 v16, v48, v16
	s_wait_dscnt 0x0
	v_max_num_f32_e32 v48, v17, v17
	s_delay_alu instid0(VALU_DEP_2) | instskip(NEXT) | instid1(VALU_DEP_2)
	v_mad_co_u64_u32 v[16:17], null, v16, s28, s[14:15]
	v_max_num_f32_e32 v5, v5, v48
	s_and_saveexec_b32 s11, s6
	s_cbranch_execz .LBB56_112
; %bb.108:
	v_cmp_ne_u32_e32 vcc_lo, 1, v93
	s_cbranch_vccnz .LBB56_110
; %bb.109:
	s_delay_alu instid0(VALU_DEP_3) | instskip(NEXT) | instid1(VALU_DEP_1)
	v_add_nc_u32_e32 v48, v16, v38
	v_ashrrev_i32_e32 v49, 31, v48
	s_delay_alu instid0(VALU_DEP_1) | instskip(NEXT) | instid1(VALU_DEP_1)
	v_lshlrev_b64_e32 v[48:49], 1, v[48:49]
	v_add_co_u32 v48, vcc_lo, s38, v48
	s_wait_alu 0xfffd
	s_delay_alu instid0(VALU_DEP_2) | instskip(SKIP_3) | instid1(VALU_DEP_1)
	v_add_co_ci_u32_e64 v49, null, s39, v49, vcc_lo
	global_load_u16 v17, v[48:49], off
	s_wait_loadcnt 0x0
	v_cvt_f32_f16_e32 v17, v17
	v_mul_f32_e32 v17, v45, v17
	s_branch .LBB56_111
.LBB56_110:
	v_mov_b32_e32 v17, 0
.LBB56_111:
	s_delay_alu instid0(VALU_DEP_1) | instskip(NEXT) | instid1(VALU_DEP_1)
	v_dual_add_f32 v79, v79, v17 :: v_dual_max_num_f32 v6, v6, v6
	v_add_f32_e32 v17, 0x40051340, v79
	s_delay_alu instid0(VALU_DEP_1)
	v_max_num_f32_e32 v6, v6, v17
.LBB56_112:
	s_wait_alu 0xfffe
	s_or_b32 exec_lo, exec_lo, s11
	s_and_saveexec_b32 s11, s7
	s_cbranch_execz .LBB56_117
; %bb.113:
	v_cmp_ne_u32_e32 vcc_lo, 1, v93
	s_cbranch_vccnz .LBB56_115
; %bb.114:
	v_ashrrev_i32_e32 v17, 31, v16
	v_add_co_u32 v16, vcc_lo, v16, v38
	s_wait_alu 0xfffd
	s_delay_alu instid0(VALU_DEP_2) | instskip(NEXT) | instid1(VALU_DEP_1)
	v_add_co_ci_u32_e64 v17, null, 0, v17, vcc_lo
	v_lshlrev_b64_e32 v[16:17], 1, v[16:17]
	s_delay_alu instid0(VALU_DEP_1) | instskip(SKIP_1) | instid1(VALU_DEP_2)
	v_add_co_u32 v16, vcc_lo, s38, v16
	s_wait_alu 0xfffd
	v_add_co_ci_u32_e64 v17, null, s39, v17, vcc_lo
	global_load_u16 v16, v[16:17], off offset:64
	s_wait_loadcnt 0x0
	v_cvt_f32_f16_e32 v16, v16
	s_delay_alu instid0(VALU_DEP_1)
	v_mul_f32_e32 v16, v45, v16
	s_branch .LBB56_116
.LBB56_115:
	v_mov_b32_e32 v16, 0
.LBB56_116:
	s_delay_alu instid0(VALU_DEP_1) | instskip(SKIP_1) | instid1(VALU_DEP_2)
	v_add_f32_e32 v82, v82, v16
	v_max_num_f32_e32 v6, v6, v6
	v_add_f32_e32 v16, 0x40051340, v82
	s_delay_alu instid0(VALU_DEP_1)
	v_max_num_f32_e32 v6, v6, v16
.LBB56_117:
	s_wait_alu 0xfffe
	s_or_b32 exec_lo, exec_lo, s11
	ds_bpermute_b32 v16, v55, v6
	v_max_num_f32_e32 v6, v6, v6
	v_mul_hi_u32 v17, s20, v47
	s_wait_dscnt 0x0
	v_max_num_f32_e32 v16, v16, v16
	s_delay_alu instid0(VALU_DEP_1) | instskip(SKIP_3) | instid1(VALU_DEP_1)
	v_max_num_f32_e32 v6, v6, v16
	ds_bpermute_b32 v16, v94, v6
	s_wait_dscnt 0x0
	v_max_num_f32_e32 v16, v16, v16
	v_max_num_f32_e32 v6, v6, v16
	ds_bpermute_b32 v16, v95, v6
	s_wait_dscnt 0x0
	v_max_num_f32_e32 v16, v16, v16
	s_delay_alu instid0(VALU_DEP_1) | instskip(SKIP_3) | instid1(VALU_DEP_1)
	v_max_num_f32_e32 v6, v6, v16
	ds_bpermute_b32 v16, v96, v6
	s_wait_dscnt 0x0
	v_max_num_f32_e32 v16, v16, v16
	v_max_num_f32_e32 v6, v6, v16
	v_add_nc_u32_e32 v16, v47, v17
	ds_bpermute_b32 v17, v97, v6
	v_lshrrev_b32_e32 v16, s21, v16
	s_delay_alu instid0(VALU_DEP_1) | instskip(NEXT) | instid1(VALU_DEP_1)
	v_mul_lo_u32 v16, v16, s22
	v_sub_nc_u32_e32 v16, v47, v16
	s_wait_dscnt 0x0
	v_max_num_f32_e32 v47, v17, v17
	s_delay_alu instid0(VALU_DEP_2) | instskip(NEXT) | instid1(VALU_DEP_2)
	v_mad_co_u64_u32 v[16:17], null, v16, s28, s[14:15]
	v_max_num_f32_e32 v6, v6, v47
	s_and_saveexec_b32 s11, s6
	s_cbranch_execz .LBB56_122
; %bb.118:
	v_cmp_ne_u32_e32 vcc_lo, 1, v93
	s_cbranch_vccnz .LBB56_120
; %bb.119:
	s_delay_alu instid0(VALU_DEP_3) | instskip(NEXT) | instid1(VALU_DEP_1)
	v_add_nc_u32_e32 v47, v16, v38
	v_ashrrev_i32_e32 v48, 31, v47
	s_delay_alu instid0(VALU_DEP_1) | instskip(NEXT) | instid1(VALU_DEP_1)
	v_lshlrev_b64_e32 v[47:48], 1, v[47:48]
	v_add_co_u32 v47, vcc_lo, s38, v47
	s_wait_alu 0xfffd
	s_delay_alu instid0(VALU_DEP_2) | instskip(SKIP_3) | instid1(VALU_DEP_1)
	v_add_co_ci_u32_e64 v48, null, s39, v48, vcc_lo
	global_load_u16 v17, v[47:48], off
	s_wait_loadcnt 0x0
	v_cvt_f32_f16_e32 v17, v17
	v_mul_f32_e32 v17, v45, v17
	s_branch .LBB56_121
.LBB56_120:
	v_mov_b32_e32 v17, 0
.LBB56_121:
	s_delay_alu instid0(VALU_DEP_1) | instskip(NEXT) | instid1(VALU_DEP_1)
	v_dual_add_f32 v78, v78, v17 :: v_dual_max_num_f32 v7, v7, v7
	v_add_f32_e32 v17, 0x40051340, v78
	s_delay_alu instid0(VALU_DEP_1)
	v_max_num_f32_e32 v7, v7, v17
.LBB56_122:
	s_wait_alu 0xfffe
	s_or_b32 exec_lo, exec_lo, s11
	s_and_saveexec_b32 s6, s7
	s_cbranch_execz .LBB56_127
; %bb.123:
	v_cmp_ne_u32_e32 vcc_lo, 1, v93
	s_cbranch_vccnz .LBB56_125
; %bb.124:
	v_ashrrev_i32_e32 v17, 31, v16
	v_add_co_u32 v16, vcc_lo, v16, v38
	s_wait_alu 0xfffd
	s_delay_alu instid0(VALU_DEP_2) | instskip(NEXT) | instid1(VALU_DEP_1)
	v_add_co_ci_u32_e64 v17, null, 0, v17, vcc_lo
	v_lshlrev_b64_e32 v[16:17], 1, v[16:17]
	s_delay_alu instid0(VALU_DEP_1) | instskip(SKIP_1) | instid1(VALU_DEP_2)
	v_add_co_u32 v16, vcc_lo, s38, v16
	s_wait_alu 0xfffd
	v_add_co_ci_u32_e64 v17, null, s39, v17, vcc_lo
	global_load_u16 v16, v[16:17], off offset:64
	s_wait_loadcnt 0x0
	v_cvt_f32_f16_e32 v16, v16
	s_delay_alu instid0(VALU_DEP_1)
	v_mul_f32_e32 v16, v45, v16
	s_branch .LBB56_126
.LBB56_125:
	v_mov_b32_e32 v16, 0
.LBB56_126:
	s_delay_alu instid0(VALU_DEP_1) | instskip(NEXT) | instid1(VALU_DEP_1)
	v_add_f32_e32 v77, v77, v16
	v_dual_max_num_f32 v7, v7, v7 :: v_dual_add_f32 v16, 0x40051340, v77
	s_delay_alu instid0(VALU_DEP_1)
	v_max_num_f32_e32 v7, v7, v16
.LBB56_127:
	s_wait_alu 0xfffe
	s_or_b32 exec_lo, exec_lo, s6
	ds_bpermute_b32 v16, v55, v7
	v_cmp_gt_u32_e32 vcc_lo, s9, v38
	s_wait_loadcnt_dscnt 0x0
	s_barrier_signal -1
	s_barrier_wait -1
	global_inv scope:SCOPE_SE
	s_ashr_i32 s11, s10, 31
	v_max_num_f32_e32 v7, v7, v7
	v_dual_sub_f32 v9, v9, v1 :: v_dual_max_num_f32 v16, v16, v16
	s_delay_alu instid0(VALU_DEP_1) | instskip(SKIP_3) | instid1(VALU_DEP_1)
	v_max_num_f32_e32 v7, v7, v16
	ds_bpermute_b32 v16, v94, v7
	s_wait_dscnt 0x0
	v_max_num_f32_e32 v16, v16, v16
	v_max_num_f32_e32 v7, v7, v16
	ds_bpermute_b32 v16, v95, v7
	s_wait_dscnt 0x0
	v_max_num_f32_e32 v16, v16, v16
	s_delay_alu instid0(VALU_DEP_1) | instskip(SKIP_3) | instid1(VALU_DEP_1)
	v_max_num_f32_e32 v7, v7, v16
	ds_bpermute_b32 v16, v96, v7
	s_wait_dscnt 0x0
	v_max_num_f32_e32 v16, v16, v16
	v_max_num_f32_e32 v7, v7, v16
	ds_bpermute_b32 v16, v97, v7
	s_wait_dscnt 0x0
	v_max_num_f32_e32 v16, v16, v16
	s_delay_alu instid0(VALU_DEP_1) | instskip(SKIP_1) | instid1(VALU_DEP_1)
	v_max_num_f32_e32 v7, v7, v16
	v_sub_f32_e32 v16, v89, v0
	v_mul_f32_e32 v17, 0x3fb8aa3b, v16
	v_cmp_ngt_f32_e64 s6, 0xc2ce8ed0, v16
	s_delay_alu instid0(VALU_DEP_2) | instskip(SKIP_1) | instid1(VALU_DEP_2)
	v_fma_f32 v45, 0x3fb8aa3b, v16, -v17
	v_rndne_f32_e32 v47, v17
	v_fmac_f32_e32 v45, 0x32a5705f, v16
	s_delay_alu instid0(VALU_DEP_2) | instskip(NEXT) | instid1(VALU_DEP_1)
	v_sub_f32_e32 v17, v17, v47
	v_add_f32_e32 v17, v17, v45
	v_cvt_i32_f32_e32 v45, v47
	s_delay_alu instid0(VALU_DEP_2) | instskip(NEXT) | instid1(TRANS32_DEP_1)
	v_exp_f32_e32 v17, v17
	v_ldexp_f32 v17, v17, v45
	s_wait_alu 0xf1ff
	s_delay_alu instid0(VALU_DEP_1) | instskip(SKIP_2) | instid1(VALU_DEP_1)
	v_cndmask_b32_e64 v17, 0, v17, s6
	v_cmp_nlt_f32_e64 s6, 0x42b17218, v16
	s_wait_alu 0xf1ff
	v_cndmask_b32_e64 v16, 0x7f800000, v17, s6
	v_sub_f32_e32 v17, v92, v0
	v_cmp_gt_u32_e64 s6, s9, v53
	s_wait_alu 0xfffd
	s_delay_alu instid0(VALU_DEP_2) | instskip(SKIP_1) | instid1(VALU_DEP_2)
	v_dual_cndmask_b32 v16, 0, v16 :: v_dual_mul_f32 v45, 0x3fb8aa3b, v17
	v_cmp_ngt_f32_e64 s7, 0xc2ce8ed0, v17
	v_cvt_f16_f32_e32 v52, v16
	s_delay_alu instid0(VALU_DEP_3) | instskip(SKIP_1) | instid1(VALU_DEP_2)
	v_fma_f32 v47, 0x3fb8aa3b, v17, -v45
	v_rndne_f32_e32 v48, v45
	v_fmac_f32_e32 v47, 0x32a5705f, v17
	s_delay_alu instid0(VALU_DEP_2) | instskip(NEXT) | instid1(VALU_DEP_1)
	v_sub_f32_e32 v45, v45, v48
	v_dual_sub_f32 v8, v8, v0 :: v_dual_add_f32 v45, v45, v47
	v_cvt_i32_f32_e32 v47, v48
	s_delay_alu instid0(VALU_DEP_2) | instskip(NEXT) | instid1(TRANS32_DEP_1)
	v_exp_f32_e32 v45, v45
	v_ldexp_f32 v45, v45, v47
	s_wait_alu 0xf1ff
	s_delay_alu instid0(VALU_DEP_1) | instskip(SKIP_2) | instid1(VALU_DEP_1)
	v_cndmask_b32_e64 v45, 0, v45, s7
	v_cmp_nlt_f32_e64 s7, 0x42b17218, v17
	s_wait_alu 0xf1ff
	v_cndmask_b32_e64 v17, 0x7f800000, v45, s7
	v_cmp_ngt_f32_e64 s7, 0xc2ce8ed0, v8
	s_delay_alu instid0(VALU_DEP_2) | instskip(NEXT) | instid1(VALU_DEP_1)
	v_cndmask_b32_e64 v17, 0, v17, s6
	v_add_f32_e32 v16, v16, v17
	v_cvt_f16_f32_e32 v89, v17
	v_mul_f32_e32 v17, 0x3fb8aa3b, v8
	s_delay_alu instid0(VALU_DEP_1) | instskip(SKIP_1) | instid1(VALU_DEP_2)
	v_fma_f32 v45, 0x3fb8aa3b, v8, -v17
	v_rndne_f32_e32 v47, v17
	v_fmac_f32_e32 v45, 0x32a5705f, v8
	s_delay_alu instid0(VALU_DEP_2) | instskip(NEXT) | instid1(VALU_DEP_1)
	v_sub_f32_e32 v17, v17, v47
	v_add_f32_e32 v17, v17, v45
	v_cvt_i32_f32_e32 v45, v47
	s_delay_alu instid0(VALU_DEP_2) | instskip(NEXT) | instid1(TRANS32_DEP_1)
	v_exp_f32_e32 v17, v17
	v_ldexp_f32 v17, v17, v45
	s_wait_alu 0xf1ff
	s_delay_alu instid0(VALU_DEP_1) | instskip(SKIP_2) | instid1(VALU_DEP_1)
	v_cndmask_b32_e64 v17, 0, v17, s7
	v_cmp_nlt_f32_e64 s7, 0x42b17218, v8
	s_wait_alu 0xf1ff
	v_cndmask_b32_e64 v8, 0x7f800000, v17, s7
	s_delay_alu instid0(VALU_DEP_1) | instskip(NEXT) | instid1(VALU_DEP_1)
	v_dual_sub_f32 v17, v87, v1 :: v_dual_fmac_f32 v16, v72, v8
	v_mul_f32_e32 v45, 0x3fb8aa3b, v17
	v_cmp_ngt_f32_e64 s7, 0xc2ce8ed0, v17
	v_cvt_f16_f32_e32 v8, v8
	s_delay_alu instid0(VALU_DEP_3) | instskip(SKIP_1) | instid1(VALU_DEP_3)
	v_fma_f32 v47, 0x3fb8aa3b, v17, -v45
	v_rndne_f32_e32 v48, v45
	v_and_b32_e32 v8, 0xffff, v8
	s_delay_alu instid0(VALU_DEP_3) | instskip(NEXT) | instid1(VALU_DEP_3)
	v_fmac_f32_e32 v47, 0x32a5705f, v17
	v_sub_f32_e32 v45, v45, v48
	s_delay_alu instid0(VALU_DEP_3) | instskip(NEXT) | instid1(VALU_DEP_2)
	v_mul_u32_u24_e32 v8, 0x10001, v8
	v_add_f32_e32 v45, v45, v47
	v_cvt_i32_f32_e32 v47, v48
	s_delay_alu instid0(VALU_DEP_3) | instskip(NEXT) | instid1(VALU_DEP_3)
	v_pk_mul_f16 v8, v63, v8
	v_exp_f32_e32 v45, v45
	s_delay_alu instid0(TRANS32_DEP_1) | instskip(SKIP_1) | instid1(VALU_DEP_1)
	v_ldexp_f32 v45, v45, v47
	s_wait_alu 0xf1ff
	v_cndmask_b32_e64 v45, 0, v45, s7
	v_cmp_nlt_f32_e64 s7, 0x42b17218, v17
	s_wait_alu 0xf1ff
	s_delay_alu instid0(VALU_DEP_1) | instskip(SKIP_1) | instid1(VALU_DEP_2)
	v_cndmask_b32_e64 v17, 0x7f800000, v45, s7
	v_sub_f32_e32 v45, v91, v1
	v_cndmask_b32_e32 v17, 0, v17, vcc_lo
	s_delay_alu instid0(VALU_DEP_2) | instskip(SKIP_1) | instid1(VALU_DEP_3)
	v_mul_f32_e32 v47, 0x3fb8aa3b, v45
	v_cmp_ngt_f32_e64 s7, 0xc2ce8ed0, v45
	v_cvt_f16_f32_e32 v54, v17
	s_delay_alu instid0(VALU_DEP_3) | instskip(SKIP_1) | instid1(VALU_DEP_3)
	v_fma_f32 v48, 0x3fb8aa3b, v45, -v47
	v_rndne_f32_e32 v49, v47
	v_pack_b32_f16 v54, v52, v54
	s_delay_alu instid0(VALU_DEP_3) | instskip(NEXT) | instid1(VALU_DEP_3)
	v_fmac_f32_e32 v48, 0x32a5705f, v45
	v_sub_f32_e32 v47, v47, v49
	s_delay_alu instid0(VALU_DEP_1) | instskip(SKIP_1) | instid1(VALU_DEP_2)
	v_add_f32_e32 v47, v47, v48
	v_cvt_i32_f32_e32 v48, v49
	v_exp_f32_e32 v47, v47
	s_delay_alu instid0(TRANS32_DEP_1) | instskip(SKIP_1) | instid1(VALU_DEP_1)
	v_ldexp_f32 v47, v47, v48
	s_wait_alu 0xf1ff
	v_cndmask_b32_e64 v47, 0, v47, s7
	v_cmp_nlt_f32_e64 s7, 0x42b17218, v45
	s_wait_alu 0xf1ff
	s_delay_alu instid0(VALU_DEP_1) | instskip(SKIP_1) | instid1(VALU_DEP_2)
	v_cndmask_b32_e64 v45, 0x7f800000, v47, s7
	v_cmp_ngt_f32_e64 s7, 0xc2ce8ed0, v9
	v_cndmask_b32_e64 v45, 0, v45, s6
	s_delay_alu instid0(VALU_DEP_1) | instskip(SKIP_2) | instid1(VALU_DEP_2)
	v_add_f32_e32 v17, v17, v45
	v_cvt_f16_f32_e32 v63, v45
	v_mul_f32_e32 v45, 0x3fb8aa3b, v9
	v_pack_b32_f16 v52, v89, v63
	s_delay_alu instid0(VALU_DEP_2) | instskip(SKIP_2) | instid1(VALU_DEP_3)
	v_fma_f32 v47, 0x3fb8aa3b, v9, -v45
	v_rndne_f32_e32 v48, v45
	v_lshl_or_b32 v63, v75, 7, v64
	v_fmac_f32_e32 v47, 0x32a5705f, v9
	s_delay_alu instid0(VALU_DEP_3) | instskip(NEXT) | instid1(VALU_DEP_1)
	v_sub_f32_e32 v45, v45, v48
	v_add_f32_e32 v45, v45, v47
	v_cvt_i32_f32_e32 v47, v48
	s_delay_alu instid0(VALU_DEP_2) | instskip(NEXT) | instid1(TRANS32_DEP_1)
	v_exp_f32_e32 v45, v45
	v_ldexp_f32 v45, v45, v47
	s_wait_alu 0xf1ff
	s_delay_alu instid0(VALU_DEP_1) | instskip(SKIP_2) | instid1(VALU_DEP_1)
	v_cndmask_b32_e64 v45, 0, v45, s7
	v_cmp_nlt_f32_e64 s7, 0x42b17218, v9
	s_wait_alu 0xf1ff
	v_cndmask_b32_e64 v9, 0x7f800000, v45, s7
	v_sub_f32_e32 v45, v10, v2
	s_delay_alu instid0(VALU_DEP_2) | instskip(SKIP_1) | instid1(VALU_DEP_2)
	v_dual_sub_f32 v10, v85, v2 :: v_dual_fmac_f32 v17, v71, v9
	v_cvt_f16_f32_e32 v9, v9
	v_mul_f32_e32 v47, 0x3fb8aa3b, v10
	v_cmp_ngt_f32_e64 s7, 0xc2ce8ed0, v10
	s_delay_alu instid0(VALU_DEP_3) | instskip(NEXT) | instid1(VALU_DEP_3)
	v_and_b32_e32 v9, 0xffff, v9
	v_fma_f32 v48, 0x3fb8aa3b, v10, -v47
	v_rndne_f32_e32 v49, v47
	s_delay_alu instid0(VALU_DEP_3) | instskip(NEXT) | instid1(VALU_DEP_2)
	v_mul_u32_u24_e32 v9, 0x10001, v9
	v_dual_fmac_f32 v48, 0x32a5705f, v10 :: v_dual_sub_f32 v47, v47, v49
	s_delay_alu instid0(VALU_DEP_2) | instskip(NEXT) | instid1(VALU_DEP_2)
	v_pk_mul_f16 v9, v62, v9
	v_add_f32_e32 v47, v47, v48
	v_cvt_i32_f32_e32 v48, v49
	s_delay_alu instid0(VALU_DEP_2) | instskip(NEXT) | instid1(TRANS32_DEP_1)
	v_exp_f32_e32 v47, v47
	v_ldexp_f32 v47, v47, v48
	s_wait_alu 0xf1ff
	s_delay_alu instid0(VALU_DEP_1) | instskip(SKIP_2) | instid1(VALU_DEP_1)
	v_cndmask_b32_e64 v47, 0, v47, s7
	v_cmp_nlt_f32_e64 s7, 0x42b17218, v10
	s_wait_alu 0xf1ff
	v_cndmask_b32_e64 v10, 0x7f800000, v47, s7
	v_sub_f32_e32 v47, v90, v2
	s_delay_alu instid0(VALU_DEP_2) | instskip(NEXT) | instid1(VALU_DEP_2)
	v_cndmask_b32_e32 v10, 0, v10, vcc_lo
	v_mul_f32_e32 v48, 0x3fb8aa3b, v47
	v_cmp_ngt_f32_e64 s7, 0xc2ce8ed0, v47
	s_delay_alu instid0(VALU_DEP_3) | instskip(NEXT) | instid1(VALU_DEP_3)
	v_cvt_f16_f32_e32 v55, v10
	v_fma_f32 v49, 0x3fb8aa3b, v47, -v48
	v_rndne_f32_e32 v50, v48
	s_delay_alu instid0(VALU_DEP_1) | instskip(NEXT) | instid1(VALU_DEP_1)
	v_dual_fmac_f32 v49, 0x32a5705f, v47 :: v_dual_sub_f32 v48, v48, v50
	v_add_f32_e32 v48, v48, v49
	v_cvt_i32_f32_e32 v49, v50
	s_delay_alu instid0(VALU_DEP_2) | instskip(NEXT) | instid1(TRANS32_DEP_1)
	v_exp_f32_e32 v48, v48
	v_ldexp_f32 v48, v48, v49
	s_wait_alu 0xf1ff
	s_delay_alu instid0(VALU_DEP_1) | instskip(SKIP_2) | instid1(VALU_DEP_1)
	v_cndmask_b32_e64 v48, 0, v48, s7
	v_cmp_nlt_f32_e64 s7, 0x42b17218, v47
	s_wait_alu 0xf1ff
	v_cndmask_b32_e64 v47, 0x7f800000, v48, s7
	v_cmp_ngt_f32_e64 s7, 0xc2ce8ed0, v45
	s_delay_alu instid0(VALU_DEP_2) | instskip(NEXT) | instid1(VALU_DEP_1)
	v_cndmask_b32_e64 v47, 0, v47, s6
	v_add_f32_e32 v10, v10, v47
	v_cvt_f16_f32_e32 v62, v47
	v_mul_f32_e32 v47, 0x3fb8aa3b, v45
	s_delay_alu instid0(VALU_DEP_1) | instskip(SKIP_1) | instid1(VALU_DEP_2)
	v_fma_f32 v48, 0x3fb8aa3b, v45, -v47
	v_rndne_f32_e32 v49, v47
	v_fmac_f32_e32 v48, 0x32a5705f, v45
	s_delay_alu instid0(VALU_DEP_2) | instskip(NEXT) | instid1(VALU_DEP_1)
	v_sub_f32_e32 v47, v47, v49
	v_add_f32_e32 v47, v47, v48
	v_cvt_i32_f32_e32 v48, v49
	s_delay_alu instid0(VALU_DEP_2) | instskip(NEXT) | instid1(TRANS32_DEP_1)
	v_exp_f32_e32 v47, v47
	v_ldexp_f32 v47, v47, v48
	s_wait_alu 0xf1ff
	s_delay_alu instid0(VALU_DEP_1) | instskip(SKIP_2) | instid1(VALU_DEP_1)
	v_cndmask_b32_e64 v47, 0, v47, s7
	v_cmp_nlt_f32_e64 s7, 0x42b17218, v45
	s_wait_alu 0xf1ff
	v_cndmask_b32_e64 v45, 0x7f800000, v47, s7
	v_sub_f32_e32 v47, v11, v3
	s_delay_alu instid0(VALU_DEP_2) | instskip(SKIP_1) | instid1(VALU_DEP_2)
	v_dual_sub_f32 v11, v83, v3 :: v_dual_fmac_f32 v10, v69, v45
	v_cvt_f16_f32_e32 v45, v45
	v_mul_f32_e32 v48, 0x3fb8aa3b, v11
	v_cmp_ngt_f32_e64 s7, 0xc2ce8ed0, v11
	s_delay_alu instid0(VALU_DEP_3) | instskip(NEXT) | instid1(VALU_DEP_3)
	v_and_b32_e32 v45, 0xffff, v45
	v_fma_f32 v49, 0x3fb8aa3b, v11, -v48
	v_rndne_f32_e32 v50, v48
	s_delay_alu instid0(VALU_DEP_3) | instskip(NEXT) | instid1(VALU_DEP_2)
	v_mul_u32_u24_e32 v45, 0x10001, v45
	v_dual_fmac_f32 v49, 0x32a5705f, v11 :: v_dual_sub_f32 v48, v48, v50
	s_delay_alu instid0(VALU_DEP_2) | instskip(NEXT) | instid1(VALU_DEP_2)
	v_pk_mul_f16 v45, v61, v45
	v_add_f32_e32 v48, v48, v49
	v_cvt_i32_f32_e32 v49, v50
	s_delay_alu instid0(VALU_DEP_2) | instskip(NEXT) | instid1(TRANS32_DEP_1)
	v_exp_f32_e32 v48, v48
	v_ldexp_f32 v48, v48, v49
	s_wait_alu 0xf1ff
	s_delay_alu instid0(VALU_DEP_1) | instskip(SKIP_2) | instid1(VALU_DEP_1)
	v_cndmask_b32_e64 v48, 0, v48, s7
	v_cmp_nlt_f32_e64 s7, 0x42b17218, v11
	s_wait_alu 0xf1ff
	v_cndmask_b32_e64 v11, 0x7f800000, v48, s7
	v_sub_f32_e32 v48, v88, v3
	s_delay_alu instid0(VALU_DEP_2) | instskip(NEXT) | instid1(VALU_DEP_2)
	v_cndmask_b32_e32 v11, 0, v11, vcc_lo
	v_mul_f32_e32 v49, 0x3fb8aa3b, v48
	v_cmp_ngt_f32_e64 s7, 0xc2ce8ed0, v48
	s_delay_alu instid0(VALU_DEP_3) | instskip(NEXT) | instid1(VALU_DEP_3)
	v_cvt_f16_f32_e32 v61, v11
	v_fma_f32 v50, 0x3fb8aa3b, v48, -v49
	v_rndne_f32_e32 v51, v49
	s_delay_alu instid0(VALU_DEP_3) | instskip(NEXT) | instid1(VALU_DEP_2)
	v_pack_b32_f16 v55, v55, v61
	v_dual_fmac_f32 v50, 0x32a5705f, v48 :: v_dual_sub_f32 v49, v49, v51
	s_delay_alu instid0(VALU_DEP_1) | instskip(SKIP_1) | instid1(VALU_DEP_2)
	v_add_f32_e32 v49, v49, v50
	v_cvt_i32_f32_e32 v50, v51
	v_exp_f32_e32 v49, v49
	s_delay_alu instid0(TRANS32_DEP_1) | instskip(SKIP_1) | instid1(VALU_DEP_1)
	v_ldexp_f32 v49, v49, v50
	s_wait_alu 0xf1ff
	v_cndmask_b32_e64 v49, 0, v49, s7
	v_cmp_nlt_f32_e64 s7, 0x42b17218, v48
	s_wait_alu 0xf1ff
	s_delay_alu instid0(VALU_DEP_1) | instskip(SKIP_1) | instid1(VALU_DEP_2)
	v_cndmask_b32_e64 v48, 0x7f800000, v49, s7
	v_cmp_ngt_f32_e64 s7, 0xc2ce8ed0, v47
	v_cndmask_b32_e64 v48, 0, v48, s6
	s_delay_alu instid0(VALU_DEP_1) | instskip(SKIP_2) | instid1(VALU_DEP_1)
	v_add_f32_e32 v11, v11, v48
	v_cvt_f16_f32_e32 v69, v48
	v_mul_f32_e32 v48, 0x3fb8aa3b, v47
	v_fma_f32 v49, 0x3fb8aa3b, v47, -v48
	v_rndne_f32_e32 v50, v48
	s_delay_alu instid0(VALU_DEP_1) | instskip(NEXT) | instid1(VALU_DEP_1)
	v_dual_fmac_f32 v49, 0x32a5705f, v47 :: v_dual_sub_f32 v48, v48, v50
	v_add_f32_e32 v48, v48, v49
	v_cvt_i32_f32_e32 v49, v50
	s_delay_alu instid0(VALU_DEP_2) | instskip(NEXT) | instid1(TRANS32_DEP_1)
	v_exp_f32_e32 v48, v48
	v_ldexp_f32 v48, v48, v49
	s_wait_alu 0xf1ff
	s_delay_alu instid0(VALU_DEP_1) | instskip(SKIP_2) | instid1(VALU_DEP_1)
	v_cndmask_b32_e64 v48, 0, v48, s7
	v_cmp_nlt_f32_e64 s7, 0x42b17218, v47
	s_wait_alu 0xf1ff
	v_cndmask_b32_e64 v47, 0x7f800000, v48, s7
	v_sub_f32_e32 v48, v12, v4
	s_delay_alu instid0(VALU_DEP_2) | instskip(SKIP_1) | instid1(VALU_DEP_2)
	v_dual_sub_f32 v12, v81, v4 :: v_dual_fmac_f32 v11, v70, v47
	v_cvt_f16_f32_e32 v47, v47
	v_mul_f32_e32 v49, 0x3fb8aa3b, v12
	v_cmp_ngt_f32_e64 s7, 0xc2ce8ed0, v12
	s_delay_alu instid0(VALU_DEP_3) | instskip(NEXT) | instid1(VALU_DEP_3)
	v_and_b32_e32 v47, 0xffff, v47
	v_fma_f32 v50, 0x3fb8aa3b, v12, -v49
	v_rndne_f32_e32 v51, v49
	s_delay_alu instid0(VALU_DEP_3) | instskip(NEXT) | instid1(VALU_DEP_2)
	v_mul_u32_u24_e32 v47, 0x10001, v47
	v_dual_fmac_f32 v50, 0x32a5705f, v12 :: v_dual_sub_f32 v49, v49, v51
	s_delay_alu instid0(VALU_DEP_2) | instskip(NEXT) | instid1(VALU_DEP_2)
	v_pk_mul_f16 v47, v60, v47
	v_add_f32_e32 v49, v49, v50
	v_cvt_i32_f32_e32 v50, v51
	s_delay_alu instid0(VALU_DEP_2) | instskip(NEXT) | instid1(TRANS32_DEP_1)
	v_exp_f32_e32 v49, v49
	v_ldexp_f32 v49, v49, v50
	s_wait_alu 0xf1ff
	s_delay_alu instid0(VALU_DEP_1) | instskip(SKIP_2) | instid1(VALU_DEP_1)
	v_cndmask_b32_e64 v49, 0, v49, s7
	v_cmp_nlt_f32_e64 s7, 0x42b17218, v12
	s_wait_alu 0xf1ff
	v_cndmask_b32_e64 v12, 0x7f800000, v49, s7
	v_sub_f32_e32 v49, v86, v4
	s_delay_alu instid0(VALU_DEP_2) | instskip(NEXT) | instid1(VALU_DEP_2)
	v_cndmask_b32_e32 v12, 0, v12, vcc_lo
	v_mul_f32_e32 v50, 0x3fb8aa3b, v49
	v_cmp_ngt_f32_e64 s7, 0xc2ce8ed0, v49
	s_delay_alu instid0(VALU_DEP_3) | instskip(NEXT) | instid1(VALU_DEP_3)
	v_cvt_f16_f32_e32 v60, v12
	v_fma_f32 v51, 0x3fb8aa3b, v49, -v50
	v_rndne_f32_e32 v70, v50
	s_delay_alu instid0(VALU_DEP_1) | instskip(NEXT) | instid1(VALU_DEP_1)
	v_dual_fmac_f32 v51, 0x32a5705f, v49 :: v_dual_sub_f32 v50, v50, v70
	v_add_f32_e32 v50, v50, v51
	v_cvt_i32_f32_e32 v51, v70
	s_delay_alu instid0(VALU_DEP_2) | instskip(NEXT) | instid1(TRANS32_DEP_1)
	v_exp_f32_e32 v50, v50
	v_ldexp_f32 v50, v50, v51
	s_wait_alu 0xf1ff
	s_delay_alu instid0(VALU_DEP_1) | instskip(SKIP_2) | instid1(VALU_DEP_1)
	v_cndmask_b32_e64 v50, 0, v50, s7
	v_cmp_nlt_f32_e64 s7, 0x42b17218, v49
	s_wait_alu 0xf1ff
	v_cndmask_b32_e64 v49, 0x7f800000, v50, s7
	v_cmp_ngt_f32_e64 s7, 0xc2ce8ed0, v48
	s_delay_alu instid0(VALU_DEP_2) | instskip(NEXT) | instid1(VALU_DEP_1)
	v_cndmask_b32_e64 v49, 0, v49, s6
	v_add_f32_e32 v12, v12, v49
	v_cvt_f16_f32_e32 v70, v49
	v_mul_f32_e32 v49, 0x3fb8aa3b, v48
	s_delay_alu instid0(VALU_DEP_1) | instskip(SKIP_1) | instid1(VALU_DEP_1)
	v_fma_f32 v50, 0x3fb8aa3b, v48, -v49
	v_rndne_f32_e32 v51, v49
	v_dual_fmac_f32 v50, 0x32a5705f, v48 :: v_dual_sub_f32 v49, v49, v51
	s_delay_alu instid0(VALU_DEP_1) | instskip(SKIP_1) | instid1(VALU_DEP_2)
	v_add_f32_e32 v49, v49, v50
	v_cvt_i32_f32_e32 v50, v51
	v_exp_f32_e32 v49, v49
	s_delay_alu instid0(TRANS32_DEP_1) | instskip(SKIP_1) | instid1(VALU_DEP_1)
	v_ldexp_f32 v49, v49, v50
	s_wait_alu 0xf1ff
	v_cndmask_b32_e64 v49, 0, v49, s7
	v_cmp_nlt_f32_e64 s7, 0x42b17218, v48
	s_wait_alu 0xf1ff
	s_delay_alu instid0(VALU_DEP_1) | instskip(SKIP_2) | instid1(VALU_DEP_3)
	v_cndmask_b32_e64 v48, 0x7f800000, v49, s7
	v_sub_f32_e32 v49, v13, v5
	v_sub_f32_e32 v13, v80, v5
	v_fmac_f32_e32 v12, v68, v48
	v_cvt_f16_f32_e32 v48, v48
	s_delay_alu instid0(VALU_DEP_3) | instskip(SKIP_1) | instid1(VALU_DEP_3)
	v_mul_f32_e32 v50, 0x3fb8aa3b, v13
	v_cmp_ngt_f32_e64 s7, 0xc2ce8ed0, v13
	v_and_b32_e32 v48, 0xffff, v48
	s_delay_alu instid0(VALU_DEP_3) | instskip(NEXT) | instid1(VALU_DEP_2)
	v_fma_f32 v51, 0x3fb8aa3b, v13, -v50
	v_mul_u32_u24_e32 v48, 0x10001, v48
	s_delay_alu instid0(VALU_DEP_2) | instskip(NEXT) | instid1(VALU_DEP_2)
	v_fmac_f32_e32 v51, 0x32a5705f, v13
	v_pk_mul_f16 v48, v59, v48
	v_rndne_f32_e32 v59, v50
	s_delay_alu instid0(VALU_DEP_1) | instskip(NEXT) | instid1(VALU_DEP_1)
	v_sub_f32_e32 v50, v50, v59
	v_add_f32_e32 v50, v50, v51
	v_cvt_i32_f32_e32 v51, v59
	s_delay_alu instid0(VALU_DEP_2) | instskip(NEXT) | instid1(TRANS32_DEP_1)
	v_exp_f32_e32 v50, v50
	v_ldexp_f32 v50, v50, v51
	s_wait_alu 0xf1ff
	s_delay_alu instid0(VALU_DEP_1) | instskip(SKIP_2) | instid1(VALU_DEP_1)
	v_cndmask_b32_e64 v50, 0, v50, s7
	v_cmp_nlt_f32_e64 s7, 0x42b17218, v13
	s_wait_alu 0xf1ff
	v_cndmask_b32_e64 v13, 0x7f800000, v50, s7
	v_sub_f32_e32 v50, v84, v5
	s_delay_alu instid0(VALU_DEP_2) | instskip(NEXT) | instid1(VALU_DEP_2)
	v_cndmask_b32_e32 v13, 0, v13, vcc_lo
	v_mul_f32_e32 v51, 0x3fb8aa3b, v50
	v_cmp_ngt_f32_e64 s7, 0xc2ce8ed0, v50
	s_delay_alu instid0(VALU_DEP_3) | instskip(NEXT) | instid1(VALU_DEP_3)
	v_cvt_f16_f32_e32 v59, v13
	v_fma_f32 v68, 0x3fb8aa3b, v50, -v51
	v_rndne_f32_e32 v71, v51
	s_delay_alu instid0(VALU_DEP_1) | instskip(NEXT) | instid1(VALU_DEP_1)
	v_dual_fmac_f32 v68, 0x32a5705f, v50 :: v_dual_sub_f32 v51, v51, v71
	v_add_f32_e32 v51, v51, v68
	v_cvt_i32_f32_e32 v68, v71
	s_delay_alu instid0(VALU_DEP_2) | instskip(NEXT) | instid1(TRANS32_DEP_1)
	v_exp_f32_e32 v51, v51
	v_ldexp_f32 v51, v51, v68
	s_wait_alu 0xf1ff
	s_delay_alu instid0(VALU_DEP_1) | instskip(SKIP_2) | instid1(VALU_DEP_1)
	v_cndmask_b32_e64 v51, 0, v51, s7
	v_cmp_nlt_f32_e64 s7, 0x42b17218, v50
	s_wait_alu 0xf1ff
	v_cndmask_b32_e64 v50, 0x7f800000, v51, s7
	v_cmp_ngt_f32_e64 s7, 0xc2ce8ed0, v49
	s_delay_alu instid0(VALU_DEP_2) | instskip(NEXT) | instid1(VALU_DEP_1)
	v_cndmask_b32_e64 v50, 0, v50, s6
	v_add_f32_e32 v13, v13, v50
	v_cvt_f16_f32_e32 v68, v50
	v_mul_f32_e32 v50, 0x3fb8aa3b, v49
	s_delay_alu instid0(VALU_DEP_1) | instskip(SKIP_1) | instid1(VALU_DEP_1)
	v_fma_f32 v51, 0x3fb8aa3b, v49, -v50
	v_rndne_f32_e32 v71, v50
	v_dual_fmac_f32 v51, 0x32a5705f, v49 :: v_dual_sub_f32 v50, v50, v71
	s_delay_alu instid0(VALU_DEP_1) | instskip(SKIP_1) | instid1(VALU_DEP_2)
	v_add_f32_e32 v50, v50, v51
	v_cvt_i32_f32_e32 v51, v71
	v_exp_f32_e32 v50, v50
	s_delay_alu instid0(TRANS32_DEP_1) | instskip(SKIP_1) | instid1(VALU_DEP_1)
	v_ldexp_f32 v50, v50, v51
	s_wait_alu 0xf1ff
	v_cndmask_b32_e64 v50, 0, v50, s7
	v_cmp_nlt_f32_e64 s7, 0x42b17218, v49
	s_wait_alu 0xf1ff
	s_delay_alu instid0(VALU_DEP_1) | instskip(SKIP_2) | instid1(VALU_DEP_3)
	v_cndmask_b32_e64 v49, 0x7f800000, v50, s7
	v_sub_f32_e32 v50, v14, v6
	v_sub_f32_e32 v14, v79, v6
	v_fmac_f32_e32 v13, v67, v49
	v_cvt_f16_f32_e32 v49, v49
	s_delay_alu instid0(VALU_DEP_3) | instskip(SKIP_1) | instid1(VALU_DEP_3)
	v_mul_f32_e32 v51, 0x3fb8aa3b, v14
	v_cmp_ngt_f32_e64 s7, 0xc2ce8ed0, v14
	v_and_b32_e32 v49, 0xffff, v49
	s_delay_alu instid0(VALU_DEP_3) | instskip(NEXT) | instid1(VALU_DEP_2)
	v_rndne_f32_e32 v67, v51
	v_mul_u32_u24_e32 v49, 0x10001, v49
	s_delay_alu instid0(VALU_DEP_1) | instskip(SKIP_1) | instid1(VALU_DEP_1)
	v_pk_mul_f16 v49, v58, v49
	v_fma_f32 v58, 0x3fb8aa3b, v14, -v51
	v_dual_sub_f32 v51, v51, v67 :: v_dual_fmac_f32 v58, 0x32a5705f, v14
	s_delay_alu instid0(VALU_DEP_1) | instskip(SKIP_1) | instid1(VALU_DEP_2)
	v_add_f32_e32 v51, v51, v58
	v_cvt_i32_f32_e32 v58, v67
	v_exp_f32_e32 v51, v51
	s_delay_alu instid0(TRANS32_DEP_1) | instskip(SKIP_1) | instid1(VALU_DEP_1)
	v_ldexp_f32 v51, v51, v58
	s_wait_alu 0xf1ff
	v_cndmask_b32_e64 v51, 0, v51, s7
	v_cmp_nlt_f32_e64 s7, 0x42b17218, v14
	s_wait_alu 0xf1ff
	s_delay_alu instid0(VALU_DEP_1) | instskip(SKIP_1) | instid1(VALU_DEP_1)
	v_cndmask_b32_e64 v14, 0x7f800000, v51, s7
	v_sub_f32_e32 v51, v82, v6
	v_dual_cndmask_b32 v14, 0, v14 :: v_dual_mul_f32 v67, 0x3fb8aa3b, v51
	v_cmp_ngt_f32_e64 s7, 0xc2ce8ed0, v51
	s_delay_alu instid0(VALU_DEP_2) | instskip(NEXT) | instid1(VALU_DEP_3)
	v_cvt_f16_f32_e32 v58, v14
	v_fma_f32 v71, 0x3fb8aa3b, v51, -v67
	v_rndne_f32_e32 v72, v67
	s_delay_alu instid0(VALU_DEP_2) | instskip(NEXT) | instid1(VALU_DEP_2)
	v_fmac_f32_e32 v71, 0x32a5705f, v51
	v_sub_f32_e32 v67, v67, v72
	s_delay_alu instid0(VALU_DEP_1) | instskip(SKIP_1) | instid1(VALU_DEP_2)
	v_add_f32_e32 v67, v67, v71
	v_cvt_i32_f32_e32 v71, v72
	v_exp_f32_e32 v67, v67
	s_delay_alu instid0(TRANS32_DEP_1) | instskip(SKIP_1) | instid1(VALU_DEP_1)
	v_ldexp_f32 v67, v67, v71
	s_wait_alu 0xf1ff
	v_cndmask_b32_e64 v67, 0, v67, s7
	v_cmp_nlt_f32_e64 s7, 0x42b17218, v51
	s_wait_alu 0xf1ff
	s_delay_alu instid0(VALU_DEP_1) | instskip(SKIP_1) | instid1(VALU_DEP_2)
	v_cndmask_b32_e64 v51, 0x7f800000, v67, s7
	v_cmp_ngt_f32_e64 s7, 0xc2ce8ed0, v50
	v_cndmask_b32_e64 v51, 0, v51, s6
	s_delay_alu instid0(VALU_DEP_1) | instskip(SKIP_2) | instid1(VALU_DEP_1)
	v_add_f32_e32 v14, v14, v51
	v_cvt_f16_f32_e32 v67, v51
	v_mul_f32_e32 v51, 0x3fb8aa3b, v50
	v_fma_f32 v71, 0x3fb8aa3b, v50, -v51
	v_rndne_f32_e32 v72, v51
	s_delay_alu instid0(VALU_DEP_2) | instskip(NEXT) | instid1(VALU_DEP_2)
	v_fmac_f32_e32 v71, 0x32a5705f, v50
	v_sub_f32_e32 v51, v51, v72
	s_delay_alu instid0(VALU_DEP_1) | instskip(SKIP_1) | instid1(VALU_DEP_2)
	v_add_f32_e32 v51, v51, v71
	v_cvt_i32_f32_e32 v71, v72
	v_exp_f32_e32 v51, v51
	s_delay_alu instid0(TRANS32_DEP_1) | instskip(SKIP_1) | instid1(VALU_DEP_1)
	v_ldexp_f32 v51, v51, v71
	s_wait_alu 0xf1ff
	v_cndmask_b32_e64 v51, 0, v51, s7
	v_cmp_nlt_f32_e64 s7, 0x42b17218, v50
	s_wait_alu 0xf1ff
	s_delay_alu instid0(VALU_DEP_1) | instskip(SKIP_1) | instid1(VALU_DEP_2)
	v_cndmask_b32_e64 v50, 0x7f800000, v51, s7
	v_sub_f32_e32 v51, v15, v7
	v_dual_sub_f32 v15, v78, v7 :: v_dual_fmac_f32 v14, v73, v50
	v_cvt_f16_f32_e32 v50, v50
	s_delay_alu instid0(VALU_DEP_2) | instskip(NEXT) | instid1(VALU_DEP_2)
	v_cmp_ngt_f32_e64 s7, 0xc2ce8ed0, v15
	v_and_b32_e32 v50, 0xffff, v50
	s_delay_alu instid0(VALU_DEP_1) | instskip(NEXT) | instid1(VALU_DEP_1)
	v_mul_u32_u24_e32 v50, 0x10001, v50
	v_pk_mul_f16 v50, v57, v50
	v_mul_f32_e32 v57, 0x3fb8aa3b, v15
	s_delay_alu instid0(VALU_DEP_1) | instskip(SKIP_1) | instid1(VALU_DEP_2)
	v_fma_f32 v71, 0x3fb8aa3b, v15, -v57
	v_rndne_f32_e32 v72, v57
	v_fmac_f32_e32 v71, 0x32a5705f, v15
	s_delay_alu instid0(VALU_DEP_2) | instskip(NEXT) | instid1(VALU_DEP_1)
	v_sub_f32_e32 v57, v57, v72
	v_add_f32_e32 v57, v57, v71
	v_cvt_i32_f32_e32 v71, v72
	s_delay_alu instid0(VALU_DEP_2) | instskip(NEXT) | instid1(TRANS32_DEP_1)
	v_exp_f32_e32 v57, v57
	v_ldexp_f32 v57, v57, v71
	v_sub_f32_e32 v71, v77, v7
	s_wait_alu 0xf1ff
	s_delay_alu instid0(VALU_DEP_2) | instskip(NEXT) | instid1(VALU_DEP_2)
	v_cndmask_b32_e64 v57, 0, v57, s7
	v_mul_f32_e32 v72, 0x3fb8aa3b, v71
	v_cmp_nlt_f32_e64 s7, 0x42b17218, v15
	s_delay_alu instid0(VALU_DEP_2) | instskip(SKIP_2) | instid1(VALU_DEP_3)
	v_fma_f32 v73, 0x3fb8aa3b, v71, -v72
	v_rndne_f32_e32 v77, v72
	s_wait_alu 0xf1ff
	v_cndmask_b32_e64 v15, 0x7f800000, v57, s7
	s_delay_alu instid0(VALU_DEP_2) | instskip(NEXT) | instid1(VALU_DEP_2)
	v_dual_fmac_f32 v73, 0x32a5705f, v71 :: v_dual_sub_f32 v72, v72, v77
	v_cndmask_b32_e32 v15, 0, v15, vcc_lo
	v_cmp_ngt_f32_e32 vcc_lo, 0xc2ce8ed0, v71
	s_delay_alu instid0(VALU_DEP_3) | instskip(SKIP_1) | instid1(VALU_DEP_4)
	v_add_f32_e32 v72, v72, v73
	v_cvt_i32_f32_e32 v73, v77
	v_cvt_f16_f32_e32 v57, v15
	s_delay_alu instid0(VALU_DEP_3) | instskip(NEXT) | instid1(VALU_DEP_1)
	v_exp_f32_e32 v72, v72
	v_pack_b32_f16 v57, v58, v57
	s_delay_alu instid0(TRANS32_DEP_1) | instskip(SKIP_1) | instid1(VALU_DEP_1)
	v_ldexp_f32 v72, v72, v73
	s_wait_alu 0xfffd
	v_cndmask_b32_e32 v72, 0, v72, vcc_lo
	v_cmp_nlt_f32_e32 vcc_lo, 0x42b17218, v71
	s_wait_alu 0xfffd
	s_delay_alu instid0(VALU_DEP_2) | instskip(SKIP_2) | instid1(VALU_DEP_3)
	v_cndmask_b32_e32 v71, 0x7f800000, v72, vcc_lo
	v_mul_f32_e32 v72, 0x3fb8aa3b, v51
	v_cmp_ngt_f32_e32 vcc_lo, 0xc2ce8ed0, v51
	v_cndmask_b32_e64 v71, 0, v71, s6
	s_delay_alu instid0(VALU_DEP_3) | instskip(SKIP_4) | instid1(VALU_DEP_2)
	v_fma_f32 v73, 0x3fb8aa3b, v51, -v72
	v_rndne_f32_e32 v77, v72
	s_wait_alu 0xfffe
	s_mul_u64 s[6:7], s[14:15], s[10:11]
	v_add_f32_e32 v15, v15, v71
	v_dual_fmac_f32 v73, 0x32a5705f, v51 :: v_dual_sub_f32 v72, v72, v77
	v_cvt_f16_f32_e32 v71, v71
	s_wait_alu 0xfffe
	s_lshl_b64 s[6:7], s[6:7], 2
	s_wait_alu 0xfffe
	s_add_nc_u64 s[14:15], s[24:25], s[6:7]
	v_add_f32_e32 v72, v72, v73
	v_cvt_i32_f32_e32 v73, v77
	s_mov_b64 s[6:7], src_private_base
	s_lshl_b32 s6, s10, 4
	s_mov_b32 s24, 0
	v_exp_f32_e32 v72, v72
	s_wait_alu 0xfffe
	s_mov_b32 s26, s24
	s_mov_b32 s25, s24
	s_delay_alu instid0(TRANS32_DEP_1) | instskip(SKIP_1) | instid1(VALU_DEP_1)
	v_ldexp_f32 v72, v72, v73
	s_wait_alu 0xfffd
	v_dual_mov_b32 v73, v14 :: v_dual_cndmask_b32 v72, 0, v72
	v_cmp_nlt_f32_e32 vcc_lo, 0x42b17218, v51
	s_wait_alu 0xfffd
	s_delay_alu instid0(VALU_DEP_2) | instskip(NEXT) | instid1(VALU_DEP_1)
	v_cndmask_b32_e32 v51, 0x7f800000, v72, vcc_lo
	v_fmac_f32_e32 v15, v65, v51
	v_cvt_f16_f32_e32 v51, v51
	v_lshl_add_u32 v65, v38, 4, v46
	v_lshl_add_u32 v46, v53, 4, v46
	v_pack_b32_f16 v53, v62, v69
	v_mov_b32_e32 v69, 0
	v_and_b32_e32 v51, 0xffff, v51
	s_delay_alu instid0(VALU_DEP_1) | instskip(NEXT) | instid1(VALU_DEP_1)
	v_mul_u32_u24_e32 v51, 0x10001, v51
	v_pk_mul_f16 v51, v56, v51
	v_pack_b32_f16 v56, v60, v59
	v_lshl_or_b32 v60, v74, 7, v64
	ds_store_b128 v65, v[54:57]
	v_pack_b32_f16 v55, v67, v71
	v_pack_b32_f16 v54, v70, v68
	s_wait_alu 0xfffe
	v_dual_mov_b32 v58, s26 :: v_dual_mov_b32 v57, s25
	v_mov_b32_e32 v56, s24
	scratch_store_b32 off, v69, off
	ds_store_b128 v46, v[52:55]
	v_mul_lo_u32 v52, s10, v66
	v_lshl_or_b32 v46, v66, 7, v64
	scratch_store_b96 off, v[56:58], off offset:4
	v_ashrrev_i32_e32 v53, 31, v52
	s_delay_alu instid0(VALU_DEP_1) | instskip(SKIP_1) | instid1(VALU_DEP_2)
	v_lshlrev_b64_e32 v[53:54], 2, v[52:53]
	v_add_nc_u32_e32 v52, s6, v52
	v_add_co_u32 v53, vcc_lo, s14, v53
	s_wait_alu 0xfffd
	s_delay_alu instid0(VALU_DEP_3) | instskip(NEXT) | instid1(VALU_DEP_2)
	v_add_co_ci_u32_e64 v54, null, s15, v54, vcc_lo
	v_add_co_u32 v55, vcc_lo, v53, v64
	v_ashrrev_i32_e32 v53, 31, v52
	s_wait_alu 0xfffd
	s_delay_alu instid0(VALU_DEP_3) | instskip(NEXT) | instid1(VALU_DEP_2)
	v_add_co_ci_u32_e64 v59, null, 0, v54, vcc_lo
	v_lshlrev_b64_e32 v[53:54], 2, v[52:53]
	v_add_nc_u32_e32 v52, s6, v52
	s_delay_alu instid0(VALU_DEP_2) | instskip(SKIP_1) | instid1(VALU_DEP_3)
	v_add_co_u32 v53, vcc_lo, s14, v53
	s_wait_alu 0xfffd
	v_add_co_ci_u32_e64 v54, null, s15, v54, vcc_lo
	s_delay_alu instid0(VALU_DEP_2) | instskip(SKIP_2) | instid1(VALU_DEP_3)
	v_add_co_u32 v61, vcc_lo, v53, v64
	v_ashrrev_i32_e32 v53, 31, v52
	s_wait_alu 0xfffd
	v_add_co_ci_u32_e64 v62, null, 0, v54, vcc_lo
	s_delay_alu instid0(VALU_DEP_2) | instskip(SKIP_1) | instid1(VALU_DEP_2)
	v_lshlrev_b64_e32 v[53:54], 2, v[52:53]
	v_add_nc_u32_e32 v52, s6, v52
	v_add_co_u32 v53, vcc_lo, s14, v53
	s_wait_alu 0xfffd
	s_delay_alu instid0(VALU_DEP_3) | instskip(NEXT) | instid1(VALU_DEP_2)
	v_add_co_ci_u32_e64 v54, null, s15, v54, vcc_lo
	v_add_co_u32 v65, vcc_lo, v53, v64
	v_ashrrev_i32_e32 v53, 31, v52
	s_wait_alu 0xfffd
	s_delay_alu instid0(VALU_DEP_3) | instskip(NEXT) | instid1(VALU_DEP_2)
	v_add_co_ci_u32_e64 v66, null, 0, v54, vcc_lo
	v_lshlrev_b64_e32 v[52:53], 2, v[52:53]
	s_delay_alu instid0(VALU_DEP_1) | instskip(SKIP_1) | instid1(VALU_DEP_2)
	v_add_co_u32 v52, vcc_lo, s14, v52
	s_wait_alu 0xfffd
	v_add_co_ci_u32_e64 v53, null, s15, v53, vcc_lo
	s_delay_alu instid0(VALU_DEP_2) | instskip(SKIP_1) | instid1(VALU_DEP_2)
	v_add_co_u32 v67, vcc_lo, v52, v64
	s_wait_alu 0xfffd
	v_add_co_ci_u32_e64 v68, null, 0, v53, vcc_lo
	v_cndmask_b32_e64 v53, s7, v59, s5
	v_cndmask_b32_e64 v52, 0, v55, s5
	v_lshl_or_b32 v64, v76, 7, v64
	flat_load_b128 v[52:55], v[52:53]
	s_wait_loadcnt_dscnt 0x0
	ds_store_b128 v46, v[52:55]
	v_cndmask_b32_e64 v53, s7, v62, s4
	v_cndmask_b32_e64 v52, 0, v61, s4
	s_clause 0x1
	scratch_store_b32 off, v69, off
	scratch_store_b96 off, v[56:58], off offset:4
	flat_load_b128 v[52:55], v[52:53]
	s_wait_loadcnt_dscnt 0x0
	ds_store_b128 v60, v[52:55]
	v_cndmask_b32_e64 v53, s7, v66, s3
	v_cndmask_b32_e64 v52, 0, v65, s3
	s_clause 0x1
	scratch_store_b32 off, v69, off
	scratch_store_b96 off, v[56:58], off offset:4
	;; [unrolled: 8-line block ×3, first 2 shown]
	flat_load_b128 v[52:55], v[52:53]
	s_wait_loadcnt_dscnt 0x0
	ds_store_b128 v64, v[52:55]
	s_wait_storecnt_dscnt 0x0
	s_barrier_signal -1
	s_barrier_wait -1
	global_inv scope:SCOPE_SE
	ds_load_2addr_b32 v[68:69], v43 offset1:32
	ds_load_b128 v[52:55], v42 offset:9216
	ds_load_b128 v[56:59], v42 offset:9232
	;; [unrolled: 1-line block ×4, first 2 shown]
	s_wait_dscnt 0x3
	v_lshrrev_b32_e32 v46, 16, v52
	v_lshrrev_b32_e32 v70, 16, v53
	;; [unrolled: 1-line block ×4, first 2 shown]
	v_and_b32_e32 v54, 0xffff, v54
	v_and_b32_e32 v55, 0xffff, v55
	;; [unrolled: 1-line block ×3, first 2 shown]
	v_mul_u32_u24_e32 v46, 0x10001, v46
	v_mul_u32_u24_e32 v70, 0x10001, v70
	;; [unrolled: 1-line block ×7, first 2 shown]
	v_and_b32_e32 v53, 0xffff, v53
	v_pk_fma_f16 v9, v68, v46, v9
	v_pk_fma_f16 v46, v68, v70, v47
	;; [unrolled: 1-line block ×6, first 2 shown]
	s_wait_dscnt 0x2
	v_lshrrev_b32_e32 v51, 16, v56
	v_and_b32_e32 v55, 0xffff, v56
	v_mul_u32_u24_e32 v53, 0x10001, v53
	v_pk_fma_f16 v8, v68, v52, v8
	v_lshrrev_b32_e32 v52, 16, v57
	v_mul_u32_u24_e32 v51, 0x10001, v51
	v_mul_u32_u24_e32 v55, 0x10001, v55
	v_pk_fma_f16 v45, v68, v53, v45
	v_lshrrev_b32_e32 v53, 16, v58
	v_lshrrev_b32_e32 v54, 16, v59
	v_and_b32_e32 v56, 0xffff, v57
	v_and_b32_e32 v57, 0xffff, v58
	;; [unrolled: 1-line block ×3, first 2 shown]
	v_pk_fma_f16 v55, v69, v55, v8
	v_pk_fma_f16 v51, v69, v51, v9
	ds_load_2addr_b32 v[8:9], v43 offset0:64 offset1:96
	v_mul_u32_u24_e32 v56, 0x10001, v56
	v_mul_u32_u24_e32 v52, 0x10001, v52
	;; [unrolled: 1-line block ×6, first 2 shown]
	v_pk_fma_f16 v45, v69, v56, v45
	v_pk_fma_f16 v46, v69, v52, v46
	v_pk_fma_f16 v47, v69, v57, v47
	v_pk_fma_f16 v48, v69, v53, v48
	v_pk_fma_f16 v49, v69, v58, v49
	v_pk_fma_f16 v50, v69, v54, v50
	s_wait_dscnt 0x2
	v_lshrrev_b32_e32 v52, 16, v60
	v_lshrrev_b32_e32 v53, 16, v61
	;; [unrolled: 1-line block ×4, first 2 shown]
	v_and_b32_e32 v57, 0xffff, v60
	v_and_b32_e32 v58, 0xffff, v61
	;; [unrolled: 1-line block ×4, first 2 shown]
	v_mul_u32_u24_e32 v52, 0x10001, v52
	v_mul_u32_u24_e32 v57, 0x10001, v57
	;; [unrolled: 1-line block ×8, first 2 shown]
	s_wait_dscnt 0x0
	v_pk_fma_f16 v55, v8, v57, v55
	v_pk_fma_f16 v51, v8, v52, v51
	;; [unrolled: 1-line block ×8, first 2 shown]
	v_lshrrev_b32_e32 v50, 16, v64
	v_lshrrev_b32_e32 v52, 16, v65
	;; [unrolled: 1-line block ×4, first 2 shown]
	v_and_b32_e32 v56, 0xffff, v64
	v_and_b32_e32 v57, 0xffff, v65
	;; [unrolled: 1-line block ×4, first 2 shown]
	v_mul_u32_u24_e32 v50, 0x10001, v50
	v_mul_u32_u24_e32 v56, 0x10001, v56
	;; [unrolled: 1-line block ×8, first 2 shown]
	v_pk_fma_f16 v55, v9, v56, v55
	v_pk_fma_f16 v50, v9, v50, v51
	;; [unrolled: 1-line block ×8, first 2 shown]
	ds_load_2addr_b32 v[8:9], v43 offset0:128 offset1:160
	ds_load_b128 v[45:48], v42 offset:9280
	v_mov_b32_e32 v68, v12
	v_mov_b32_e32 v70, v11
	v_dual_mov_b32 v72, v16 :: v_dual_mov_b32 v67, v13
	v_mov_b32_e32 v69, v10
	v_mov_b32_e32 v71, v17
	s_wait_dscnt 0x0
	v_lshrrev_b32_e32 v57, 16, v45
	v_lshrrev_b32_e32 v58, 16, v46
	;; [unrolled: 1-line block ×4, first 2 shown]
	v_and_b32_e32 v45, 0xffff, v45
	v_and_b32_e32 v46, 0xffff, v46
	;; [unrolled: 1-line block ×4, first 2 shown]
	v_mul_u32_u24_e32 v57, 0x10001, v57
	v_mul_u32_u24_e32 v45, 0x10001, v45
	;; [unrolled: 1-line block ×6, first 2 shown]
	v_pk_fma_f16 v55, v8, v45, v55
	v_pk_fma_f16 v51, v8, v46, v51
	;; [unrolled: 1-line block ×4, first 2 shown]
	ds_load_b128 v[45:48], v42 offset:9296
	v_mul_u32_u24_e32 v59, 0x10001, v59
	v_mul_u32_u24_e32 v60, 0x10001, v60
	v_pk_fma_f16 v50, v8, v57, v50
	v_pk_fma_f16 v52, v8, v58, v52
	s_delay_alu instid0(VALU_DEP_4) | instskip(NEXT) | instid1(VALU_DEP_4)
	v_pk_fma_f16 v53, v8, v59, v53
	v_pk_fma_f16 v8, v8, v60, v54
	s_wait_dscnt 0x0
	v_lshrrev_b32_e32 v54, 16, v45
	v_lshrrev_b32_e32 v57, 16, v46
	;; [unrolled: 1-line block ×4, first 2 shown]
	v_and_b32_e32 v45, 0xffff, v45
	v_and_b32_e32 v46, 0xffff, v46
	;; [unrolled: 1-line block ×4, first 2 shown]
	v_mul_u32_u24_e32 v54, 0x10001, v54
	v_mul_u32_u24_e32 v45, 0x10001, v45
	;; [unrolled: 1-line block ×8, first 2 shown]
	v_pk_fma_f16 v55, v9, v45, v55
	v_pk_fma_f16 v50, v9, v54, v50
	;; [unrolled: 1-line block ×8, first 2 shown]
	ds_load_2addr_b32 v[8:9], v43 offset0:192 offset1:224
	ds_load_b128 v[45:48], v42 offset:9312
	s_wait_dscnt 0x0
	v_lshrrev_b32_e32 v57, 16, v45
	v_lshrrev_b32_e32 v58, 16, v46
	;; [unrolled: 1-line block ×4, first 2 shown]
	v_and_b32_e32 v45, 0xffff, v45
	v_and_b32_e32 v46, 0xffff, v46
	;; [unrolled: 1-line block ×4, first 2 shown]
	v_mul_u32_u24_e32 v57, 0x10001, v57
	v_mul_u32_u24_e32 v45, 0x10001, v45
	;; [unrolled: 1-line block ×6, first 2 shown]
	v_pk_fma_f16 v55, v8, v45, v55
	v_pk_fma_f16 v51, v8, v46, v51
	;; [unrolled: 1-line block ×4, first 2 shown]
	ds_load_b128 v[45:48], v42 offset:9328
	v_mul_u32_u24_e32 v59, 0x10001, v59
	v_mul_u32_u24_e32 v60, 0x10001, v60
	v_pk_fma_f16 v50, v8, v57, v50
	v_pk_fma_f16 v52, v8, v58, v52
	s_delay_alu instid0(VALU_DEP_4) | instskip(NEXT) | instid1(VALU_DEP_4)
	v_pk_fma_f16 v53, v8, v59, v53
	v_pk_fma_f16 v8, v8, v60, v56
	s_wait_dscnt 0x0
	v_lshrrev_b32_e32 v57, 16, v46
	v_lshrrev_b32_e32 v56, 16, v45
	;; [unrolled: 1-line block ×4, first 2 shown]
	v_and_b32_e32 v45, 0xffff, v45
	v_and_b32_e32 v46, 0xffff, v46
	v_mul_u32_u24_e32 v57, 0x10001, v57
	v_and_b32_e32 v47, 0xffff, v47
	v_and_b32_e32 v48, 0xffff, v48
	v_mul_u32_u24_e32 v45, 0x10001, v45
	v_mul_u32_u24_e32 v56, 0x10001, v56
	;; [unrolled: 1-line block ×7, first 2 shown]
	v_pk_fma_f16 v52, v9, v57, v52
	v_add_nc_u32_e32 v57, 0x400, v43
	v_pk_fma_f16 v55, v9, v45, v55
	v_pk_fma_f16 v50, v9, v56, v50
	;; [unrolled: 1-line block ×7, first 2 shown]
	ds_load_2addr_b32 v[8:9], v57 offset1:32
	ds_load_b128 v[45:48], v42 offset:9344
	s_wait_dscnt 0x0
	v_lshrrev_b32_e32 v58, 16, v45
	v_lshrrev_b32_e32 v59, 16, v46
	;; [unrolled: 1-line block ×4, first 2 shown]
	v_and_b32_e32 v45, 0xffff, v45
	v_and_b32_e32 v46, 0xffff, v46
	;; [unrolled: 1-line block ×4, first 2 shown]
	v_mul_u32_u24_e32 v58, 0x10001, v58
	v_mul_u32_u24_e32 v45, 0x10001, v45
	;; [unrolled: 1-line block ×6, first 2 shown]
	v_pk_fma_f16 v55, v8, v45, v55
	v_pk_fma_f16 v51, v8, v46, v51
	;; [unrolled: 1-line block ×4, first 2 shown]
	ds_load_b128 v[45:48], v42 offset:9360
	v_mul_u32_u24_e32 v60, 0x10001, v60
	v_mul_u32_u24_e32 v61, 0x10001, v61
	v_pk_fma_f16 v50, v8, v58, v50
	v_pk_fma_f16 v52, v8, v59, v52
	s_delay_alu instid0(VALU_DEP_4) | instskip(NEXT) | instid1(VALU_DEP_4)
	v_pk_fma_f16 v53, v8, v60, v53
	v_pk_fma_f16 v8, v8, v61, v56
	s_wait_dscnt 0x0
	v_lshrrev_b32_e32 v56, 16, v45
	v_lshrrev_b32_e32 v58, 16, v46
	;; [unrolled: 1-line block ×4, first 2 shown]
	v_and_b32_e32 v45, 0xffff, v45
	v_and_b32_e32 v46, 0xffff, v46
	;; [unrolled: 1-line block ×4, first 2 shown]
	v_mul_u32_u24_e32 v56, 0x10001, v56
	v_mul_u32_u24_e32 v45, 0x10001, v45
	;; [unrolled: 1-line block ×8, first 2 shown]
	v_pk_fma_f16 v55, v9, v45, v55
	v_pk_fma_f16 v50, v9, v56, v50
	;; [unrolled: 1-line block ×8, first 2 shown]
	ds_load_2addr_b32 v[8:9], v57 offset0:64 offset1:96
	ds_load_b128 v[45:48], v42 offset:9376
	v_mov_b32_e32 v65, v15
	s_wait_dscnt 0x0
	v_lshrrev_b32_e32 v58, 16, v45
	v_lshrrev_b32_e32 v59, 16, v46
	;; [unrolled: 1-line block ×4, first 2 shown]
	v_and_b32_e32 v45, 0xffff, v45
	v_and_b32_e32 v46, 0xffff, v46
	;; [unrolled: 1-line block ×4, first 2 shown]
	v_mul_u32_u24_e32 v58, 0x10001, v58
	v_mul_u32_u24_e32 v45, 0x10001, v45
	;; [unrolled: 1-line block ×6, first 2 shown]
	v_pk_fma_f16 v55, v8, v45, v55
	v_pk_fma_f16 v51, v8, v46, v51
	;; [unrolled: 1-line block ×4, first 2 shown]
	ds_load_b128 v[45:48], v42 offset:9392
	v_mul_u32_u24_e32 v60, 0x10001, v60
	v_mul_u32_u24_e32 v61, 0x10001, v61
	v_pk_fma_f16 v50, v8, v58, v50
	v_pk_fma_f16 v52, v8, v59, v52
	s_delay_alu instid0(VALU_DEP_4) | instskip(NEXT) | instid1(VALU_DEP_4)
	v_pk_fma_f16 v53, v8, v60, v53
	v_pk_fma_f16 v8, v8, v61, v56
	s_wait_dscnt 0x0
	v_lshrrev_b32_e32 v56, 16, v45
	v_lshrrev_b32_e32 v58, 16, v46
	v_lshrrev_b32_e32 v59, 16, v47
	v_lshrrev_b32_e32 v60, 16, v48
	v_and_b32_e32 v45, 0xffff, v45
	v_and_b32_e32 v46, 0xffff, v46
	;; [unrolled: 1-line block ×4, first 2 shown]
	v_mul_u32_u24_e32 v56, 0x10001, v56
	v_mul_u32_u24_e32 v45, 0x10001, v45
	;; [unrolled: 1-line block ×8, first 2 shown]
	v_pk_fma_f16 v55, v9, v45, v55
	v_pk_fma_f16 v50, v9, v56, v50
	;; [unrolled: 1-line block ×8, first 2 shown]
	ds_load_2addr_b32 v[8:9], v57 offset0:128 offset1:160
	ds_load_b128 v[45:48], v42 offset:9408
	s_wait_dscnt 0x0
	v_lshrrev_b32_e32 v58, 16, v45
	v_lshrrev_b32_e32 v59, 16, v46
	;; [unrolled: 1-line block ×4, first 2 shown]
	v_and_b32_e32 v45, 0xffff, v45
	v_and_b32_e32 v46, 0xffff, v46
	;; [unrolled: 1-line block ×4, first 2 shown]
	v_mul_u32_u24_e32 v58, 0x10001, v58
	v_mul_u32_u24_e32 v45, 0x10001, v45
	;; [unrolled: 1-line block ×6, first 2 shown]
	v_pk_fma_f16 v55, v8, v45, v55
	v_pk_fma_f16 v51, v8, v46, v51
	v_pk_fma_f16 v54, v8, v47, v54
	v_pk_fma_f16 v49, v8, v48, v49
	ds_load_b128 v[45:48], v42 offset:9424
	v_mul_u32_u24_e32 v60, 0x10001, v60
	v_mul_u32_u24_e32 v61, 0x10001, v61
	v_pk_fma_f16 v50, v8, v58, v50
	v_pk_fma_f16 v52, v8, v59, v52
	s_delay_alu instid0(VALU_DEP_4) | instskip(NEXT) | instid1(VALU_DEP_4)
	v_pk_fma_f16 v53, v8, v60, v53
	v_pk_fma_f16 v8, v8, v61, v56
	s_wait_dscnt 0x0
	v_lshrrev_b32_e32 v56, 16, v45
	v_lshrrev_b32_e32 v58, 16, v46
	;; [unrolled: 1-line block ×4, first 2 shown]
	v_and_b32_e32 v45, 0xffff, v45
	v_and_b32_e32 v46, 0xffff, v46
	;; [unrolled: 1-line block ×4, first 2 shown]
	v_mul_u32_u24_e32 v56, 0x10001, v56
	v_mul_u32_u24_e32 v45, 0x10001, v45
	;; [unrolled: 1-line block ×8, first 2 shown]
	v_pk_fma_f16 v55, v9, v45, v55
	v_pk_fma_f16 v50, v9, v56, v50
	;; [unrolled: 1-line block ×8, first 2 shown]
	ds_load_2addr_b32 v[8:9], v57 offset0:192 offset1:224
	ds_load_b128 v[45:48], v42 offset:9440
	s_wait_dscnt 0x0
	v_lshrrev_b32_e32 v57, 16, v45
	v_lshrrev_b32_e32 v58, 16, v46
	;; [unrolled: 1-line block ×4, first 2 shown]
	v_and_b32_e32 v45, 0xffff, v45
	v_and_b32_e32 v46, 0xffff, v46
	;; [unrolled: 1-line block ×4, first 2 shown]
	v_mul_u32_u24_e32 v57, 0x10001, v57
	v_mul_u32_u24_e32 v45, 0x10001, v45
	;; [unrolled: 1-line block ×6, first 2 shown]
	v_pk_fma_f16 v55, v8, v45, v55
	v_pk_fma_f16 v51, v8, v46, v51
	;; [unrolled: 1-line block ×4, first 2 shown]
	ds_load_b128 v[45:48], v42 offset:9456
	v_mul_u32_u24_e32 v59, 0x10001, v59
	v_mul_u32_u24_e32 v60, 0x10001, v60
	v_pk_fma_f16 v50, v8, v57, v50
	v_pk_fma_f16 v52, v8, v58, v52
	s_delay_alu instid0(VALU_DEP_4) | instskip(NEXT) | instid1(VALU_DEP_4)
	v_pk_fma_f16 v53, v8, v59, v53
	v_pk_fma_f16 v8, v8, v60, v56
	s_wait_dscnt 0x0
	v_lshrrev_b32_e32 v56, 16, v45
	v_lshrrev_b32_e32 v57, 16, v46
	;; [unrolled: 1-line block ×4, first 2 shown]
	v_and_b32_e32 v45, 0xffff, v45
	v_and_b32_e32 v46, 0xffff, v46
	;; [unrolled: 1-line block ×4, first 2 shown]
	v_mul_u32_u24_e32 v56, 0x10001, v56
	v_mul_u32_u24_e32 v45, 0x10001, v45
	v_mul_u32_u24_e32 v46, 0x10001, v46
	v_mul_u32_u24_e32 v57, 0x10001, v57
	v_mul_u32_u24_e32 v47, 0x10001, v47
	v_mul_u32_u24_e32 v58, 0x10001, v58
	v_mul_u32_u24_e32 v48, 0x10001, v48
	v_mul_u32_u24_e32 v59, 0x10001, v59
	v_pk_fma_f16 v55, v9, v45, v55
	v_pk_fma_f16 v56, v9, v56, v50
	;; [unrolled: 1-line block ×8, first 2 shown]
	v_add_nc_u32_e32 v8, 0x800, v43
	ds_load_2addr_b32 v[49:50], v8 offset1:32
	ds_load_b128 v[45:48], v42 offset:9472
	s_wait_dscnt 0x0
	v_lshrrev_b32_e32 v58, 16, v45
	v_lshrrev_b32_e32 v59, 16, v46
	v_lshrrev_b32_e32 v60, 16, v47
	v_lshrrev_b32_e32 v61, 16, v48
	v_and_b32_e32 v45, 0xffff, v45
	v_and_b32_e32 v46, 0xffff, v46
	v_and_b32_e32 v47, 0xffff, v47
	v_and_b32_e32 v48, 0xffff, v48
	v_mul_u32_u24_e32 v58, 0x10001, v58
	v_mul_u32_u24_e32 v45, 0x10001, v45
	v_mul_u32_u24_e32 v46, 0x10001, v46
	v_mul_u32_u24_e32 v47, 0x10001, v47
	v_mul_u32_u24_e32 v48, 0x10001, v48
	v_mul_u32_u24_e32 v59, 0x10001, v59
	v_pk_fma_f16 v55, v49, v45, v55
	v_pk_fma_f16 v51, v49, v46, v51
	v_pk_fma_f16 v54, v49, v47, v54
	v_pk_fma_f16 v57, v49, v48, v57
	ds_load_b128 v[45:48], v42 offset:9488
	v_mul_u32_u24_e32 v60, 0x10001, v60
	v_mul_u32_u24_e32 v61, 0x10001, v61
	v_pk_fma_f16 v56, v49, v58, v56
	v_pk_fma_f16 v52, v49, v59, v52
	s_delay_alu instid0(VALU_DEP_4) | instskip(NEXT) | instid1(VALU_DEP_4)
	v_pk_fma_f16 v53, v49, v60, v53
	v_pk_fma_f16 v9, v49, v61, v9
	s_wait_dscnt 0x0
	v_lshrrev_b32_e32 v49, 16, v45
	v_lshrrev_b32_e32 v58, 16, v46
	v_lshrrev_b32_e32 v59, 16, v47
	v_lshrrev_b32_e32 v60, 16, v48
	v_and_b32_e32 v45, 0xffff, v45
	v_and_b32_e32 v46, 0xffff, v46
	v_and_b32_e32 v47, 0xffff, v47
	v_and_b32_e32 v48, 0xffff, v48
	v_mul_u32_u24_e32 v49, 0x10001, v49
	v_mul_u32_u24_e32 v45, 0x10001, v45
	v_mul_u32_u24_e32 v46, 0x10001, v46
	v_mul_u32_u24_e32 v58, 0x10001, v58
	v_mul_u32_u24_e32 v47, 0x10001, v47
	v_mul_u32_u24_e32 v59, 0x10001, v59
	v_mul_u32_u24_e32 v48, 0x10001, v48
	v_mul_u32_u24_e32 v60, 0x10001, v60
	v_pk_fma_f16 v55, v50, v45, v55
	v_pk_fma_f16 v56, v50, v49, v56
	v_pk_fma_f16 v51, v50, v46, v51
	v_pk_fma_f16 v52, v50, v58, v52
	v_pk_fma_f16 v54, v50, v47, v54
	v_pk_fma_f16 v53, v50, v59, v53
	v_pk_fma_f16 v57, v50, v48, v57
	v_pk_fma_f16 v9, v50, v60, v9
	ds_load_2addr_b32 v[49:50], v8 offset0:64 offset1:96
	ds_load_b128 v[45:48], v42 offset:9504
	s_wait_dscnt 0x0
	v_lshrrev_b32_e32 v58, 16, v45
	v_lshrrev_b32_e32 v59, 16, v46
	v_lshrrev_b32_e32 v60, 16, v47
	v_lshrrev_b32_e32 v61, 16, v48
	v_and_b32_e32 v45, 0xffff, v45
	v_and_b32_e32 v46, 0xffff, v46
	v_and_b32_e32 v47, 0xffff, v47
	v_and_b32_e32 v48, 0xffff, v48
	v_mul_u32_u24_e32 v58, 0x10001, v58
	v_mul_u32_u24_e32 v45, 0x10001, v45
	v_mul_u32_u24_e32 v46, 0x10001, v46
	v_mul_u32_u24_e32 v47, 0x10001, v47
	v_mul_u32_u24_e32 v48, 0x10001, v48
	v_mul_u32_u24_e32 v59, 0x10001, v59
	v_pk_fma_f16 v55, v49, v45, v55
	v_pk_fma_f16 v51, v49, v46, v51
	v_pk_fma_f16 v54, v49, v47, v54
	v_pk_fma_f16 v57, v49, v48, v57
	ds_load_b128 v[45:48], v42 offset:9520
	v_mul_u32_u24_e32 v60, 0x10001, v60
	v_mul_u32_u24_e32 v61, 0x10001, v61
	v_pk_fma_f16 v56, v49, v58, v56
	v_pk_fma_f16 v52, v49, v59, v52
	s_delay_alu instid0(VALU_DEP_4) | instskip(NEXT) | instid1(VALU_DEP_4)
	v_pk_fma_f16 v53, v49, v60, v53
	v_pk_fma_f16 v9, v49, v61, v9
	s_wait_dscnt 0x0
	v_lshrrev_b32_e32 v49, 16, v45
	v_lshrrev_b32_e32 v58, 16, v46
	v_lshrrev_b32_e32 v59, 16, v47
	v_lshrrev_b32_e32 v60, 16, v48
	v_and_b32_e32 v45, 0xffff, v45
	v_and_b32_e32 v46, 0xffff, v46
	v_and_b32_e32 v47, 0xffff, v47
	v_and_b32_e32 v48, 0xffff, v48
	v_mul_u32_u24_e32 v49, 0x10001, v49
	v_mul_u32_u24_e32 v45, 0x10001, v45
	v_mul_u32_u24_e32 v46, 0x10001, v46
	v_mul_u32_u24_e32 v58, 0x10001, v58
	v_mul_u32_u24_e32 v47, 0x10001, v47
	v_mul_u32_u24_e32 v59, 0x10001, v59
	v_mul_u32_u24_e32 v48, 0x10001, v48
	v_mul_u32_u24_e32 v60, 0x10001, v60
	v_pk_fma_f16 v55, v50, v45, v55
	v_pk_fma_f16 v56, v50, v49, v56
	v_pk_fma_f16 v51, v50, v46, v51
	v_pk_fma_f16 v52, v50, v58, v52
	v_pk_fma_f16 v54, v50, v47, v54
	v_pk_fma_f16 v53, v50, v59, v53
	v_pk_fma_f16 v57, v50, v48, v57
	v_pk_fma_f16 v9, v50, v60, v9
	ds_load_2addr_b32 v[49:50], v8 offset0:128 offset1:160
	;; [unrolled: 54-line block ×3, first 2 shown]
	ds_load_b128 v[45:48], v42 offset:9568
	s_wait_dscnt 0x0
	v_lshrrev_b32_e32 v57, 16, v45
	v_lshrrev_b32_e32 v58, 16, v46
	;; [unrolled: 1-line block ×4, first 2 shown]
	v_and_b32_e32 v45, 0xffff, v45
	v_and_b32_e32 v46, 0xffff, v46
	;; [unrolled: 1-line block ×4, first 2 shown]
	v_mul_u32_u24_e32 v57, 0x10001, v57
	v_mul_u32_u24_e32 v45, 0x10001, v45
	;; [unrolled: 1-line block ×6, first 2 shown]
	v_pk_fma_f16 v55, v8, v45, v55
	v_pk_fma_f16 v51, v8, v46, v51
	;; [unrolled: 1-line block ×4, first 2 shown]
	ds_load_b128 v[45:48], v42 offset:9584
	v_mul_u32_u24_e32 v59, 0x10001, v59
	v_mul_u32_u24_e32 v60, 0x10001, v60
	v_pk_fma_f16 v49, v8, v57, v49
	v_pk_fma_f16 v52, v8, v58, v52
	s_delay_alu instid0(VALU_DEP_4) | instskip(NEXT) | instid1(VALU_DEP_4)
	v_pk_fma_f16 v53, v8, v59, v53
	v_pk_fma_f16 v8, v8, v60, v50
	s_wait_dscnt 0x0
	v_lshrrev_b32_e32 v50, 16, v45
	v_lshrrev_b32_e32 v57, 16, v46
	v_and_b32_e32 v46, 0xffff, v46
	v_lshrrev_b32_e32 v58, 16, v47
	v_lshrrev_b32_e32 v59, 16, v48
	v_and_b32_e32 v45, 0xffff, v45
	v_mul_u32_u24_e32 v50, 0x10001, v50
	v_mul_u32_u24_e32 v46, 0x10001, v46
	;; [unrolled: 1-line block ×3, first 2 shown]
	v_and_b32_e32 v47, 0xffff, v47
	v_and_b32_e32 v48, 0xffff, v48
	v_mul_u32_u24_e32 v45, 0x10001, v45
	v_mul_u32_u24_e32 v58, 0x10001, v58
	;; [unrolled: 1-line block ×5, first 2 shown]
	v_pk_fma_f16 v49, v9, v50, v49
	v_pk_fma_f16 v50, v9, v46, v51
	;; [unrolled: 1-line block ×3, first 2 shown]
	v_add_nc_u32_e32 v57, 0xc00, v43
	v_pk_fma_f16 v55, v9, v45, v55
	v_pk_fma_f16 v52, v9, v47, v54
	;; [unrolled: 1-line block ×5, first 2 shown]
	ds_load_2addr_b32 v[8:9], v57 offset1:32
	ds_load_b128 v[45:48], v42 offset:9600
	s_wait_dscnt 0x0
	v_lshrrev_b32_e32 v58, 16, v45
	v_lshrrev_b32_e32 v59, 16, v46
	v_lshrrev_b32_e32 v60, 16, v47
	v_lshrrev_b32_e32 v61, 16, v48
	v_and_b32_e32 v45, 0xffff, v45
	v_and_b32_e32 v46, 0xffff, v46
	v_and_b32_e32 v47, 0xffff, v47
	v_and_b32_e32 v48, 0xffff, v48
	v_mul_u32_u24_e32 v58, 0x10001, v58
	v_mul_u32_u24_e32 v45, 0x10001, v45
	v_mul_u32_u24_e32 v46, 0x10001, v46
	v_mul_u32_u24_e32 v47, 0x10001, v47
	v_mul_u32_u24_e32 v48, 0x10001, v48
	v_mul_u32_u24_e32 v59, 0x10001, v59
	v_pk_fma_f16 v55, v8, v45, v55
	v_pk_fma_f16 v50, v8, v46, v50
	v_pk_fma_f16 v52, v8, v47, v52
	v_pk_fma_f16 v54, v8, v48, v54
	ds_load_b128 v[45:48], v42 offset:9616
	v_mul_u32_u24_e32 v60, 0x10001, v60
	v_mul_u32_u24_e32 v61, 0x10001, v61
	v_pk_fma_f16 v49, v8, v58, v49
	v_pk_fma_f16 v51, v8, v59, v51
	s_delay_alu instid0(VALU_DEP_4) | instskip(NEXT) | instid1(VALU_DEP_4)
	v_pk_fma_f16 v53, v8, v60, v53
	v_pk_fma_f16 v8, v8, v61, v56
	s_wait_dscnt 0x0
	v_lshrrev_b32_e32 v56, 16, v45
	v_lshrrev_b32_e32 v58, 16, v46
	v_lshrrev_b32_e32 v59, 16, v47
	v_lshrrev_b32_e32 v60, 16, v48
	v_and_b32_e32 v45, 0xffff, v45
	v_and_b32_e32 v46, 0xffff, v46
	v_and_b32_e32 v47, 0xffff, v47
	v_and_b32_e32 v48, 0xffff, v48
	v_mul_u32_u24_e32 v56, 0x10001, v56
	v_mul_u32_u24_e32 v45, 0x10001, v45
	v_mul_u32_u24_e32 v46, 0x10001, v46
	v_mul_u32_u24_e32 v58, 0x10001, v58
	v_mul_u32_u24_e32 v47, 0x10001, v47
	v_mul_u32_u24_e32 v59, 0x10001, v59
	v_mul_u32_u24_e32 v48, 0x10001, v48
	v_mul_u32_u24_e32 v60, 0x10001, v60
	v_pk_fma_f16 v55, v9, v45, v55
	v_pk_fma_f16 v49, v9, v56, v49
	v_pk_fma_f16 v50, v9, v46, v50
	v_pk_fma_f16 v51, v9, v58, v51
	v_pk_fma_f16 v52, v9, v47, v52
	v_pk_fma_f16 v53, v9, v59, v53
	v_pk_fma_f16 v54, v9, v48, v54
	v_pk_fma_f16 v56, v9, v60, v8
	ds_load_2addr_b32 v[8:9], v57 offset0:64 offset1:96
	ds_load_b128 v[45:48], v42 offset:9632
	s_wait_dscnt 0x0
	v_lshrrev_b32_e32 v58, 16, v45
	v_lshrrev_b32_e32 v59, 16, v46
	v_lshrrev_b32_e32 v60, 16, v47
	v_lshrrev_b32_e32 v61, 16, v48
	v_and_b32_e32 v45, 0xffff, v45
	v_and_b32_e32 v46, 0xffff, v46
	v_and_b32_e32 v47, 0xffff, v47
	v_and_b32_e32 v48, 0xffff, v48
	v_mul_u32_u24_e32 v58, 0x10001, v58
	v_mul_u32_u24_e32 v45, 0x10001, v45
	v_mul_u32_u24_e32 v46, 0x10001, v46
	v_mul_u32_u24_e32 v47, 0x10001, v47
	v_mul_u32_u24_e32 v48, 0x10001, v48
	v_mul_u32_u24_e32 v59, 0x10001, v59
	v_pk_fma_f16 v55, v8, v45, v55
	v_pk_fma_f16 v50, v8, v46, v50
	v_pk_fma_f16 v52, v8, v47, v52
	v_pk_fma_f16 v54, v8, v48, v54
	ds_load_b128 v[45:48], v42 offset:9648
	v_mul_u32_u24_e32 v60, 0x10001, v60
	v_mul_u32_u24_e32 v61, 0x10001, v61
	v_pk_fma_f16 v49, v8, v58, v49
	v_pk_fma_f16 v51, v8, v59, v51
	s_delay_alu instid0(VALU_DEP_4) | instskip(NEXT) | instid1(VALU_DEP_4)
	v_pk_fma_f16 v53, v8, v60, v53
	v_pk_fma_f16 v8, v8, v61, v56
	s_wait_dscnt 0x0
	v_lshrrev_b32_e32 v56, 16, v45
	v_lshrrev_b32_e32 v58, 16, v46
	v_lshrrev_b32_e32 v59, 16, v47
	v_lshrrev_b32_e32 v60, 16, v48
	v_and_b32_e32 v45, 0xffff, v45
	v_and_b32_e32 v46, 0xffff, v46
	v_and_b32_e32 v47, 0xffff, v47
	v_and_b32_e32 v48, 0xffff, v48
	v_mul_u32_u24_e32 v56, 0x10001, v56
	v_mul_u32_u24_e32 v45, 0x10001, v45
	v_mul_u32_u24_e32 v46, 0x10001, v46
	v_mul_u32_u24_e32 v58, 0x10001, v58
	v_mul_u32_u24_e32 v47, 0x10001, v47
	v_mul_u32_u24_e32 v59, 0x10001, v59
	v_mul_u32_u24_e32 v48, 0x10001, v48
	v_mul_u32_u24_e32 v60, 0x10001, v60
	v_pk_fma_f16 v55, v9, v45, v55
	v_pk_fma_f16 v49, v9, v56, v49
	v_pk_fma_f16 v50, v9, v46, v50
	v_pk_fma_f16 v51, v9, v58, v51
	v_pk_fma_f16 v52, v9, v47, v52
	v_pk_fma_f16 v53, v9, v59, v53
	v_pk_fma_f16 v54, v9, v48, v54
	v_pk_fma_f16 v56, v9, v60, v8
	ds_load_2addr_b32 v[8:9], v57 offset0:128 offset1:160
	;; [unrolled: 54-line block ×3, first 2 shown]
	ds_load_b128 v[45:48], v42 offset:9696
	s_wait_dscnt 0x0
	v_lshrrev_b32_e32 v57, 16, v45
	v_lshrrev_b32_e32 v58, 16, v46
	;; [unrolled: 1-line block ×4, first 2 shown]
	v_and_b32_e32 v45, 0xffff, v45
	v_and_b32_e32 v46, 0xffff, v46
	;; [unrolled: 1-line block ×4, first 2 shown]
	v_mul_u32_u24_e32 v57, 0x10001, v57
	v_mul_u32_u24_e32 v45, 0x10001, v45
	;; [unrolled: 1-line block ×6, first 2 shown]
	v_pk_fma_f16 v55, v8, v45, v55
	v_pk_fma_f16 v50, v8, v46, v50
	;; [unrolled: 1-line block ×4, first 2 shown]
	ds_load_b128 v[45:48], v42 offset:9712
	v_mul_u32_u24_e32 v59, 0x10001, v59
	v_mul_u32_u24_e32 v60, 0x10001, v60
	v_pk_fma_f16 v49, v8, v57, v49
	v_pk_fma_f16 v51, v8, v58, v51
	s_delay_alu instid0(VALU_DEP_4) | instskip(NEXT) | instid1(VALU_DEP_4)
	v_pk_fma_f16 v53, v8, v59, v53
	v_pk_fma_f16 v8, v8, v60, v56
	s_wait_dscnt 0x0
	v_lshrrev_b32_e32 v56, 16, v45
	v_lshrrev_b32_e32 v57, 16, v46
	;; [unrolled: 1-line block ×4, first 2 shown]
	v_and_b32_e32 v45, 0xffff, v45
	v_and_b32_e32 v46, 0xffff, v46
	;; [unrolled: 1-line block ×4, first 2 shown]
	v_mul_u32_u24_e32 v56, 0x10001, v56
	v_mul_u32_u24_e32 v45, 0x10001, v45
	;; [unrolled: 1-line block ×8, first 2 shown]
	v_pk_fma_f16 v55, v9, v45, v55
	v_pk_fma_f16 v56, v9, v56, v49
	;; [unrolled: 1-line block ×8, first 2 shown]
	v_add_nc_u32_e32 v8, 0x1000, v43
	ds_load_2addr_b32 v[49:50], v8 offset1:32
	ds_load_b128 v[45:48], v42 offset:9728
	s_wait_dscnt 0x0
	v_lshrrev_b32_e32 v57, 16, v45
	v_lshrrev_b32_e32 v58, 16, v46
	v_lshrrev_b32_e32 v59, 16, v47
	v_lshrrev_b32_e32 v61, 16, v48
	v_and_b32_e32 v45, 0xffff, v45
	v_and_b32_e32 v46, 0xffff, v46
	;; [unrolled: 1-line block ×4, first 2 shown]
	v_mul_u32_u24_e32 v57, 0x10001, v57
	v_mul_u32_u24_e32 v45, 0x10001, v45
	;; [unrolled: 1-line block ×5, first 2 shown]
	v_pk_fma_f16 v56, v49, v57, v56
	v_pk_fma_f16 v55, v49, v45, v55
	;; [unrolled: 1-line block ×5, first 2 shown]
	ds_load_b128 v[45:48], v42 offset:9744
	v_mul_u32_u24_e32 v58, 0x10001, v58
	v_mul_u32_u24_e32 v59, 0x10001, v59
	;; [unrolled: 1-line block ×3, first 2 shown]
	s_delay_alu instid0(VALU_DEP_3) | instskip(NEXT) | instid1(VALU_DEP_3)
	v_pk_fma_f16 v51, v49, v58, v51
	v_pk_fma_f16 v53, v49, v59, v53
	s_delay_alu instid0(VALU_DEP_3)
	v_pk_fma_f16 v9, v49, v61, v9
	s_wait_dscnt 0x0
	v_lshrrev_b32_e32 v49, 16, v45
	v_lshrrev_b32_e32 v58, 16, v46
	v_lshrrev_b32_e32 v59, 16, v47
	v_lshrrev_b32_e32 v60, 16, v48
	v_and_b32_e32 v45, 0xffff, v45
	v_and_b32_e32 v46, 0xffff, v46
	v_and_b32_e32 v47, 0xffff, v47
	v_and_b32_e32 v48, 0xffff, v48
	v_mul_u32_u24_e32 v49, 0x10001, v49
	v_mul_u32_u24_e32 v45, 0x10001, v45
	v_mul_u32_u24_e32 v46, 0x10001, v46
	v_mul_u32_u24_e32 v58, 0x10001, v58
	v_mul_u32_u24_e32 v47, 0x10001, v47
	v_mul_u32_u24_e32 v59, 0x10001, v59
	v_mul_u32_u24_e32 v48, 0x10001, v48
	v_mul_u32_u24_e32 v60, 0x10001, v60
	v_pk_fma_f16 v55, v50, v45, v55
	v_pk_fma_f16 v56, v50, v49, v56
	v_pk_fma_f16 v57, v50, v46, v57
	v_pk_fma_f16 v51, v50, v58, v51
	v_pk_fma_f16 v52, v50, v47, v52
	v_pk_fma_f16 v53, v50, v59, v53
	v_pk_fma_f16 v54, v50, v48, v54
	v_pk_fma_f16 v9, v50, v60, v9
	ds_load_2addr_b32 v[49:50], v8 offset0:64 offset1:96
	ds_load_b128 v[45:48], v42 offset:9760
	s_wait_dscnt 0x0
	v_lshrrev_b32_e32 v58, 16, v45
	v_lshrrev_b32_e32 v59, 16, v46
	v_lshrrev_b32_e32 v60, 16, v47
	v_lshrrev_b32_e32 v61, 16, v48
	v_and_b32_e32 v45, 0xffff, v45
	v_and_b32_e32 v46, 0xffff, v46
	v_and_b32_e32 v47, 0xffff, v47
	v_and_b32_e32 v48, 0xffff, v48
	v_mul_u32_u24_e32 v58, 0x10001, v58
	v_mul_u32_u24_e32 v45, 0x10001, v45
	v_mul_u32_u24_e32 v46, 0x10001, v46
	v_mul_u32_u24_e32 v47, 0x10001, v47
	v_mul_u32_u24_e32 v48, 0x10001, v48
	v_mul_u32_u24_e32 v59, 0x10001, v59
	v_pk_fma_f16 v55, v49, v45, v55
	v_pk_fma_f16 v57, v49, v46, v57
	v_pk_fma_f16 v52, v49, v47, v52
	v_pk_fma_f16 v54, v49, v48, v54
	ds_load_b128 v[45:48], v42 offset:9776
	v_mul_u32_u24_e32 v60, 0x10001, v60
	v_mul_u32_u24_e32 v61, 0x10001, v61
	v_pk_fma_f16 v56, v49, v58, v56
	v_pk_fma_f16 v51, v49, v59, v51
	s_delay_alu instid0(VALU_DEP_4) | instskip(NEXT) | instid1(VALU_DEP_4)
	v_pk_fma_f16 v53, v49, v60, v53
	v_pk_fma_f16 v9, v49, v61, v9
	s_wait_dscnt 0x0
	v_lshrrev_b32_e32 v49, 16, v45
	v_lshrrev_b32_e32 v58, 16, v46
	v_lshrrev_b32_e32 v59, 16, v47
	v_lshrrev_b32_e32 v60, 16, v48
	v_and_b32_e32 v45, 0xffff, v45
	v_and_b32_e32 v46, 0xffff, v46
	v_and_b32_e32 v47, 0xffff, v47
	v_and_b32_e32 v48, 0xffff, v48
	v_mul_u32_u24_e32 v49, 0x10001, v49
	v_mul_u32_u24_e32 v45, 0x10001, v45
	v_mul_u32_u24_e32 v46, 0x10001, v46
	v_mul_u32_u24_e32 v58, 0x10001, v58
	v_mul_u32_u24_e32 v47, 0x10001, v47
	v_mul_u32_u24_e32 v59, 0x10001, v59
	v_mul_u32_u24_e32 v48, 0x10001, v48
	v_mul_u32_u24_e32 v60, 0x10001, v60
	v_pk_fma_f16 v55, v50, v45, v55
	v_pk_fma_f16 v56, v50, v49, v56
	v_pk_fma_f16 v57, v50, v46, v57
	v_pk_fma_f16 v51, v50, v58, v51
	v_pk_fma_f16 v52, v50, v47, v52
	v_pk_fma_f16 v53, v50, v59, v53
	v_pk_fma_f16 v54, v50, v48, v54
	v_pk_fma_f16 v9, v50, v60, v9
	ds_load_2addr_b32 v[49:50], v8 offset0:128 offset1:160
	ds_load_b128 v[45:48], v42 offset:9792
	s_wait_dscnt 0x0
	v_lshrrev_b32_e32 v58, 16, v45
	v_lshrrev_b32_e32 v59, 16, v46
	v_lshrrev_b32_e32 v60, 16, v47
	v_lshrrev_b32_e32 v61, 16, v48
	v_and_b32_e32 v45, 0xffff, v45
	v_and_b32_e32 v46, 0xffff, v46
	v_and_b32_e32 v47, 0xffff, v47
	v_and_b32_e32 v48, 0xffff, v48
	v_mul_u32_u24_e32 v58, 0x10001, v58
	v_mul_u32_u24_e32 v45, 0x10001, v45
	v_mul_u32_u24_e32 v46, 0x10001, v46
	v_mul_u32_u24_e32 v47, 0x10001, v47
	v_mul_u32_u24_e32 v48, 0x10001, v48
	v_mul_u32_u24_e32 v59, 0x10001, v59
	v_pk_fma_f16 v55, v49, v45, v55
	v_pk_fma_f16 v57, v49, v46, v57
	v_pk_fma_f16 v52, v49, v47, v52
	v_pk_fma_f16 v54, v49, v48, v54
	ds_load_b128 v[45:48], v42 offset:9808
	v_mul_u32_u24_e32 v60, 0x10001, v60
	v_mul_u32_u24_e32 v61, 0x10001, v61
	v_pk_fma_f16 v56, v49, v58, v56
	v_pk_fma_f16 v51, v49, v59, v51
	s_delay_alu instid0(VALU_DEP_4) | instskip(NEXT) | instid1(VALU_DEP_4)
	v_pk_fma_f16 v53, v49, v60, v53
	;; [unrolled: 54-line block ×3, first 2 shown]
	v_pk_fma_f16 v8, v8, v60, v50
	s_wait_dscnt 0x0
	v_lshrrev_b32_e32 v50, 16, v45
	v_lshrrev_b32_e32 v57, 16, v46
	;; [unrolled: 1-line block ×4, first 2 shown]
	v_and_b32_e32 v45, 0xffff, v45
	v_and_b32_e32 v46, 0xffff, v46
	v_and_b32_e32 v47, 0xffff, v47
	v_and_b32_e32 v48, 0xffff, v48
	v_mul_u32_u24_e32 v50, 0x10001, v50
	v_mul_u32_u24_e32 v45, 0x10001, v45
	;; [unrolled: 1-line block ×8, first 2 shown]
	v_pk_fma_f16 v55, v9, v45, v55
	v_pk_fma_f16 v60, v9, v50, v49
	;; [unrolled: 1-line block ×8, first 2 shown]
	v_add_nc_u32_e32 v8, 0x1400, v43
	ds_load_2addr_b32 v[49:50], v8 offset1:32
	ds_load_b128 v[45:48], v42 offset:9856
	s_wait_dscnt 0x0
	v_lshrrev_b32_e32 v57, 16, v45
	v_lshrrev_b32_e32 v58, 16, v46
	v_lshrrev_b32_e32 v59, 16, v47
	v_lshrrev_b32_e32 v61, 16, v48
	v_and_b32_e32 v45, 0xffff, v45
	v_and_b32_e32 v46, 0xffff, v46
	v_and_b32_e32 v47, 0xffff, v47
	v_and_b32_e32 v48, 0xffff, v48
	v_mul_u32_u24_e32 v57, 0x10001, v57
	v_mul_u32_u24_e32 v45, 0x10001, v45
	v_mul_u32_u24_e32 v46, 0x10001, v46
	v_mul_u32_u24_e32 v47, 0x10001, v47
	v_mul_u32_u24_e32 v48, 0x10001, v48
	v_mul_u32_u24_e32 v58, 0x10001, v58
	v_pk_fma_f16 v55, v49, v45, v55
	v_pk_fma_f16 v56, v49, v46, v56
	v_pk_fma_f16 v52, v49, v47, v52
	v_pk_fma_f16 v54, v49, v48, v54
	ds_load_b128 v[45:48], v42 offset:9872
	v_mul_u32_u24_e32 v59, 0x10001, v59
	v_mul_u32_u24_e32 v61, 0x10001, v61
	v_pk_fma_f16 v57, v49, v57, v60
	v_pk_fma_f16 v51, v49, v58, v51
	s_delay_alu instid0(VALU_DEP_4) | instskip(NEXT) | instid1(VALU_DEP_4)
	v_pk_fma_f16 v53, v49, v59, v53
	v_pk_fma_f16 v9, v49, v61, v9
	s_wait_dscnt 0x0
	v_lshrrev_b32_e32 v49, 16, v45
	v_lshrrev_b32_e32 v58, 16, v46
	v_lshrrev_b32_e32 v59, 16, v47
	v_lshrrev_b32_e32 v60, 16, v48
	v_and_b32_e32 v45, 0xffff, v45
	v_and_b32_e32 v46, 0xffff, v46
	v_and_b32_e32 v47, 0xffff, v47
	v_and_b32_e32 v48, 0xffff, v48
	v_mul_u32_u24_e32 v49, 0x10001, v49
	v_mul_u32_u24_e32 v45, 0x10001, v45
	v_mul_u32_u24_e32 v46, 0x10001, v46
	v_mul_u32_u24_e32 v58, 0x10001, v58
	v_mul_u32_u24_e32 v47, 0x10001, v47
	v_mul_u32_u24_e32 v59, 0x10001, v59
	v_mul_u32_u24_e32 v48, 0x10001, v48
	v_mul_u32_u24_e32 v60, 0x10001, v60
	v_pk_fma_f16 v55, v50, v45, v55
	v_pk_fma_f16 v57, v50, v49, v57
	v_pk_fma_f16 v56, v50, v46, v56
	v_pk_fma_f16 v51, v50, v58, v51
	v_pk_fma_f16 v52, v50, v47, v52
	v_pk_fma_f16 v53, v50, v59, v53
	v_pk_fma_f16 v54, v50, v48, v54
	v_pk_fma_f16 v9, v50, v60, v9
	ds_load_2addr_b32 v[49:50], v8 offset0:64 offset1:96
	ds_load_b128 v[45:48], v42 offset:9888
	s_wait_dscnt 0x0
	v_lshrrev_b32_e32 v58, 16, v45
	v_lshrrev_b32_e32 v59, 16, v46
	v_lshrrev_b32_e32 v60, 16, v47
	v_lshrrev_b32_e32 v61, 16, v48
	v_and_b32_e32 v45, 0xffff, v45
	v_and_b32_e32 v46, 0xffff, v46
	v_and_b32_e32 v47, 0xffff, v47
	v_and_b32_e32 v48, 0xffff, v48
	v_mul_u32_u24_e32 v58, 0x10001, v58
	v_mul_u32_u24_e32 v45, 0x10001, v45
	v_mul_u32_u24_e32 v46, 0x10001, v46
	v_mul_u32_u24_e32 v47, 0x10001, v47
	v_mul_u32_u24_e32 v48, 0x10001, v48
	v_mul_u32_u24_e32 v59, 0x10001, v59
	v_pk_fma_f16 v55, v49, v45, v55
	v_pk_fma_f16 v56, v49, v46, v56
	v_pk_fma_f16 v52, v49, v47, v52
	v_pk_fma_f16 v54, v49, v48, v54
	ds_load_b128 v[45:48], v42 offset:9904
	v_mul_u32_u24_e32 v60, 0x10001, v60
	v_mul_u32_u24_e32 v61, 0x10001, v61
	v_pk_fma_f16 v57, v49, v58, v57
	v_pk_fma_f16 v51, v49, v59, v51
	s_delay_alu instid0(VALU_DEP_4) | instskip(NEXT) | instid1(VALU_DEP_4)
	v_pk_fma_f16 v53, v49, v60, v53
	v_pk_fma_f16 v9, v49, v61, v9
	s_wait_dscnt 0x0
	v_lshrrev_b32_e32 v49, 16, v45
	v_lshrrev_b32_e32 v58, 16, v46
	v_lshrrev_b32_e32 v59, 16, v47
	v_lshrrev_b32_e32 v60, 16, v48
	v_and_b32_e32 v45, 0xffff, v45
	v_and_b32_e32 v46, 0xffff, v46
	v_and_b32_e32 v47, 0xffff, v47
	v_and_b32_e32 v48, 0xffff, v48
	v_mul_u32_u24_e32 v49, 0x10001, v49
	v_mul_u32_u24_e32 v45, 0x10001, v45
	v_mul_u32_u24_e32 v46, 0x10001, v46
	v_mul_u32_u24_e32 v58, 0x10001, v58
	v_mul_u32_u24_e32 v47, 0x10001, v47
	v_mul_u32_u24_e32 v59, 0x10001, v59
	v_mul_u32_u24_e32 v48, 0x10001, v48
	v_mul_u32_u24_e32 v60, 0x10001, v60
	v_pk_fma_f16 v55, v50, v45, v55
	v_pk_fma_f16 v57, v50, v49, v57
	v_pk_fma_f16 v56, v50, v46, v56
	v_pk_fma_f16 v51, v50, v58, v51
	v_pk_fma_f16 v52, v50, v47, v52
	v_pk_fma_f16 v53, v50, v59, v53
	v_pk_fma_f16 v54, v50, v48, v54
	v_pk_fma_f16 v9, v50, v60, v9
	ds_load_2addr_b32 v[49:50], v8 offset0:128 offset1:160
	;; [unrolled: 54-line block ×3, first 2 shown]
	ds_load_b128 v[45:48], v42 offset:9952
	s_wait_dscnt 0x0
	v_lshrrev_b32_e32 v57, 16, v45
	v_lshrrev_b32_e32 v58, 16, v46
	v_lshrrev_b32_e32 v59, 16, v47
	v_lshrrev_b32_e32 v60, 16, v48
	v_and_b32_e32 v45, 0xffff, v45
	v_and_b32_e32 v46, 0xffff, v46
	;; [unrolled: 1-line block ×4, first 2 shown]
	v_mul_u32_u24_e32 v58, 0x10001, v58
	v_mul_u32_u24_e32 v45, 0x10001, v45
	;; [unrolled: 1-line block ×5, first 2 shown]
	v_pk_fma_f16 v51, v8, v58, v51
	v_pk_fma_f16 v55, v8, v45, v55
	;; [unrolled: 1-line block ×5, first 2 shown]
	ds_load_b128 v[45:48], v42 offset:9968
	v_mul_u32_u24_e32 v57, 0x10001, v57
	v_mul_u32_u24_e32 v59, 0x10001, v59
	;; [unrolled: 1-line block ×3, first 2 shown]
	s_delay_alu instid0(VALU_DEP_3) | instskip(NEXT) | instid1(VALU_DEP_3)
	v_pk_fma_f16 v49, v8, v57, v49
	v_pk_fma_f16 v57, v8, v59, v53
	s_delay_alu instid0(VALU_DEP_3)
	v_pk_fma_f16 v8, v8, v60, v50
	s_wait_dscnt 0x0
	v_lshrrev_b32_e32 v53, 16, v46
	v_and_b32_e32 v46, 0xffff, v46
	v_lshrrev_b32_e32 v50, 16, v45
	v_and_b32_e32 v45, 0xffff, v45
	v_lshrrev_b32_e32 v54, 16, v47
	v_lshrrev_b32_e32 v59, 16, v48
	v_mul_u32_u24_e32 v60, 0x10001, v46
	v_and_b32_e32 v46, 0xffff, v47
	v_mul_u32_u24_e32 v45, 0x10001, v45
	v_mul_u32_u24_e32 v50, 0x10001, v50
	;; [unrolled: 1-line block ×5, first 2 shown]
	v_and_b32_e32 v46, 0xffff, v48
	v_mul_u32_u24_e32 v59, 0x10001, v59
	v_pk_fma_f16 v47, v9, v50, v49
	v_pk_fma_f16 v48, v9, v60, v56
	;; [unrolled: 1-line block ×3, first 2 shown]
	v_mul_u32_u24_e32 v62, 0x10001, v46
	v_pk_fma_f16 v46, v9, v45, v55
	v_add_nc_u32_e32 v45, 0x1800, v43
	v_pk_fma_f16 v53, v9, v61, v52
	v_pk_fma_f16 v54, v9, v54, v57
	;; [unrolled: 1-line block ×4, first 2 shown]
	ds_load_2addr_b32 v[8:9], v45 offset1:32
	ds_load_b128 v[57:60], v42 offset:9984
	s_wait_dscnt 0x0
	v_lshrrev_b32_e32 v51, 16, v58
	v_lshrrev_b32_e32 v50, 16, v57
	;; [unrolled: 1-line block ×4, first 2 shown]
	v_and_b32_e32 v57, 0xffff, v57
	v_mul_u32_u24_e32 v62, 0x10001, v51
	v_and_b32_e32 v51, 0xffff, v59
	v_and_b32_e32 v58, 0xffff, v58
	v_mul_u32_u24_e32 v50, 0x10001, v50
	v_mul_u32_u24_e32 v57, 0x10001, v57
	v_mul_u32_u24_e32 v63, 0x10001, v52
	v_mul_u32_u24_e32 v59, 0x10001, v51
	v_and_b32_e32 v51, 0xffff, v60
	v_mul_u32_u24_e32 v58, 0x10001, v58
	v_mul_u32_u24_e32 v61, 0x10001, v61
	v_pk_fma_f16 v52, v8, v57, v46
	v_pk_fma_f16 v49, v8, v62, v49
	v_mul_u32_u24_e32 v60, 0x10001, v51
	v_pk_fma_f16 v51, v8, v50, v47
	v_pk_fma_f16 v50, v8, v58, v48
	;; [unrolled: 1-line block ×6, first 2 shown]
	ds_load_b128 v[53:56], v42 offset:10000
	s_wait_dscnt 0x0
	v_lshrrev_b32_e32 v57, 16, v53
	v_lshrrev_b32_e32 v58, 16, v54
	v_lshrrev_b32_e32 v59, 16, v55
	v_lshrrev_b32_e32 v60, 16, v56
	v_and_b32_e32 v53, 0xffff, v53
	v_and_b32_e32 v54, 0xffff, v54
	v_and_b32_e32 v55, 0xffff, v55
	v_and_b32_e32 v56, 0xffff, v56
	v_mul_u32_u24_e32 v57, 0x10001, v57
	v_mul_u32_u24_e32 v53, 0x10001, v53
	v_mul_u32_u24_e32 v54, 0x10001, v54
	v_mul_u32_u24_e32 v58, 0x10001, v58
	v_mul_u32_u24_e32 v55, 0x10001, v55
	v_mul_u32_u24_e32 v59, 0x10001, v59
	v_mul_u32_u24_e32 v56, 0x10001, v56
	v_mul_u32_u24_e32 v60, 0x10001, v60
	v_pk_fma_f16 v52, v9, v53, v52
	v_pk_fma_f16 v51, v9, v57, v51
	v_pk_fma_f16 v50, v9, v54, v50
	v_pk_fma_f16 v53, v9, v58, v49
	v_pk_fma_f16 v54, v9, v55, v48
	v_pk_fma_f16 v55, v9, v59, v47
	v_pk_fma_f16 v56, v9, v56, v46
	v_pk_fma_f16 v57, v9, v60, v8
	ds_load_2addr_b32 v[8:9], v45 offset0:64 offset1:96
	ds_load_b128 v[46:49], v42 offset:10016
	s_wait_dscnt 0x0
	v_lshrrev_b32_e32 v58, 16, v46
	v_lshrrev_b32_e32 v59, 16, v47
	v_lshrrev_b32_e32 v60, 16, v48
	v_lshrrev_b32_e32 v61, 16, v49
	v_and_b32_e32 v46, 0xffff, v46
	v_and_b32_e32 v47, 0xffff, v47
	v_and_b32_e32 v48, 0xffff, v48
	v_and_b32_e32 v49, 0xffff, v49
	v_mul_u32_u24_e32 v58, 0x10001, v58
	v_mul_u32_u24_e32 v46, 0x10001, v46
	v_mul_u32_u24_e32 v47, 0x10001, v47
	v_mul_u32_u24_e32 v48, 0x10001, v48
	v_mul_u32_u24_e32 v49, 0x10001, v49
	v_mul_u32_u24_e32 v59, 0x10001, v59
	v_pk_fma_f16 v52, v8, v46, v52
	v_pk_fma_f16 v50, v8, v47, v50
	v_pk_fma_f16 v54, v8, v48, v54
	v_pk_fma_f16 v56, v8, v49, v56
	ds_load_b128 v[46:49], v42 offset:10032
	v_mul_u32_u24_e32 v60, 0x10001, v60
	v_mul_u32_u24_e32 v61, 0x10001, v61
	v_pk_fma_f16 v51, v8, v58, v51
	v_pk_fma_f16 v53, v8, v59, v53
	s_delay_alu instid0(VALU_DEP_4) | instskip(NEXT) | instid1(VALU_DEP_4)
	v_pk_fma_f16 v55, v8, v60, v55
	v_pk_fma_f16 v8, v8, v61, v57
	s_wait_dscnt 0x0
	v_lshrrev_b32_e32 v57, 16, v46
	v_lshrrev_b32_e32 v58, 16, v47
	v_lshrrev_b32_e32 v59, 16, v48
	v_lshrrev_b32_e32 v60, 16, v49
	v_and_b32_e32 v46, 0xffff, v46
	v_and_b32_e32 v47, 0xffff, v47
	v_and_b32_e32 v48, 0xffff, v48
	v_and_b32_e32 v49, 0xffff, v49
	v_mul_u32_u24_e32 v57, 0x10001, v57
	v_mul_u32_u24_e32 v46, 0x10001, v46
	v_mul_u32_u24_e32 v47, 0x10001, v47
	v_mul_u32_u24_e32 v58, 0x10001, v58
	v_mul_u32_u24_e32 v48, 0x10001, v48
	v_mul_u32_u24_e32 v59, 0x10001, v59
	v_mul_u32_u24_e32 v49, 0x10001, v49
	v_mul_u32_u24_e32 v60, 0x10001, v60
	v_pk_fma_f16 v52, v9, v46, v52
	v_pk_fma_f16 v51, v9, v57, v51
	v_pk_fma_f16 v50, v9, v47, v50
	v_pk_fma_f16 v53, v9, v58, v53
	v_pk_fma_f16 v54, v9, v48, v54
	v_pk_fma_f16 v55, v9, v59, v55
	v_pk_fma_f16 v56, v9, v49, v56
	v_pk_fma_f16 v57, v9, v60, v8
	ds_load_2addr_b32 v[8:9], v45 offset0:128 offset1:160
	ds_load_b128 v[46:49], v42 offset:10048
	s_wait_dscnt 0x0
	v_lshrrev_b32_e32 v58, 16, v46
	v_lshrrev_b32_e32 v59, 16, v47
	v_lshrrev_b32_e32 v60, 16, v48
	v_lshrrev_b32_e32 v61, 16, v49
	v_and_b32_e32 v46, 0xffff, v46
	v_and_b32_e32 v47, 0xffff, v47
	v_and_b32_e32 v48, 0xffff, v48
	v_and_b32_e32 v49, 0xffff, v49
	v_mul_u32_u24_e32 v58, 0x10001, v58
	v_mul_u32_u24_e32 v46, 0x10001, v46
	v_mul_u32_u24_e32 v47, 0x10001, v47
	v_mul_u32_u24_e32 v48, 0x10001, v48
	v_mul_u32_u24_e32 v49, 0x10001, v49
	v_mul_u32_u24_e32 v59, 0x10001, v59
	v_pk_fma_f16 v52, v8, v46, v52
	v_pk_fma_f16 v50, v8, v47, v50
	v_pk_fma_f16 v54, v8, v48, v54
	v_pk_fma_f16 v56, v8, v49, v56
	ds_load_b128 v[46:49], v42 offset:10064
	v_mul_u32_u24_e32 v60, 0x10001, v60
	v_mul_u32_u24_e32 v61, 0x10001, v61
	v_pk_fma_f16 v51, v8, v58, v51
	v_pk_fma_f16 v53, v8, v59, v53
	s_delay_alu instid0(VALU_DEP_4) | instskip(NEXT) | instid1(VALU_DEP_4)
	v_pk_fma_f16 v55, v8, v60, v55
	v_pk_fma_f16 v8, v8, v61, v57
	;; [unrolled: 54-line block ×3, first 2 shown]
	s_wait_dscnt 0x0
	v_lshrrev_b32_e32 v56, 16, v45
	v_lshrrev_b32_e32 v57, 16, v46
	;; [unrolled: 1-line block ×4, first 2 shown]
	v_and_b32_e32 v45, 0xffff, v45
	v_and_b32_e32 v46, 0xffff, v46
	;; [unrolled: 1-line block ×4, first 2 shown]
	v_mul_u32_u24_e32 v56, 0x10001, v56
	v_mul_u32_u24_e32 v45, 0x10001, v45
	;; [unrolled: 1-line block ×8, first 2 shown]
	v_pk_fma_f16 v52, v9, v45, v52
	v_pk_fma_f16 v51, v9, v56, v51
	v_pk_fma_f16 v56, v9, v46, v50
	v_pk_fma_f16 v53, v9, v57, v53
	v_pk_fma_f16 v54, v9, v47, v54
	v_pk_fma_f16 v55, v9, v58, v55
	v_pk_fma_f16 v57, v9, v48, v49
	v_pk_fma_f16 v9, v9, v59, v8
	v_add_nc_u32_e32 v8, 0x1c00, v43
	ds_load_2addr_b32 v[49:50], v8 offset1:32
	ds_load_b128 v[45:48], v42 offset:10112
	s_wait_dscnt 0x0
	v_lshrrev_b32_e32 v43, 16, v45
	v_lshrrev_b32_e32 v58, 16, v46
	;; [unrolled: 1-line block ×4, first 2 shown]
	v_and_b32_e32 v45, 0xffff, v45
	v_and_b32_e32 v46, 0xffff, v46
	;; [unrolled: 1-line block ×4, first 2 shown]
	v_mul_u32_u24_e32 v43, 0x10001, v43
	v_mul_u32_u24_e32 v45, 0x10001, v45
	;; [unrolled: 1-line block ×5, first 2 shown]
	v_pk_fma_f16 v43, v49, v43, v51
	v_pk_fma_f16 v52, v49, v45, v52
	v_pk_fma_f16 v51, v49, v46, v56
	v_pk_fma_f16 v54, v49, v47, v54
	v_pk_fma_f16 v56, v49, v48, v57
	ds_load_b128 v[45:48], v42 offset:10128
	v_mul_u32_u24_e32 v58, 0x10001, v58
	v_mul_u32_u24_e32 v59, 0x10001, v59
	v_mul_u32_u24_e32 v60, 0x10001, v60
	s_delay_alu instid0(VALU_DEP_3) | instskip(NEXT) | instid1(VALU_DEP_3)
	v_pk_fma_f16 v53, v49, v58, v53
	v_pk_fma_f16 v55, v49, v59, v55
	s_delay_alu instid0(VALU_DEP_3)
	v_pk_fma_f16 v9, v49, v60, v9
	s_wait_dscnt 0x0
	v_lshrrev_b32_e32 v49, 16, v45
	v_lshrrev_b32_e32 v57, 16, v46
	;; [unrolled: 1-line block ×4, first 2 shown]
	v_and_b32_e32 v45, 0xffff, v45
	v_and_b32_e32 v46, 0xffff, v46
	;; [unrolled: 1-line block ×4, first 2 shown]
	v_mul_u32_u24_e32 v49, 0x10001, v49
	v_mul_u32_u24_e32 v45, 0x10001, v45
	;; [unrolled: 1-line block ×8, first 2 shown]
	v_pk_fma_f16 v52, v50, v45, v52
	v_pk_fma_f16 v43, v50, v49, v43
	;; [unrolled: 1-line block ×8, first 2 shown]
	ds_load_2addr_b32 v[49:50], v8 offset0:64 offset1:96
	ds_load_b128 v[45:48], v42 offset:10144
	s_wait_dscnt 0x0
	v_lshrrev_b32_e32 v57, 16, v45
	v_lshrrev_b32_e32 v58, 16, v46
	;; [unrolled: 1-line block ×4, first 2 shown]
	v_and_b32_e32 v45, 0xffff, v45
	v_and_b32_e32 v46, 0xffff, v46
	;; [unrolled: 1-line block ×4, first 2 shown]
	v_mul_u32_u24_e32 v57, 0x10001, v57
	v_mul_u32_u24_e32 v45, 0x10001, v45
	;; [unrolled: 1-line block ×6, first 2 shown]
	v_pk_fma_f16 v52, v49, v45, v52
	v_pk_fma_f16 v51, v49, v46, v51
	;; [unrolled: 1-line block ×4, first 2 shown]
	ds_load_b128 v[45:48], v42 offset:10160
	v_mul_u32_u24_e32 v59, 0x10001, v59
	v_mul_u32_u24_e32 v60, 0x10001, v60
	v_pk_fma_f16 v43, v49, v57, v43
	v_pk_fma_f16 v53, v49, v58, v53
	s_delay_alu instid0(VALU_DEP_4) | instskip(NEXT) | instid1(VALU_DEP_4)
	v_pk_fma_f16 v55, v49, v59, v55
	v_pk_fma_f16 v9, v49, v60, v9
	s_wait_dscnt 0x0
	v_lshrrev_b32_e32 v49, 16, v45
	v_lshrrev_b32_e32 v57, 16, v46
	;; [unrolled: 1-line block ×4, first 2 shown]
	v_and_b32_e32 v45, 0xffff, v45
	v_and_b32_e32 v46, 0xffff, v46
	;; [unrolled: 1-line block ×4, first 2 shown]
	v_mul_u32_u24_e32 v49, 0x10001, v49
	v_mul_u32_u24_e32 v45, 0x10001, v45
	;; [unrolled: 1-line block ×8, first 2 shown]
	v_pk_fma_f16 v52, v50, v45, v52
	v_pk_fma_f16 v43, v50, v49, v43
	;; [unrolled: 1-line block ×8, first 2 shown]
	ds_load_2addr_b32 v[49:50], v8 offset0:128 offset1:160
	ds_load_b128 v[45:48], v42 offset:10176
	s_wait_dscnt 0x0
	v_lshrrev_b32_e32 v57, 16, v45
	v_lshrrev_b32_e32 v58, 16, v46
	;; [unrolled: 1-line block ×4, first 2 shown]
	v_and_b32_e32 v45, 0xffff, v45
	v_and_b32_e32 v46, 0xffff, v46
	;; [unrolled: 1-line block ×4, first 2 shown]
	v_mul_u32_u24_e32 v57, 0x10001, v57
	v_mul_u32_u24_e32 v45, 0x10001, v45
	;; [unrolled: 1-line block ×6, first 2 shown]
	v_pk_fma_f16 v52, v49, v45, v52
	v_pk_fma_f16 v51, v49, v46, v51
	;; [unrolled: 1-line block ×4, first 2 shown]
	ds_load_b128 v[45:48], v42 offset:10192
	v_mul_u32_u24_e32 v59, 0x10001, v59
	v_mul_u32_u24_e32 v60, 0x10001, v60
	v_pk_fma_f16 v43, v49, v57, v43
	v_pk_fma_f16 v53, v49, v58, v53
	s_delay_alu instid0(VALU_DEP_4) | instskip(NEXT) | instid1(VALU_DEP_4)
	v_pk_fma_f16 v55, v49, v59, v55
	v_pk_fma_f16 v9, v49, v60, v9
	s_wait_dscnt 0x0
	v_lshrrev_b32_e32 v49, 16, v45
	v_lshrrev_b32_e32 v57, 16, v46
	;; [unrolled: 1-line block ×4, first 2 shown]
	v_and_b32_e32 v45, 0xffff, v45
	v_and_b32_e32 v46, 0xffff, v46
	;; [unrolled: 1-line block ×4, first 2 shown]
	v_mul_u32_u24_e32 v49, 0x10001, v49
	v_mul_u32_u24_e32 v45, 0x10001, v45
	;; [unrolled: 1-line block ×8, first 2 shown]
	v_pk_fma_f16 v52, v50, v45, v52
	v_pk_fma_f16 v43, v50, v49, v43
	;; [unrolled: 1-line block ×8, first 2 shown]
	ds_load_2addr_b32 v[8:9], v8 offset0:192 offset1:224
	ds_load_b128 v[45:48], v42 offset:10208
	s_wait_dscnt 0x0
	v_lshrrev_b32_e32 v56, 16, v45
	v_lshrrev_b32_e32 v57, 16, v46
	v_lshrrev_b32_e32 v58, 16, v47
	v_lshrrev_b32_e32 v59, 16, v48
	v_and_b32_e32 v45, 0xffff, v45
	v_and_b32_e32 v46, 0xffff, v46
	;; [unrolled: 1-line block ×4, first 2 shown]
	v_mul_u32_u24_e32 v56, 0x10001, v56
	v_mul_u32_u24_e32 v45, 0x10001, v45
	;; [unrolled: 1-line block ×6, first 2 shown]
	v_pk_fma_f16 v52, v8, v45, v52
	v_pk_fma_f16 v49, v8, v46, v49
	;; [unrolled: 1-line block ×4, first 2 shown]
	ds_load_b128 v[45:48], v42 offset:10224
	v_mul_u32_u24_e32 v58, 0x10001, v58
	v_mul_u32_u24_e32 v59, 0x10001, v59
	v_pk_fma_f16 v43, v8, v56, v43
	v_pk_fma_f16 v51, v8, v57, v51
	s_wait_loadcnt_dscnt 0x0
	v_pk_fma_f16 v54, v8, v58, v54
	v_pk_fma_f16 v8, v8, v59, v50
	s_barrier_signal -1
	s_barrier_wait -1
	global_inv scope:SCOPE_SE
	v_lshrrev_b32_e32 v42, 16, v45
	v_lshrrev_b32_e32 v50, 16, v46
	;; [unrolled: 1-line block ×4, first 2 shown]
	v_and_b32_e32 v45, 0xffff, v45
	v_and_b32_e32 v46, 0xffff, v46
	;; [unrolled: 1-line block ×4, first 2 shown]
	v_mul_u32_u24_e32 v42, 0x10001, v42
	v_mul_u32_u24_e32 v45, 0x10001, v45
	;; [unrolled: 1-line block ×8, first 2 shown]
	v_pk_fma_f16 v63, v9, v45, v52
	v_pk_fma_f16 v62, v9, v42, v43
	;; [unrolled: 1-line block ×8, first 2 shown]
	v_dual_mov_b32 v15, v7 :: v_dual_mov_b32 v14, v6
	v_dual_mov_b32 v13, v5 :: v_dual_mov_b32 v12, v4
	v_dual_mov_b32 v11, v3 :: v_dual_mov_b32 v10, v2
	v_dual_mov_b32 v9, v1 :: v_dual_mov_b32 v8, v0
.LBB56_128:
	v_cmp_lt_i32_e32 vcc_lo, v23, v20
	s_cmp_eq_u64 s[12:13], 0
	s_cselect_b32 s2, -1, 0
	s_cmp_lg_u32 s8, 0
	s_wait_alu 0xfffd
	v_cndmask_b32_e32 v0, v41, v23, vcc_lo
	v_cmp_lt_i32_e32 vcc_lo, v22, v20
	s_cselect_b32 s3, -1, 0
	s_wait_alu 0xfffe
	s_or_b32 s2, s3, s2
	v_lshlrev_b32_e32 v0, 2, v0
	ds_bpermute_b32 v3, v0, v69
	s_wait_dscnt 0x0
	v_add_f32_e32 v3, v69, v3
	ds_bpermute_b32 v1, v0, v72
	ds_bpermute_b32 v5, v0, v68
	;; [unrolled: 1-line block ×3, first 2 shown]
	s_wait_alu 0xfffd
	v_cndmask_b32_e32 v16, v41, v22, vcc_lo
	ds_bpermute_b32 v2, v0, v71
	ds_bpermute_b32 v4, v0, v70
	;; [unrolled: 1-line block ×4, first 2 shown]
	v_cmp_lt_i32_e32 vcc_lo, v21, v20
	s_wait_alu 0xfffd
	v_cndmask_b32_e32 v21, v41, v21, vcc_lo
	v_cmp_lt_i32_e32 vcc_lo, v19, v20
	s_delay_alu instid0(VALU_DEP_2)
	v_lshlrev_b32_e32 v21, 2, v21
	s_wait_alu 0xfffd
	v_cndmask_b32_e32 v19, v41, v19, vcc_lo
	s_wait_dscnt 0x6
	v_add_f32_e32 v1, v72, v1
	s_wait_dscnt 0x5
	v_dual_add_f32 v5, v68, v5 :: v_dual_lshlrev_b32 v16, 2, v16
	s_wait_dscnt 0x3
	v_dual_add_f32 v7, v73, v7 :: v_dual_add_f32 v2, v71, v2
	s_wait_dscnt 0x2
	v_add_f32_e32 v4, v70, v4
	v_cmp_lt_i32_e32 vcc_lo, v18, v20
	ds_bpermute_b32 v17, v16, v1
	ds_bpermute_b32 v23, v16, v3
	s_wait_dscnt 0x3
	v_add_f32_e32 v6, v67, v6
	s_wait_dscnt 0x2
	v_add_f32_e32 v0, v65, v0
	ds_bpermute_b32 v22, v16, v2
	ds_bpermute_b32 v42, v16, v4
	;; [unrolled: 1-line block ×4, first 2 shown]
	s_wait_alu 0xfffd
	v_dual_cndmask_b32 v18, v41, v18 :: v_dual_lshlrev_b32 v19, 2, v19
	s_wait_alu 0xfffe
	s_and_b32 vcc_lo, exec_lo, s2
	s_wait_dscnt 0x5
	v_add_f32_e32 v1, v1, v17
	ds_bpermute_b32 v45, v16, v6
	s_wait_dscnt 0x5
	v_add_f32_e32 v3, v3, v23
	ds_bpermute_b32 v16, v16, v0
	s_wait_dscnt 0x5
	v_add_f32_e32 v2, v2, v22
	s_wait_dscnt 0x3
	v_dual_add_f32 v4, v4, v42 :: v_dual_add_f32 v5, v5, v43
	s_wait_dscnt 0x2
	v_add_f32_e32 v7, v7, v46
	ds_bpermute_b32 v22, v21, v3
	ds_bpermute_b32 v17, v21, v2
	ds_bpermute_b32 v23, v21, v4
	ds_bpermute_b32 v42, v21, v5
	s_wait_dscnt 0x5
	v_add_f32_e32 v6, v6, v45
	ds_bpermute_b32 v45, v21, v7
	s_wait_dscnt 0x5
	v_add_f32_e32 v0, v0, v16
	ds_bpermute_b32 v16, v21, v1
	ds_bpermute_b32 v43, v21, v6
	;; [unrolled: 1-line block ×3, first 2 shown]
	s_wait_dscnt 0x6
	v_dual_add_f32 v2, v2, v17 :: v_dual_add_f32 v3, v3, v22
	s_wait_dscnt 0x4
	v_dual_add_f32 v4, v4, v23 :: v_dual_add_f32 v5, v5, v42
	ds_bpermute_b32 v17, v19, v2
	ds_bpermute_b32 v22, v19, v4
	s_wait_dscnt 0x5
	v_add_f32_e32 v7, v7, v45
	s_wait_dscnt 0x3
	v_dual_add_f32 v1, v1, v16 :: v_dual_add_f32 v6, v6, v43
	ds_bpermute_b32 v23, v19, v5
	ds_bpermute_b32 v43, v19, v7
	;; [unrolled: 1-line block ×3, first 2 shown]
	s_wait_dscnt 0x5
	v_add_f32_e32 v0, v0, v21
	ds_bpermute_b32 v21, v19, v3
	ds_bpermute_b32 v42, v19, v6
	v_lshlrev_b32_e32 v18, 2, v18
	s_wait_dscnt 0x6
	v_add_f32_e32 v2, v2, v17
	s_wait_dscnt 0x4
	v_dual_add_f32 v4, v4, v22 :: v_dual_add_f32 v5, v5, v23
	s_wait_dscnt 0x3
	v_add_f32_e32 v7, v7, v43
	s_wait_dscnt 0x2
	v_add_f32_e32 v1, v1, v16
	ds_bpermute_b32 v19, v19, v0
	s_wait_dscnt 0x2
	v_add_f32_e32 v3, v3, v21
	ds_bpermute_b32 v17, v18, v2
	ds_bpermute_b32 v20, v18, v4
	s_wait_dscnt 0x3
	v_add_f32_e32 v6, v6, v42
	ds_bpermute_b32 v21, v18, v5
	;; [unrolled: 4-line block ×3, first 2 shown]
	ds_bpermute_b32 v19, v18, v3
	s_wait_dscnt 0x1
	v_dual_add_f32 v0, v1, v0 :: v_dual_add_f32 v1, v2, v17
	s_wait_dscnt 0x0
	v_dual_add_f32 v2, v3, v19 :: v_dual_add_f32 v3, v4, v20
	ds_bpermute_b32 v22, v18, v6
	ds_bpermute_b32 v18, v18, v16
	s_wait_dscnt 0x1
	v_dual_add_f32 v4, v5, v21 :: v_dual_add_f32 v5, v6, v22
	s_wait_dscnt 0x0
	v_dual_add_f32 v6, v7, v23 :: v_dual_add_f32 v7, v16, v18
	s_wait_alu 0xfffe
	s_cbranch_vccnz .LBB56_131
; %bb.129:
	v_dual_mov_b32 v16, 0 :: v_dual_max_num_f32 v17, v8, v8
	s_lshl_b64 s[2:3], s[34:35], 2
	v_dual_max_num_f32 v18, v9, v9 :: v_dual_max_num_f32 v19, v10, v10
	s_wait_alu 0xfffe
	s_add_nc_u64 s[2:3], s[12:13], s[2:3]
	v_dual_max_num_f32 v41, v14, v14 :: v_dual_max_num_f32 v42, v15, v15
	global_load_b32 v16, v16, s[2:3]
	v_max_num_f32_e32 v20, v11, v11
	v_dual_max_num_f32 v22, v12, v12 :: v_dual_max_num_f32 v23, v13, v13
	s_wait_loadcnt 0x0
	v_max_num_f32_e32 v21, v16, v16
	s_delay_alu instid0(VALU_DEP_1) | instskip(NEXT) | instid1(VALU_DEP_1)
	v_max_num_f32_e32 v48, v20, v21
	v_dual_max_num_f32 v47, v19, v21 :: v_dual_sub_f32 v20, v16, v48
	s_delay_alu instid0(VALU_DEP_1) | instskip(SKIP_2) | instid1(VALU_DEP_3)
	v_dual_max_num_f32 v46, v18, v21 :: v_dual_sub_f32 v19, v16, v47
	v_max_num_f32_e32 v45, v17, v21
	v_dual_max_num_f32 v51, v41, v21 :: v_dual_sub_f32 v10, v10, v47
	v_dual_max_num_f32 v50, v23, v21 :: v_dual_sub_f32 v9, v9, v46
	;; [unrolled: 1-line block ×3, first 2 shown]
	v_sub_f32_e32 v18, v16, v46
	s_delay_alu instid0(VALU_DEP_4) | instskip(NEXT) | instid1(VALU_DEP_4)
	v_sub_f32_e32 v23, v16, v51
	v_dual_max_num_f32 v49, v22, v21 :: v_dual_sub_f32 v22, v16, v50
	v_dual_sub_f32 v8, v8, v45 :: v_dual_sub_f32 v13, v13, v50
	v_dual_sub_f32 v17, v16, v45 :: v_dual_sub_f32 v14, v14, v51
	s_delay_alu instid0(VALU_DEP_3) | instskip(SKIP_1) | instid1(VALU_DEP_4)
	v_sub_f32_e32 v21, v16, v49
	v_sub_f32_e32 v41, v16, v52
	v_mul_f32_e32 v16, 0x3fb8aa3b, v8
	v_dual_sub_f32 v12, v12, v49 :: v_dual_sub_f32 v15, v15, v52
	v_mul_f32_e32 v42, 0x3fb8aa3b, v17
	v_dual_mul_f32 v43, 0x3fb8aa3b, v9 :: v_dual_mul_f32 v54, 0x3fb8aa3b, v10
	s_delay_alu instid0(VALU_DEP_3)
	v_dual_mul_f32 v55, 0x3fb8aa3b, v19 :: v_dual_mul_f32 v66, 0x3fb8aa3b, v12
	v_dual_mul_f32 v65, 0x3fb8aa3b, v20 :: v_dual_mul_f32 v68, 0x3fb8aa3b, v13
	v_dual_mul_f32 v67, 0x3fb8aa3b, v21 :: v_dual_mul_f32 v70, 0x3fb8aa3b, v14
	v_rndne_f32_e32 v75, v16
	v_mul_f32_e32 v73, 0x3fb8aa3b, v41
	v_fma_f32 v74, 0x3fb8aa3b, v8, -v16
	v_rndne_f32_e32 v83, v54
	v_fma_f32 v84, 0x3fb8aa3b, v19, -v55
	v_fma_f32 v88, 0x3fb8aa3b, v20, -v65
	v_rndne_f32_e32 v89, v65
	v_fma_f32 v92, 0x3fb8aa3b, v21, -v67
	v_rndne_f32_e32 v93, v67
	v_sub_f32_e32 v16, v16, v75
	v_rndne_f32_e32 v105, v73
	v_fma_f32 v82, 0x3fb8aa3b, v10, -v54
	v_fma_f32 v94, 0x3fb8aa3b, v13, -v68
	;; [unrolled: 1-line block ×3, first 2 shown]
	v_dual_sub_f32 v54, v54, v83 :: v_dual_sub_f32 v65, v65, v89
	v_dual_fmac_f32 v84, 0x32a5705f, v19 :: v_dual_sub_f32 v67, v67, v93
	v_dual_fmac_f32 v88, 0x32a5705f, v20 :: v_dual_sub_f32 v73, v73, v105
	v_fmac_f32_e32 v92, 0x32a5705f, v21
	v_dual_mul_f32 v53, 0x3fb8aa3b, v18 :: v_dual_mul_f32 v64, 0x3fb8aa3b, v11
	s_delay_alu instid0(VALU_DEP_3) | instskip(NEXT) | instid1(VALU_DEP_3)
	v_dual_add_f32 v65, v65, v88 :: v_dual_fmac_f32 v94, 0x32a5705f, v13
	v_add_f32_e32 v67, v67, v92
	s_delay_alu instid0(VALU_DEP_3)
	v_fma_f32 v80, 0x3fb8aa3b, v18, -v53
	v_rndne_f32_e32 v81, v53
	v_fma_f32 v76, 0x3fb8aa3b, v17, -v42
	v_rndne_f32_e32 v77, v42
	v_exp_f32_e32 v67, v67
	v_fma_f32 v78, 0x3fb8aa3b, v9, -v43
	v_rndne_f32_e32 v79, v43
	v_fmac_f32_e32 v74, 0x32a5705f, v8
	v_dual_fmac_f32 v80, 0x32a5705f, v18 :: v_dual_sub_f32 v53, v53, v81
	v_cvt_i32_f32_e32 v93, v93
	v_dual_mul_f32 v71, 0x3fb8aa3b, v23 :: v_dual_sub_f32 v42, v42, v77
	s_delay_alu instid0(VALU_DEP_3)
	v_dual_fmac_f32 v78, 0x32a5705f, v9 :: v_dual_add_f32 v53, v53, v80
	v_dual_sub_f32 v43, v43, v79 :: v_dual_fmac_f32 v76, 0x32a5705f, v17
	s_delay_alu instid0(TRANS32_DEP_1) | instid1(VALU_DEP_4)
	v_ldexp_f32 v67, v67, v93
	v_add_f32_e32 v16, v16, v74
	v_cvt_i32_f32_e32 v75, v75
	s_delay_alu instid0(VALU_DEP_4) | instskip(SKIP_1) | instid1(VALU_DEP_4)
	v_dual_add_f32 v43, v43, v78 :: v_dual_add_f32 v42, v42, v76
	v_cvt_i32_f32_e32 v77, v77
	v_exp_f32_e32 v16, v16
	v_cmp_ngt_f32_e32 vcc_lo, 0xc2ce8ed0, v8
	s_delay_alu instid0(VALU_DEP_3)
	v_exp_f32_e32 v43, v43
	v_exp_f32_e32 v42, v42
	v_cvt_i32_f32_e32 v79, v79
	v_rndne_f32_e32 v85, v55
	v_fma_f32 v90, 0x3fb8aa3b, v12, -v66
	v_fmac_f32_e32 v82, 0x32a5705f, v10
	v_exp_f32_e32 v53, v53
	v_dual_mul_f32 v69, 0x3fb8aa3b, v22 :: v_dual_mul_f32 v72, 0x3fb8aa3b, v15
	v_ldexp_f32 v16, v16, v75
	s_delay_alu instid0(TRANS32_DEP_3) | instskip(NEXT) | instid1(TRANS32_DEP_2)
	v_ldexp_f32 v43, v43, v79
	v_ldexp_f32 v42, v42, v77
	v_fma_f32 v86, 0x3fb8aa3b, v11, -v64
	v_rndne_f32_e32 v87, v64
	s_wait_alu 0xfffd
	v_cndmask_b32_e32 v16, 0, v16, vcc_lo
	v_cmp_ngt_f32_e32 vcc_lo, 0xc2ce8ed0, v17
	v_rndne_f32_e32 v91, v66
	v_cvt_i32_f32_e32 v81, v81
	v_sub_f32_e32 v55, v55, v85
	v_rndne_f32_e32 v97, v69
	s_wait_alu 0xfffd
	v_cndmask_b32_e32 v42, 0, v42, vcc_lo
	v_cmp_ngt_f32_e32 vcc_lo, 0xc2ce8ed0, v9
	v_fmac_f32_e32 v90, 0x32a5705f, v12
	v_rndne_f32_e32 v99, v70
	v_rndne_f32_e32 v101, v71
	v_fmac_f32_e32 v86, 0x32a5705f, v11
	s_wait_alu 0xfffd
	v_dual_cndmask_b32 v43, 0, v43 :: v_dual_add_f32 v54, v54, v82
	v_sub_f32_e32 v64, v64, v87
	v_dual_sub_f32 v66, v66, v91 :: v_dual_add_f32 v55, v55, v84
	v_ldexp_f32 v53, v53, v81
	s_delay_alu instid0(VALU_DEP_4)
	v_exp_f32_e32 v54, v54
	v_cmp_ngt_f32_e32 vcc_lo, 0xc2ce8ed0, v18
	v_fma_f32 v96, 0x3fb8aa3b, v22, -v69
	v_fma_f32 v98, 0x3fb8aa3b, v14, -v70
	;; [unrolled: 1-line block ×3, first 2 shown]
	v_cvt_i32_f32_e32 v83, v83
	v_dual_sub_f32 v69, v69, v97 :: v_dual_sub_f32 v70, v70, v99
	s_wait_alu 0xfffd
	v_cndmask_b32_e32 v53, 0, v53, vcc_lo
	v_dual_sub_f32 v71, v71, v101 :: v_dual_add_f32 v64, v64, v86
	v_exp_f32_e32 v55, v55
	v_cvt_i32_f32_e32 v85, v85
	v_ldexp_f32 v54, v54, v83
	v_cmp_ngt_f32_e32 vcc_lo, 0xc2ce8ed0, v10
	v_exp_f32_e32 v64, v64
	v_cvt_i32_f32_e32 v87, v87
	v_exp_f32_e32 v65, v65
	v_cvt_i32_f32_e32 v89, v89
	s_wait_alu 0xfffd
	v_cndmask_b32_e32 v54, 0, v54, vcc_lo
	v_cmp_ngt_f32_e32 vcc_lo, 0xc2ce8ed0, v19
	v_ldexp_f32 v55, v55, v85
	v_fmac_f32_e32 v104, 0x32a5705f, v41
	v_rndne_f32_e32 v95, v68
	v_cvt_i32_f32_e32 v91, v91
	v_ldexp_f32 v64, v64, v87
	s_wait_alu 0xfffd
	v_cndmask_b32_e32 v55, 0, v55, vcc_lo
	v_cmp_ngt_f32_e32 vcc_lo, 0xc2ce8ed0, v11
	v_ldexp_f32 v65, v65, v89
	v_dual_fmac_f32 v98, 0x32a5705f, v14 :: v_dual_add_f32 v73, v73, v104
	v_fma_f32 v102, 0x3fb8aa3b, v15, -v72
	s_wait_alu 0xfffd
	v_cndmask_b32_e32 v64, 0, v64, vcc_lo
	v_add_f32_e32 v66, v66, v90
	v_cmp_ngt_f32_e32 vcc_lo, 0xc2ce8ed0, v20
	v_fmac_f32_e32 v100, 0x32a5705f, v23
	v_exp_f32_e32 v73, v73
	v_rndne_f32_e32 v103, v72
	v_exp_f32_e32 v66, v66
	s_wait_alu 0xfffd
	v_dual_cndmask_b32 v65, 0, v65 :: v_dual_fmac_f32 v96, 0x32a5705f, v22
	v_dual_add_f32 v71, v71, v100 :: v_dual_sub_f32 v68, v68, v95
	v_cmp_ngt_f32_e32 vcc_lo, 0xc2ce8ed0, v12
	v_cvt_i32_f32_e32 v95, v95
	s_delay_alu instid0(VALU_DEP_4) | instskip(SKIP_2) | instid1(TRANS32_DEP_1)
	v_add_f32_e32 v69, v69, v96
	v_cvt_i32_f32_e32 v97, v97
	v_add_f32_e32 v68, v68, v94
	v_ldexp_f32 v66, v66, v91
	v_cvt_i32_f32_e32 v105, v105
	v_exp_f32_e32 v69, v69
	v_cvt_i32_f32_e32 v99, v99
	v_exp_f32_e32 v68, v68
	s_wait_alu 0xfffd
	v_cndmask_b32_e32 v66, 0, v66, vcc_lo
	v_cmp_ngt_f32_e32 vcc_lo, 0xc2ce8ed0, v21
	v_ldexp_f32 v73, v73, v105
	v_sub_f32_e32 v72, v72, v103
	v_exp_f32_e32 v71, v71
	v_cvt_i32_f32_e32 v101, v101
	s_wait_alu 0xfffd
	v_cndmask_b32_e32 v67, 0, v67, vcc_lo
	v_cmp_ngt_f32_e32 vcc_lo, 0xc2ce8ed0, v13
	v_ldexp_f32 v69, v69, v97
	v_ldexp_f32 v68, v68, v95
	v_cvt_i32_f32_e32 v103, v103
	s_wait_alu 0xfffd
	s_delay_alu instid0(VALU_DEP_2) | instskip(SKIP_4) | instid1(VALU_DEP_4)
	v_cndmask_b32_e32 v68, 0, v68, vcc_lo
	v_add_f32_e32 v70, v70, v98
	v_cmp_ngt_f32_e32 vcc_lo, 0xc2ce8ed0, v22
	v_fmac_f32_e32 v102, 0x32a5705f, v15
	v_ldexp_f32 v71, v71, v101
	v_exp_f32_e32 v70, v70
	s_wait_alu 0xfffd
	s_delay_alu instid0(VALU_DEP_2) | instskip(SKIP_1) | instid1(VALU_DEP_2)
	v_dual_cndmask_b32 v69, 0, v69 :: v_dual_add_f32 v72, v72, v102
	v_cmp_ngt_f32_e32 vcc_lo, 0xc2ce8ed0, v14
	v_exp_f32_e32 v72, v72
	s_delay_alu instid0(TRANS32_DEP_2) | instskip(SKIP_1) | instid1(VALU_DEP_1)
	v_ldexp_f32 v70, v70, v99
	s_wait_alu 0xfffd
	v_cndmask_b32_e32 v70, 0, v70, vcc_lo
	v_cmp_ngt_f32_e32 vcc_lo, 0xc2ce8ed0, v23
	s_delay_alu instid0(TRANS32_DEP_1)
	v_ldexp_f32 v72, v72, v103
	s_wait_alu 0xfffd
	v_cndmask_b32_e32 v71, 0, v71, vcc_lo
	v_cmp_ngt_f32_e32 vcc_lo, 0xc2ce8ed0, v15
	s_wait_alu 0xfffd
	v_cndmask_b32_e32 v72, 0, v72, vcc_lo
	v_cmp_ngt_f32_e32 vcc_lo, 0xc2ce8ed0, v41
	s_wait_alu 0xfffd
	v_cndmask_b32_e32 v73, 0, v73, vcc_lo
	v_cmp_nlt_f32_e32 vcc_lo, 0x42b17218, v8
	s_wait_alu 0xfffd
	v_cndmask_b32_e32 v8, 0x7f800000, v16, vcc_lo
	v_cmp_nlt_f32_e32 vcc_lo, 0x42b17218, v17
	;; [unrolled: 3-line block ×3, first 2 shown]
	s_wait_alu 0xfffd
	s_delay_alu instid0(VALU_DEP_2)
	v_dual_fmac_f32 v16, v0, v8 :: v_dual_cndmask_b32 v9, 0x7f800000, v43
	v_cmp_nlt_f32_e32 vcc_lo, 0x42b17218, v18
	v_cvt_f16_f32_e32 v0, v8
	s_wait_alu 0xfffd
	v_cndmask_b32_e32 v17, 0x7f800000, v53, vcc_lo
	v_cmp_nlt_f32_e32 vcc_lo, 0x42b17218, v10
	s_delay_alu instid0(VALU_DEP_2)
	v_dual_fmac_f32 v17, v1, v9 :: v_dual_and_b32 v8, 0xffff, v0
	s_wait_alu 0xfffd
	v_cndmask_b32_e32 v10, 0x7f800000, v54, vcc_lo
	v_cmp_nlt_f32_e32 vcc_lo, 0x42b17218, v19
	v_cvt_f16_f32_e32 v1, v9
	v_mul_u32_u24_e32 v8, 0x10001, v8
	s_wait_alu 0xfffd
	v_cndmask_b32_e32 v18, 0x7f800000, v55, vcc_lo
	v_cmp_nlt_f32_e32 vcc_lo, 0x42b17218, v11
	v_and_b32_e32 v9, 0xffff, v1
	v_pk_mul_f16 v63, v63, v8
	s_wait_alu 0xfffd
	v_dual_fmac_f32 v18, v2, v10 :: v_dual_cndmask_b32 v11, 0x7f800000, v64
	v_cmp_nlt_f32_e32 vcc_lo, 0x42b17218, v20
	v_cvt_f16_f32_e32 v2, v10
	v_mul_u32_u24_e32 v9, 0x10001, v9
	s_wait_alu 0xfffd
	v_cndmask_b32_e32 v19, 0x7f800000, v65, vcc_lo
	v_cmp_nlt_f32_e32 vcc_lo, 0x42b17218, v12
	v_and_b32_e32 v10, 0xffff, v2
	v_pk_mul_f16 v62, v62, v9
	s_wait_alu 0xfffd
	v_dual_fmac_f32 v19, v3, v11 :: v_dual_cndmask_b32 v12, 0x7f800000, v66
	v_cmp_nlt_f32_e32 vcc_lo, 0x42b17218, v21
	v_cvt_f16_f32_e32 v3, v11
	v_mul_u32_u24_e32 v10, 0x10001, v10
	s_wait_alu 0xfffd
	v_cndmask_b32_e32 v20, 0x7f800000, v67, vcc_lo
	v_cmp_nlt_f32_e32 vcc_lo, 0x42b17218, v13
	v_and_b32_e32 v11, 0xffff, v3
	v_pk_mul_f16 v61, v61, v10
	s_delay_alu instid0(VALU_DEP_4)
	v_fmac_f32_e32 v20, v4, v12
	s_wait_alu 0xfffd
	v_cndmask_b32_e32 v13, 0x7f800000, v68, vcc_lo
	v_cmp_nlt_f32_e32 vcc_lo, 0x42b17218, v22
	v_cvt_f16_f32_e32 v4, v12
	v_mul_u32_u24_e32 v11, 0x10001, v11
	s_wait_alu 0xfffd
	v_cndmask_b32_e32 v21, 0x7f800000, v69, vcc_lo
	v_cmp_nlt_f32_e32 vcc_lo, 0x42b17218, v14
	v_and_b32_e32 v12, 0xffff, v4
	v_pk_mul_f16 v60, v60, v11
	s_delay_alu instid0(VALU_DEP_4) | instskip(SKIP_1) | instid1(VALU_DEP_4)
	v_fmac_f32_e32 v21, v5, v13
	v_cvt_f16_f32_e32 v5, v13
	v_mul_u32_u24_e32 v12, 0x10001, v12
	s_delay_alu instid0(VALU_DEP_2)
	v_and_b32_e32 v13, 0xffff, v5
	s_wait_alu 0xfffd
	v_cndmask_b32_e32 v14, 0x7f800000, v70, vcc_lo
	v_cmp_nlt_f32_e32 vcc_lo, 0x42b17218, v23
	v_pk_mul_f16 v59, v59, v12
	v_mul_u32_u24_e32 v13, 0x10001, v13
	s_wait_alu 0xfffd
	v_cndmask_b32_e32 v22, 0x7f800000, v71, vcc_lo
	v_cmp_nlt_f32_e32 vcc_lo, 0x42b17218, v15
	s_delay_alu instid0(VALU_DEP_3) | instskip(SKIP_1) | instid1(VALU_DEP_3)
	v_pk_mul_f16 v58, v58, v13
	s_wait_alu 0xfffd
	v_dual_fmac_f32 v22, v6, v14 :: v_dual_cndmask_b32 v15, 0x7f800000, v72
	v_cmp_nlt_f32_e32 vcc_lo, 0x42b17218, v41
	v_cvt_f16_f32_e32 v6, v14
	s_wait_alu 0xfffd
	v_cndmask_b32_e32 v23, 0x7f800000, v73, vcc_lo
	s_delay_alu instid0(VALU_DEP_1) | instskip(SKIP_1) | instid1(VALU_DEP_2)
	v_dual_fmac_f32 v23, v7, v15 :: v_dual_and_b32 v14, 0xffff, v6
	v_cvt_f16_f32_e32 v7, v15
	v_mul_u32_u24_e32 v14, 0x10001, v14
	s_delay_alu instid0(VALU_DEP_2) | instskip(NEXT) | instid1(VALU_DEP_2)
	v_dual_mov_b32 v0, v16 :: v_dual_and_b32 v15, 0xffff, v7
	v_pk_mul_f16 v57, v57, v14
	v_dual_mov_b32 v1, v17 :: v_dual_mov_b32 v2, v18
	s_delay_alu instid0(VALU_DEP_3) | instskip(SKIP_2) | instid1(VALU_DEP_3)
	v_mul_u32_u24_e32 v15, 0x10001, v15
	v_dual_mov_b32 v3, v19 :: v_dual_mov_b32 v4, v20
	v_dual_mov_b32 v5, v21 :: v_dual_mov_b32 v6, v22
	v_pk_mul_f16 v56, v56, v15
	v_dual_mov_b32 v8, v45 :: v_dual_mov_b32 v7, v23
	v_dual_mov_b32 v9, v46 :: v_dual_mov_b32 v10, v47
	;; [unrolled: 1-line block ×4, first 2 shown]
	v_mov_b32_e32 v15, v52
	s_mov_b32 s2, exec_lo
	v_cmpx_gt_i32_e64 s22, v25
	s_cbranch_execnz .LBB56_132
.LBB56_130:
	s_nop 0
	s_sendmsg sendmsg(MSG_DEALLOC_VGPRS)
	s_endpgm
.LBB56_131:
	v_dual_mov_b32 v16, v0 :: v_dual_mov_b32 v17, v1
	v_dual_mov_b32 v18, v2 :: v_dual_mov_b32 v19, v3
	;; [unrolled: 1-line block ×4, first 2 shown]
	s_mov_b32 s2, exec_lo
	v_cmpx_gt_i32_e64 s22, v25
	s_cbranch_execz .LBB56_130
.LBB56_132:
	s_load_b32 s1, s[0:1], 0xd4
	v_mov_b32_e32 v41, 1.0
	s_wait_kmcnt 0x0
	s_cmp_lg_u32 s1, 1
	s_cselect_b32 s4, -1, 0
	s_cmp_eq_u32 s1, 1
	s_cselect_b32 s3, -1, 0
	s_wait_alu 0xfffe
	s_and_b32 vcc_lo, exec_lo, s4
	s_wait_alu 0xfffe
	s_cbranch_vccnz .LBB56_134
; %bb.133:
	v_div_scale_f32 v25, null, v16, v16, 1.0
	s_delay_alu instid0(VALU_DEP_1) | instskip(NEXT) | instid1(TRANS32_DEP_1)
	v_rcp_f32_e32 v41, v25
	v_fma_f32 v42, -v25, v41, 1.0
	s_delay_alu instid0(VALU_DEP_1) | instskip(SKIP_1) | instid1(VALU_DEP_1)
	v_fmac_f32_e32 v41, v42, v41
	v_div_scale_f32 v42, vcc_lo, 1.0, v16, 1.0
	v_mul_f32_e32 v43, v42, v41
	s_delay_alu instid0(VALU_DEP_1) | instskip(NEXT) | instid1(VALU_DEP_1)
	v_fma_f32 v45, -v25, v43, v42
	v_fmac_f32_e32 v43, v45, v41
	s_delay_alu instid0(VALU_DEP_1) | instskip(SKIP_1) | instid1(VALU_DEP_1)
	v_fma_f32 v25, -v25, v43, v42
	s_wait_alu 0xfffd
	v_div_fmas_f32 v25, v25, v41, v43
	s_delay_alu instid0(VALU_DEP_1)
	v_div_fixup_f32 v41, v25, v16, 1.0
.LBB56_134:
	s_mul_i32 s2, s36, s22
	v_cmp_eq_u32_e32 vcc_lo, 0, v38
	s_wait_alu 0xfffe
	s_add_co_i32 s2, s2, s33
	s_wait_alu 0xfffe
	v_dual_mov_b32 v43, 0 :: v_dual_add_nc_u32 v16, s2, v24
	s_delay_alu instid0(VALU_DEP_1) | instskip(SKIP_1) | instid1(VALU_DEP_1)
	v_mad_co_u64_u32 v[24:25], null, v16, s23, s[34:35]
	v_lshrrev_b32_e32 v16, 16, v63
	v_cvt_f32_f16_e32 v16, v16
	s_delay_alu instid0(VALU_DEP_3) | instskip(SKIP_1) | instid1(VALU_DEP_3)
	v_mad_co_u64_u32 v[24:25], null, s1, v24, s[8:9]
	v_cvt_f32_f16_e32 v25, v63
	v_mul_f32_e32 v46, v41, v16
	s_delay_alu instid0(VALU_DEP_2) | instskip(NEXT) | instid1(VALU_DEP_4)
	v_mul_f32_e32 v45, v41, v25
	v_lshl_add_u32 v42, v24, 6, v44
	s_delay_alu instid0(VALU_DEP_1) | instskip(NEXT) | instid1(VALU_DEP_1)
	v_lshlrev_b64_e32 v[42:43], 2, v[42:43]
	v_add_co_u32 v41, s0, s16, v42
	s_wait_alu 0xf1ff
	s_delay_alu instid0(VALU_DEP_2)
	v_add_co_ci_u32_e64 v42, null, s17, v43, s0
	s_and_b32 s0, vcc_lo, s4
	global_store_b64 v[41:42], v[45:46], off
	s_wait_alu 0xfffe
	s_and_saveexec_b32 s4, s0
	s_cbranch_execz .LBB56_136
; %bb.135:
	v_ashrrev_i32_e32 v25, 31, v24
	v_dual_mov_b32 v41, v8 :: v_dual_mov_b32 v42, v0
	s_delay_alu instid0(VALU_DEP_2) | instskip(NEXT) | instid1(VALU_DEP_1)
	v_lshlrev_b64_e32 v[24:25], 3, v[24:25]
	v_add_co_u32 v24, vcc_lo, s18, v24
	s_wait_alu 0xfffd
	s_delay_alu instid0(VALU_DEP_2)
	v_add_co_ci_u32_e64 v25, null, s19, v25, vcc_lo
	global_store_b64 v[24:25], v[41:42], off
.LBB56_136:
	s_wait_alu 0xfffe
	s_or_b32 exec_lo, exec_lo, s4
	v_cmp_gt_i32_e32 vcc_lo, s22, v40
	s_and_b32 exec_lo, exec_lo, vcc_lo
	s_cbranch_execz .LBB56_130
; %bb.137:
	v_cndmask_b32_e64 v8, 0, 1, s3
	v_mov_b32_e32 v0, 1.0
	s_and_not1_b32 vcc_lo, exec_lo, s3
	s_wait_alu 0xfffe
	s_cbranch_vccnz .LBB56_139
; %bb.138:
	v_div_scale_f32 v0, null, v17, v17, 1.0
	s_delay_alu instid0(VALU_DEP_1) | instskip(NEXT) | instid1(TRANS32_DEP_1)
	v_rcp_f32_e32 v16, v0
	v_fma_f32 v24, -v0, v16, 1.0
	s_delay_alu instid0(VALU_DEP_1) | instskip(SKIP_1) | instid1(VALU_DEP_1)
	v_fmac_f32_e32 v16, v24, v16
	v_div_scale_f32 v24, vcc_lo, 1.0, v17, 1.0
	v_mul_f32_e32 v25, v24, v16
	s_delay_alu instid0(VALU_DEP_1) | instskip(NEXT) | instid1(VALU_DEP_1)
	v_fma_f32 v38, -v0, v25, v24
	v_fmac_f32_e32 v25, v38, v16
	s_delay_alu instid0(VALU_DEP_1) | instskip(SKIP_1) | instid1(VALU_DEP_1)
	v_fma_f32 v0, -v0, v25, v24
	s_wait_alu 0xfffd
	v_div_fmas_f32 v0, v0, v16, v25
	s_delay_alu instid0(VALU_DEP_1)
	v_div_fixup_f32 v0, v0, v17, 1.0
.LBB56_139:
	v_dual_mov_b32 v25, 0 :: v_dual_add_nc_u32 v16, s2, v36
	v_cvt_f32_f16_e32 v36, v62
	s_delay_alu instid0(VALU_DEP_2) | instskip(NEXT) | instid1(VALU_DEP_2)
	v_mad_co_u64_u32 v[16:17], null, v16, s23, s[34:35]
	v_mul_f32_e32 v40, v0, v36
	s_delay_alu instid0(VALU_DEP_2) | instskip(SKIP_1) | instid1(VALU_DEP_1)
	v_mad_co_u64_u32 v[16:17], null, s1, v16, s[8:9]
	v_lshrrev_b32_e32 v17, 16, v62
	v_cvt_f32_f16_e32 v17, v17
	s_delay_alu instid0(VALU_DEP_3) | instskip(NEXT) | instid1(VALU_DEP_2)
	v_lshl_add_u32 v24, v16, 6, v44
	v_mul_f32_e32 v41, v0, v17
	s_delay_alu instid0(VALU_DEP_2) | instskip(NEXT) | instid1(VALU_DEP_1)
	v_lshlrev_b64_e32 v[24:25], 2, v[24:25]
	v_add_co_u32 v24, vcc_lo, s16, v24
	s_wait_alu 0xfffd
	s_delay_alu instid0(VALU_DEP_2)
	v_add_co_ci_u32_e64 v25, null, s17, v25, vcc_lo
	global_store_b64 v[24:25], v[40:41], off
	s_and_saveexec_b32 s3, s0
	s_cbranch_execz .LBB56_141
; %bb.140:
	v_ashrrev_i32_e32 v17, 31, v16
	v_mov_b32_e32 v0, v9
	s_delay_alu instid0(VALU_DEP_2) | instskip(NEXT) | instid1(VALU_DEP_1)
	v_lshlrev_b64_e32 v[16:17], 3, v[16:17]
	v_add_co_u32 v16, vcc_lo, s18, v16
	s_wait_alu 0xfffd
	s_delay_alu instid0(VALU_DEP_2)
	v_add_co_ci_u32_e64 v17, null, s19, v17, vcc_lo
	global_store_b64 v[16:17], v[0:1], off
.LBB56_141:
	s_wait_alu 0xfffe
	s_or_b32 exec_lo, exec_lo, s3
	v_cmp_gt_i32_e32 vcc_lo, s22, v39
	s_and_b32 exec_lo, exec_lo, vcc_lo
	s_cbranch_execz .LBB56_130
; %bb.142:
	v_cmp_ne_u32_e32 vcc_lo, 1, v8
	v_mov_b32_e32 v9, 1.0
	s_cbranch_vccnz .LBB56_144
; %bb.143:
	v_div_scale_f32 v0, null, v18, v18, 1.0
	s_delay_alu instid0(VALU_DEP_1) | instskip(NEXT) | instid1(TRANS32_DEP_1)
	v_rcp_f32_e32 v1, v0
	v_fma_f32 v9, -v0, v1, 1.0
	s_delay_alu instid0(VALU_DEP_1) | instskip(SKIP_1) | instid1(VALU_DEP_1)
	v_fmac_f32_e32 v1, v9, v1
	v_div_scale_f32 v9, vcc_lo, 1.0, v18, 1.0
	v_mul_f32_e32 v16, v9, v1
	s_delay_alu instid0(VALU_DEP_1) | instskip(NEXT) | instid1(VALU_DEP_1)
	v_fma_f32 v17, -v0, v16, v9
	v_fmac_f32_e32 v16, v17, v1
	s_delay_alu instid0(VALU_DEP_1) | instskip(SKIP_1) | instid1(VALU_DEP_1)
	v_fma_f32 v0, -v0, v16, v9
	s_wait_alu 0xfffd
	v_div_fmas_f32 v0, v0, v1, v16
	s_delay_alu instid0(VALU_DEP_1)
	v_div_fixup_f32 v9, v0, v18, 1.0
.LBB56_144:
	v_dual_mov_b32 v17, 0 :: v_dual_add_nc_u32 v0, s2, v35
	v_cvt_f32_f16_e32 v18, v61
	s_delay_alu instid0(VALU_DEP_2) | instskip(NEXT) | instid1(VALU_DEP_2)
	v_mad_co_u64_u32 v[0:1], null, v0, s23, s[34:35]
	v_mul_f32_e32 v24, v9, v18
	s_delay_alu instid0(VALU_DEP_2) | instskip(SKIP_1) | instid1(VALU_DEP_1)
	v_mad_co_u64_u32 v[0:1], null, s1, v0, s[8:9]
	v_lshrrev_b32_e32 v1, 16, v61
	v_cvt_f32_f16_e32 v1, v1
	s_delay_alu instid0(VALU_DEP_3) | instskip(NEXT) | instid1(VALU_DEP_2)
	v_lshl_add_u32 v16, v0, 6, v44
	v_mul_f32_e32 v25, v9, v1
	s_delay_alu instid0(VALU_DEP_2) | instskip(NEXT) | instid1(VALU_DEP_1)
	v_lshlrev_b64_e32 v[16:17], 2, v[16:17]
	v_add_co_u32 v16, vcc_lo, s16, v16
	s_wait_alu 0xfffd
	s_delay_alu instid0(VALU_DEP_2)
	v_add_co_ci_u32_e64 v17, null, s17, v17, vcc_lo
	global_store_b64 v[16:17], v[24:25], off
	s_and_saveexec_b32 s3, s0
	s_cbranch_execz .LBB56_146
; %bb.145:
	v_ashrrev_i32_e32 v1, 31, v0
	s_delay_alu instid0(VALU_DEP_1) | instskip(NEXT) | instid1(VALU_DEP_1)
	v_lshlrev_b64_e32 v[0:1], 3, v[0:1]
	v_add_co_u32 v16, vcc_lo, s18, v0
	s_wait_alu 0xfffd
	s_delay_alu instid0(VALU_DEP_2)
	v_add_co_ci_u32_e64 v17, null, s19, v1, vcc_lo
	v_mov_b32_e32 v1, v10
	global_store_b64 v[16:17], v[1:2], off
.LBB56_146:
	s_wait_alu 0xfffe
	s_or_b32 exec_lo, exec_lo, s3
	v_cmp_gt_i32_e32 vcc_lo, s22, v37
	s_and_b32 exec_lo, exec_lo, vcc_lo
	s_cbranch_execz .LBB56_130
; %bb.147:
	v_cmp_ne_u32_e32 vcc_lo, 1, v8
	v_mov_b32_e32 v2, 1.0
	s_cbranch_vccnz .LBB56_149
; %bb.148:
	v_div_scale_f32 v0, null, v19, v19, 1.0
	s_delay_alu instid0(VALU_DEP_1) | instskip(NEXT) | instid1(TRANS32_DEP_1)
	v_rcp_f32_e32 v1, v0
	v_fma_f32 v2, -v0, v1, 1.0
	s_delay_alu instid0(VALU_DEP_1) | instskip(SKIP_1) | instid1(VALU_DEP_1)
	v_fmac_f32_e32 v1, v2, v1
	v_div_scale_f32 v2, vcc_lo, 1.0, v19, 1.0
	v_mul_f32_e32 v9, v2, v1
	s_delay_alu instid0(VALU_DEP_1) | instskip(NEXT) | instid1(VALU_DEP_1)
	v_fma_f32 v10, -v0, v9, v2
	v_fmac_f32_e32 v9, v10, v1
	s_delay_alu instid0(VALU_DEP_1) | instskip(SKIP_1) | instid1(VALU_DEP_1)
	v_fma_f32 v0, -v0, v9, v2
	s_wait_alu 0xfffd
	v_div_fmas_f32 v0, v0, v1, v9
	s_delay_alu instid0(VALU_DEP_1)
	v_div_fixup_f32 v2, v0, v19, 1.0
.LBB56_149:
	v_cvt_f32_f16_e32 v16, v60
	v_add_nc_u32_e32 v0, s2, v33
	v_mov_b32_e32 v10, 0
	s_delay_alu instid0(VALU_DEP_2) | instskip(NEXT) | instid1(VALU_DEP_1)
	v_mad_co_u64_u32 v[0:1], null, v0, s23, s[34:35]
	v_mad_co_u64_u32 v[0:1], null, s1, v0, s[8:9]
	v_lshrrev_b32_e32 v1, 16, v60
	s_delay_alu instid0(VALU_DEP_1) | instskip(NEXT) | instid1(VALU_DEP_3)
	v_cvt_f32_f16_e32 v17, v1
	v_lshl_add_u32 v9, v0, 6, v44
	v_mul_f32_e32 v1, v2, v16
	s_delay_alu instid0(VALU_DEP_3) | instskip(NEXT) | instid1(VALU_DEP_3)
	v_mul_f32_e32 v2, v2, v17
	v_lshlrev_b64_e32 v[9:10], 2, v[9:10]
	s_delay_alu instid0(VALU_DEP_1) | instskip(SKIP_1) | instid1(VALU_DEP_2)
	v_add_co_u32 v9, vcc_lo, s16, v9
	s_wait_alu 0xfffd
	v_add_co_ci_u32_e64 v10, null, s17, v10, vcc_lo
	global_store_b64 v[9:10], v[1:2], off
	s_and_saveexec_b32 s3, s0
	s_cbranch_execz .LBB56_151
; %bb.150:
	v_ashrrev_i32_e32 v1, 31, v0
	v_mov_b32_e32 v2, v11
	s_delay_alu instid0(VALU_DEP_2) | instskip(NEXT) | instid1(VALU_DEP_1)
	v_lshlrev_b64_e32 v[0:1], 3, v[0:1]
	v_add_co_u32 v0, vcc_lo, s18, v0
	s_wait_alu 0xfffd
	s_delay_alu instid0(VALU_DEP_2)
	v_add_co_ci_u32_e64 v1, null, s19, v1, vcc_lo
	global_store_b64 v[0:1], v[2:3], off
.LBB56_151:
	s_wait_alu 0xfffe
	s_or_b32 exec_lo, exec_lo, s3
	v_cmp_gt_i32_e32 vcc_lo, s22, v34
	s_and_b32 exec_lo, exec_lo, vcc_lo
	s_cbranch_execz .LBB56_130
; %bb.152:
	v_cmp_ne_u32_e32 vcc_lo, 1, v8
	v_mov_b32_e32 v2, 1.0
	s_cbranch_vccnz .LBB56_154
; %bb.153:
	v_div_scale_f32 v0, null, v20, v20, 1.0
	s_delay_alu instid0(VALU_DEP_1) | instskip(NEXT) | instid1(TRANS32_DEP_1)
	v_rcp_f32_e32 v1, v0
	v_fma_f32 v2, -v0, v1, 1.0
	s_delay_alu instid0(VALU_DEP_1) | instskip(SKIP_1) | instid1(VALU_DEP_1)
	v_fmac_f32_e32 v1, v2, v1
	v_div_scale_f32 v2, vcc_lo, 1.0, v20, 1.0
	v_mul_f32_e32 v3, v2, v1
	s_delay_alu instid0(VALU_DEP_1) | instskip(NEXT) | instid1(VALU_DEP_1)
	v_fma_f32 v9, -v0, v3, v2
	v_fmac_f32_e32 v3, v9, v1
	s_delay_alu instid0(VALU_DEP_1) | instskip(SKIP_1) | instid1(VALU_DEP_1)
	v_fma_f32 v0, -v0, v3, v2
	s_wait_alu 0xfffd
	v_div_fmas_f32 v0, v0, v1, v3
	s_delay_alu instid0(VALU_DEP_1)
	v_div_fixup_f32 v2, v0, v20, 1.0
.LBB56_154:
	v_add_nc_u32_e32 v0, s2, v31
	v_cvt_f32_f16_e32 v3, v59
	v_mov_b32_e32 v10, 0
	s_delay_alu instid0(VALU_DEP_3) | instskip(NEXT) | instid1(VALU_DEP_1)
	v_mad_co_u64_u32 v[0:1], null, v0, s23, s[34:35]
	v_mad_co_u64_u32 v[0:1], null, s1, v0, s[8:9]
	v_lshrrev_b32_e32 v1, 16, v59
	s_delay_alu instid0(VALU_DEP_1) | instskip(NEXT) | instid1(VALU_DEP_3)
	v_cvt_f32_f16_e32 v11, v1
	v_lshl_add_u32 v9, v0, 6, v44
	v_mul_f32_e32 v1, v2, v3
	s_delay_alu instid0(VALU_DEP_3) | instskip(NEXT) | instid1(VALU_DEP_3)
	v_mul_f32_e32 v2, v2, v11
	v_lshlrev_b64_e32 v[9:10], 2, v[9:10]
	s_delay_alu instid0(VALU_DEP_1) | instskip(SKIP_1) | instid1(VALU_DEP_2)
	v_add_co_u32 v9, vcc_lo, s16, v9
	s_wait_alu 0xfffd
	v_add_co_ci_u32_e64 v10, null, s17, v10, vcc_lo
	global_store_b64 v[9:10], v[1:2], off
	s_and_saveexec_b32 s3, s0
	s_cbranch_execz .LBB56_156
; %bb.155:
	v_ashrrev_i32_e32 v1, 31, v0
	v_mov_b32_e32 v3, v12
	s_delay_alu instid0(VALU_DEP_2) | instskip(NEXT) | instid1(VALU_DEP_1)
	v_lshlrev_b64_e32 v[0:1], 3, v[0:1]
	v_add_co_u32 v0, vcc_lo, s18, v0
	s_wait_alu 0xfffd
	s_delay_alu instid0(VALU_DEP_2)
	v_add_co_ci_u32_e64 v1, null, s19, v1, vcc_lo
	global_store_b64 v[0:1], v[3:4], off
.LBB56_156:
	s_wait_alu 0xfffe
	s_or_b32 exec_lo, exec_lo, s3
	v_cmp_gt_i32_e32 vcc_lo, s22, v32
	s_and_b32 exec_lo, exec_lo, vcc_lo
	s_cbranch_execz .LBB56_130
; %bb.157:
	v_cmp_ne_u32_e32 vcc_lo, 1, v8
	v_mov_b32_e32 v2, 1.0
	s_cbranch_vccnz .LBB56_159
; %bb.158:
	v_div_scale_f32 v0, null, v21, v21, 1.0
	s_delay_alu instid0(VALU_DEP_1) | instskip(NEXT) | instid1(TRANS32_DEP_1)
	v_rcp_f32_e32 v1, v0
	v_fma_f32 v2, -v0, v1, 1.0
	s_delay_alu instid0(VALU_DEP_1) | instskip(SKIP_1) | instid1(VALU_DEP_1)
	v_fmac_f32_e32 v1, v2, v1
	v_div_scale_f32 v2, vcc_lo, 1.0, v21, 1.0
	v_mul_f32_e32 v3, v2, v1
	s_delay_alu instid0(VALU_DEP_1) | instskip(NEXT) | instid1(VALU_DEP_1)
	v_fma_f32 v4, -v0, v3, v2
	v_fmac_f32_e32 v3, v4, v1
	s_delay_alu instid0(VALU_DEP_1) | instskip(SKIP_1) | instid1(VALU_DEP_1)
	v_fma_f32 v0, -v0, v3, v2
	s_wait_alu 0xfffd
	v_div_fmas_f32 v0, v0, v1, v3
	s_delay_alu instid0(VALU_DEP_1)
	v_div_fixup_f32 v2, v0, v21, 1.0
.LBB56_159:
	v_cvt_f32_f16_e32 v9, v58
	v_add_nc_u32_e32 v0, s2, v30
	v_mov_b32_e32 v4, 0
	s_delay_alu instid0(VALU_DEP_2) | instskip(NEXT) | instid1(VALU_DEP_1)
	v_mad_co_u64_u32 v[0:1], null, v0, s23, s[34:35]
	v_mad_co_u64_u32 v[0:1], null, s1, v0, s[8:9]
	v_lshrrev_b32_e32 v1, 16, v58
	s_delay_alu instid0(VALU_DEP_1) | instskip(NEXT) | instid1(VALU_DEP_3)
	v_cvt_f32_f16_e32 v10, v1
	v_lshl_add_u32 v3, v0, 6, v44
	v_mul_f32_e32 v1, v2, v9
	s_delay_alu instid0(VALU_DEP_3) | instskip(NEXT) | instid1(VALU_DEP_3)
	v_mul_f32_e32 v2, v2, v10
	v_lshlrev_b64_e32 v[3:4], 2, v[3:4]
	s_delay_alu instid0(VALU_DEP_1) | instskip(SKIP_1) | instid1(VALU_DEP_2)
	v_add_co_u32 v3, vcc_lo, s16, v3
	s_wait_alu 0xfffd
	v_add_co_ci_u32_e64 v4, null, s17, v4, vcc_lo
	global_store_b64 v[3:4], v[1:2], off
	s_and_saveexec_b32 s3, s0
	s_cbranch_execz .LBB56_161
; %bb.160:
	v_ashrrev_i32_e32 v1, 31, v0
	v_mov_b32_e32 v4, v13
	s_delay_alu instid0(VALU_DEP_2) | instskip(NEXT) | instid1(VALU_DEP_1)
	v_lshlrev_b64_e32 v[0:1], 3, v[0:1]
	v_add_co_u32 v0, vcc_lo, s18, v0
	s_wait_alu 0xfffd
	s_delay_alu instid0(VALU_DEP_2)
	v_add_co_ci_u32_e64 v1, null, s19, v1, vcc_lo
	global_store_b64 v[0:1], v[4:5], off
.LBB56_161:
	s_wait_alu 0xfffe
	s_or_b32 exec_lo, exec_lo, s3
	v_cmp_gt_i32_e32 vcc_lo, s22, v28
	s_and_b32 exec_lo, exec_lo, vcc_lo
	s_cbranch_execz .LBB56_130
; %bb.162:
	v_cmp_ne_u32_e32 vcc_lo, 1, v8
	v_mov_b32_e32 v2, 1.0
	s_cbranch_vccnz .LBB56_164
; %bb.163:
	v_div_scale_f32 v0, null, v22, v22, 1.0
	s_delay_alu instid0(VALU_DEP_1) | instskip(NEXT) | instid1(TRANS32_DEP_1)
	v_rcp_f32_e32 v1, v0
	v_fma_f32 v2, -v0, v1, 1.0
	s_delay_alu instid0(VALU_DEP_1) | instskip(SKIP_1) | instid1(VALU_DEP_1)
	v_fmac_f32_e32 v1, v2, v1
	v_div_scale_f32 v2, vcc_lo, 1.0, v22, 1.0
	v_mul_f32_e32 v3, v2, v1
	s_delay_alu instid0(VALU_DEP_1) | instskip(NEXT) | instid1(VALU_DEP_1)
	v_fma_f32 v4, -v0, v3, v2
	v_fmac_f32_e32 v3, v4, v1
	s_delay_alu instid0(VALU_DEP_1) | instskip(SKIP_1) | instid1(VALU_DEP_1)
	v_fma_f32 v0, -v0, v3, v2
	s_wait_alu 0xfffd
	v_div_fmas_f32 v0, v0, v1, v3
	s_delay_alu instid0(VALU_DEP_1)
	v_div_fixup_f32 v2, v0, v22, 1.0
.LBB56_164:
	v_cvt_f32_f16_e32 v5, v57
	v_add_nc_u32_e32 v0, s2, v26
	v_mov_b32_e32 v4, 0
	s_delay_alu instid0(VALU_DEP_2) | instskip(NEXT) | instid1(VALU_DEP_1)
	v_mad_co_u64_u32 v[0:1], null, v0, s23, s[34:35]
	v_mad_co_u64_u32 v[0:1], null, s1, v0, s[8:9]
	v_lshrrev_b32_e32 v1, 16, v57
	s_delay_alu instid0(VALU_DEP_1) | instskip(NEXT) | instid1(VALU_DEP_3)
	v_cvt_f32_f16_e32 v9, v1
	v_lshl_add_u32 v3, v0, 6, v44
	v_mul_f32_e32 v1, v2, v5
	s_delay_alu instid0(VALU_DEP_3) | instskip(NEXT) | instid1(VALU_DEP_3)
	v_mul_f32_e32 v2, v2, v9
	v_lshlrev_b64_e32 v[3:4], 2, v[3:4]
	s_delay_alu instid0(VALU_DEP_1) | instskip(SKIP_1) | instid1(VALU_DEP_2)
	v_add_co_u32 v3, vcc_lo, s16, v3
	s_wait_alu 0xfffd
	v_add_co_ci_u32_e64 v4, null, s17, v4, vcc_lo
	global_store_b64 v[3:4], v[1:2], off
	s_and_saveexec_b32 s3, s0
	s_cbranch_execz .LBB56_166
; %bb.165:
	v_ashrrev_i32_e32 v1, 31, v0
	v_mov_b32_e32 v5, v14
	s_delay_alu instid0(VALU_DEP_2) | instskip(NEXT) | instid1(VALU_DEP_1)
	v_lshlrev_b64_e32 v[0:1], 3, v[0:1]
	v_add_co_u32 v0, vcc_lo, s18, v0
	s_wait_alu 0xfffd
	s_delay_alu instid0(VALU_DEP_2)
	v_add_co_ci_u32_e64 v1, null, s19, v1, vcc_lo
	global_store_b64 v[0:1], v[5:6], off
.LBB56_166:
	s_wait_alu 0xfffe
	s_or_b32 exec_lo, exec_lo, s3
	v_cmp_gt_i32_e32 vcc_lo, s22, v29
	s_and_b32 exec_lo, exec_lo, vcc_lo
	s_cbranch_execz .LBB56_130
; %bb.167:
	v_cmp_ne_u32_e32 vcc_lo, 1, v8
	v_mov_b32_e32 v2, 1.0
	s_cbranch_vccnz .LBB56_169
; %bb.168:
	v_div_scale_f32 v0, null, v23, v23, 1.0
	s_delay_alu instid0(VALU_DEP_1) | instskip(NEXT) | instid1(TRANS32_DEP_1)
	v_rcp_f32_e32 v1, v0
	v_fma_f32 v2, -v0, v1, 1.0
	s_delay_alu instid0(VALU_DEP_1) | instskip(SKIP_1) | instid1(VALU_DEP_1)
	v_fmac_f32_e32 v1, v2, v1
	v_div_scale_f32 v2, vcc_lo, 1.0, v23, 1.0
	v_mul_f32_e32 v3, v2, v1
	s_delay_alu instid0(VALU_DEP_1) | instskip(NEXT) | instid1(VALU_DEP_1)
	v_fma_f32 v4, -v0, v3, v2
	v_fmac_f32_e32 v3, v4, v1
	s_delay_alu instid0(VALU_DEP_1) | instskip(SKIP_1) | instid1(VALU_DEP_1)
	v_fma_f32 v0, -v0, v3, v2
	s_wait_alu 0xfffd
	v_div_fmas_f32 v0, v0, v1, v3
	s_delay_alu instid0(VALU_DEP_1)
	v_div_fixup_f32 v2, v0, v23, 1.0
.LBB56_169:
	v_cvt_f32_f16_e32 v5, v56
	v_add_nc_u32_e32 v0, s2, v27
	v_mov_b32_e32 v4, 0
	s_delay_alu instid0(VALU_DEP_2) | instskip(NEXT) | instid1(VALU_DEP_1)
	v_mad_co_u64_u32 v[0:1], null, v0, s23, s[34:35]
	v_mad_co_u64_u32 v[0:1], null, s1, v0, s[8:9]
	v_lshrrev_b32_e32 v1, 16, v56
	s_delay_alu instid0(VALU_DEP_1) | instskip(NEXT) | instid1(VALU_DEP_3)
	v_cvt_f32_f16_e32 v6, v1
	v_lshl_add_u32 v3, v0, 6, v44
	v_mul_f32_e32 v1, v2, v5
	s_delay_alu instid0(VALU_DEP_3) | instskip(NEXT) | instid1(VALU_DEP_3)
	v_mul_f32_e32 v2, v2, v6
	v_lshlrev_b64_e32 v[3:4], 2, v[3:4]
	s_delay_alu instid0(VALU_DEP_1) | instskip(SKIP_1) | instid1(VALU_DEP_2)
	v_add_co_u32 v3, vcc_lo, s16, v3
	s_wait_alu 0xfffd
	v_add_co_ci_u32_e64 v4, null, s17, v4, vcc_lo
	global_store_b64 v[3:4], v[1:2], off
	s_and_b32 exec_lo, exec_lo, s0
	s_cbranch_execz .LBB56_130
; %bb.170:
	v_ashrrev_i32_e32 v1, 31, v0
	v_mov_b32_e32 v6, v15
	s_delay_alu instid0(VALU_DEP_2) | instskip(NEXT) | instid1(VALU_DEP_1)
	v_lshlrev_b64_e32 v[0:1], 3, v[0:1]
	v_add_co_u32 v0, vcc_lo, s18, v0
	s_wait_alu 0xfffd
	s_delay_alu instid0(VALU_DEP_2)
	v_add_co_ci_u32_e64 v1, null, s19, v1, vcc_lo
	global_store_b64 v[0:1], v[6:7], off
	s_nop 0
	s_sendmsg sendmsg(MSG_DEALLOC_VGPRS)
	s_endpgm
	.section	.rodata,"a",@progbits
	.p2align	6, 0x0
	.amdhsa_kernel _ZL15flash_attn_tileILi64ELi64ELi32ELi1ELb0EEvPKcS1_S1_S1_S1_PKiPfP15HIP_vector_typeIfLj2EEffffjfiS5_IjLj3EEiiiiiiiiiiiliiliiiiil
		.amdhsa_group_segment_fixed_size 17408
		.amdhsa_private_segment_fixed_size 32
		.amdhsa_kernarg_size 464
		.amdhsa_user_sgpr_count 2
		.amdhsa_user_sgpr_dispatch_ptr 0
		.amdhsa_user_sgpr_queue_ptr 0
		.amdhsa_user_sgpr_kernarg_segment_ptr 1
		.amdhsa_user_sgpr_dispatch_id 0
		.amdhsa_user_sgpr_private_segment_size 0
		.amdhsa_wavefront_size32 1
		.amdhsa_uses_dynamic_stack 0
		.amdhsa_enable_private_segment 1
		.amdhsa_system_sgpr_workgroup_id_x 1
		.amdhsa_system_sgpr_workgroup_id_y 1
		.amdhsa_system_sgpr_workgroup_id_z 1
		.amdhsa_system_sgpr_workgroup_info 0
		.amdhsa_system_vgpr_workitem_id 1
		.amdhsa_next_free_vgpr 193
		.amdhsa_next_free_sgpr 47
		.amdhsa_reserve_vcc 1
		.amdhsa_float_round_mode_32 0
		.amdhsa_float_round_mode_16_64 0
		.amdhsa_float_denorm_mode_32 3
		.amdhsa_float_denorm_mode_16_64 3
		.amdhsa_fp16_overflow 0
		.amdhsa_workgroup_processor_mode 1
		.amdhsa_memory_ordered 1
		.amdhsa_forward_progress 1
		.amdhsa_inst_pref_size 255
		.amdhsa_round_robin_scheduling 0
		.amdhsa_exception_fp_ieee_invalid_op 0
		.amdhsa_exception_fp_denorm_src 0
		.amdhsa_exception_fp_ieee_div_zero 0
		.amdhsa_exception_fp_ieee_overflow 0
		.amdhsa_exception_fp_ieee_underflow 0
		.amdhsa_exception_fp_ieee_inexact 0
		.amdhsa_exception_int_div_zero 0
	.end_amdhsa_kernel
	.section	.text._ZL15flash_attn_tileILi64ELi64ELi32ELi1ELb0EEvPKcS1_S1_S1_S1_PKiPfP15HIP_vector_typeIfLj2EEffffjfiS5_IjLj3EEiiiiiiiiiiiliiliiiiil,"axG",@progbits,_ZL15flash_attn_tileILi64ELi64ELi32ELi1ELb0EEvPKcS1_S1_S1_S1_PKiPfP15HIP_vector_typeIfLj2EEffffjfiS5_IjLj3EEiiiiiiiiiiiliiliiiiil,comdat
.Lfunc_end56:
	.size	_ZL15flash_attn_tileILi64ELi64ELi32ELi1ELb0EEvPKcS1_S1_S1_S1_PKiPfP15HIP_vector_typeIfLj2EEffffjfiS5_IjLj3EEiiiiiiiiiiiliiliiiiil, .Lfunc_end56-_ZL15flash_attn_tileILi64ELi64ELi32ELi1ELb0EEvPKcS1_S1_S1_S1_PKiPfP15HIP_vector_typeIfLj2EEffffjfiS5_IjLj3EEiiiiiiiiiiiliiliiiiil
                                        ; -- End function
	.set _ZL15flash_attn_tileILi64ELi64ELi32ELi1ELb0EEvPKcS1_S1_S1_S1_PKiPfP15HIP_vector_typeIfLj2EEffffjfiS5_IjLj3EEiiiiiiiiiiiliiliiiiil.num_vgpr, 155
	.set _ZL15flash_attn_tileILi64ELi64ELi32ELi1ELb0EEvPKcS1_S1_S1_S1_PKiPfP15HIP_vector_typeIfLj2EEffffjfiS5_IjLj3EEiiiiiiiiiiiliiliiiiil.num_agpr, 0
	.set _ZL15flash_attn_tileILi64ELi64ELi32ELi1ELb0EEvPKcS1_S1_S1_S1_PKiPfP15HIP_vector_typeIfLj2EEffffjfiS5_IjLj3EEiiiiiiiiiiiliiliiiiil.numbered_sgpr, 47
	.set _ZL15flash_attn_tileILi64ELi64ELi32ELi1ELb0EEvPKcS1_S1_S1_S1_PKiPfP15HIP_vector_typeIfLj2EEffffjfiS5_IjLj3EEiiiiiiiiiiiliiliiiiil.num_named_barrier, 0
	.set _ZL15flash_attn_tileILi64ELi64ELi32ELi1ELb0EEvPKcS1_S1_S1_S1_PKiPfP15HIP_vector_typeIfLj2EEffffjfiS5_IjLj3EEiiiiiiiiiiiliiliiiiil.private_seg_size, 32
	.set _ZL15flash_attn_tileILi64ELi64ELi32ELi1ELb0EEvPKcS1_S1_S1_S1_PKiPfP15HIP_vector_typeIfLj2EEffffjfiS5_IjLj3EEiiiiiiiiiiiliiliiiiil.uses_vcc, 1
	.set _ZL15flash_attn_tileILi64ELi64ELi32ELi1ELb0EEvPKcS1_S1_S1_S1_PKiPfP15HIP_vector_typeIfLj2EEffffjfiS5_IjLj3EEiiiiiiiiiiiliiliiiiil.uses_flat_scratch, 1
	.set _ZL15flash_attn_tileILi64ELi64ELi32ELi1ELb0EEvPKcS1_S1_S1_S1_PKiPfP15HIP_vector_typeIfLj2EEffffjfiS5_IjLj3EEiiiiiiiiiiiliiliiiiil.has_dyn_sized_stack, 0
	.set _ZL15flash_attn_tileILi64ELi64ELi32ELi1ELb0EEvPKcS1_S1_S1_S1_PKiPfP15HIP_vector_typeIfLj2EEffffjfiS5_IjLj3EEiiiiiiiiiiiliiliiiiil.has_recursion, 0
	.set _ZL15flash_attn_tileILi64ELi64ELi32ELi1ELb0EEvPKcS1_S1_S1_S1_PKiPfP15HIP_vector_typeIfLj2EEffffjfiS5_IjLj3EEiiiiiiiiiiiliiliiiiil.has_indirect_call, 0
	.section	.AMDGPU.csdata,"",@progbits
; Kernel info:
; codeLenInByte = 51720
; TotalNumSgprs: 49
; NumVgprs: 155
; ScratchSize: 32
; MemoryBound: 0
; FloatMode: 240
; IeeeMode: 1
; LDSByteSize: 17408 bytes/workgroup (compile time only)
; SGPRBlocks: 0
; VGPRBlocks: 24
; NumSGPRsForWavesPerEU: 49
; NumVGPRsForWavesPerEU: 193
; Occupancy: 7
; WaveLimiterHint : 0
; COMPUTE_PGM_RSRC2:SCRATCH_EN: 1
; COMPUTE_PGM_RSRC2:USER_SGPR: 2
; COMPUTE_PGM_RSRC2:TRAP_HANDLER: 0
; COMPUTE_PGM_RSRC2:TGID_X_EN: 1
; COMPUTE_PGM_RSRC2:TGID_Y_EN: 1
; COMPUTE_PGM_RSRC2:TGID_Z_EN: 1
; COMPUTE_PGM_RSRC2:TIDIG_COMP_CNT: 1
	.section	.text._ZL33flash_attn_stream_k_fixup_uniformILi64ELi32ELi1EEvPfPK15HIP_vector_typeIfLj2EEiiiiiiS1_IjLj3EES5_S5_,"axG",@progbits,_ZL33flash_attn_stream_k_fixup_uniformILi64ELi32ELi1EEvPfPK15HIP_vector_typeIfLj2EEiiiiiiS1_IjLj3EES5_S5_,comdat
	.globl	_ZL33flash_attn_stream_k_fixup_uniformILi64ELi32ELi1EEvPfPK15HIP_vector_typeIfLj2EEiiiiiiS1_IjLj3EES5_S5_ ; -- Begin function _ZL33flash_attn_stream_k_fixup_uniformILi64ELi32ELi1EEvPfPK15HIP_vector_typeIfLj2EEiiiiiiS1_IjLj3EES5_S5_
	.p2align	8
	.type	_ZL33flash_attn_stream_k_fixup_uniformILi64ELi32ELi1EEvPfPK15HIP_vector_typeIfLj2EEiiiiiiS1_IjLj3EES5_S5_,@function
_ZL33flash_attn_stream_k_fixup_uniformILi64ELi32ELi1EEvPfPK15HIP_vector_typeIfLj2EEiiiiiiS1_IjLj3EES5_S5_: ; @_ZL33flash_attn_stream_k_fixup_uniformILi64ELi32ELi1EEvPfPK15HIP_vector_typeIfLj2EEiiiiiiS1_IjLj3EES5_S5_
; %bb.0:
	s_clause 0x1
	s_load_b256 s[4:11], s[0:1], 0x1c
	s_load_b128 s[12:15], s[0:1], 0x3c
	s_wait_kmcnt 0x0
	s_mul_hi_u32 s2, s7, ttmp9
	s_delay_alu instid0(SALU_CYCLE_1) | instskip(NEXT) | instid1(SALU_CYCLE_1)
	s_add_co_i32 s2, ttmp9, s2
	s_lshr_b32 s2, s2, s8
	s_delay_alu instid0(SALU_CYCLE_1) | instskip(SKIP_2) | instid1(SALU_CYCLE_1)
	s_mul_i32 s3, s2, s9
	s_load_b64 s[8:9], s[0:1], 0x10
	s_sub_co_i32 s7, ttmp9, s3
	s_mul_hi_u32 s3, s7, s10
	s_delay_alu instid0(SALU_CYCLE_1) | instskip(NEXT) | instid1(SALU_CYCLE_1)
	s_add_co_i32 s3, s7, s3
	s_lshr_b32 s3, s3, s11
	s_delay_alu instid0(SALU_CYCLE_1) | instskip(NEXT) | instid1(SALU_CYCLE_1)
	s_mul_i32 s10, s3, s12
	s_sub_co_i32 s7, s7, s10
	s_delay_alu instid0(SALU_CYCLE_1) | instskip(NEXT) | instid1(SALU_CYCLE_1)
	s_mul_hi_u32 s10, s7, s13
	s_add_co_i32 s10, s7, s10
	s_delay_alu instid0(SALU_CYCLE_1) | instskip(NEXT) | instid1(SALU_CYCLE_1)
	s_lshr_b32 s11, s10, s14
	s_mul_i32 s10, s11, s15
	s_delay_alu instid0(SALU_CYCLE_1) | instskip(SKIP_2) | instid1(SALU_CYCLE_1)
	s_sub_co_i32 s12, s7, s10
	s_and_b32 s7, ttmp7, 0xffff
	s_lshl_b32 s10, s12, 5
	s_add_co_i32 s13, s10, s7
	s_lshr_b32 s10, ttmp7, 16
	s_wait_kmcnt 0x0
	s_cmp_lt_i32 s13, s8
	s_cselect_b32 s13, -1, 0
	s_add_co_i32 s14, s11, s10
	s_delay_alu instid0(SALU_CYCLE_1) | instskip(SKIP_1) | instid1(SALU_CYCLE_1)
	s_cmp_lt_i32 s14, s5
	s_cselect_b32 s14, -1, 0
	s_and_b32 s13, s13, s14
	s_delay_alu instid0(SALU_CYCLE_1)
	s_and_not1_b32 vcc_lo, exec_lo, s13
	s_cbranch_vccnz .LBB57_6
; %bb.1:
	s_mul_i32 s2, s2, s8
	s_mul_i32 s5, s3, s5
	s_add_co_i32 s2, s2, s7
	s_delay_alu instid0(SALU_CYCLE_1) | instskip(NEXT) | instid1(SALU_CYCLE_1)
	s_mul_i32 s2, s2, s9
	s_add_co_i32 s8, s2, s10
	s_load_b128 s[0:3], s[0:1], 0x0
	s_add_co_i32 s5, s8, s5
	s_mul_i32 s8, s9, s12
	s_add_co_i32 s5, s5, s11
	s_lshl_b32 s8, s8, 11
	s_lshl_b32 s5, s5, 6
	s_add_co_i32 s9, s7, s10
	s_add_co_i32 s8, s8, s5
	s_delay_alu instid0(SALU_CYCLE_1) | instskip(SKIP_3) | instid1(SALU_CYCLE_1)
	v_or_b32_e32 v1, s8, v0
	s_mul_i32 s8, s6, ttmp9
	s_wait_alu 0xfffe
	s_add_co_i32 s5, s8, s6
	s_add_co_i32 s7, s5, -2
	v_ashrrev_i32_e32 v2, 31, v1
	s_delay_alu instid0(VALU_DEP_1) | instskip(SKIP_1) | instid1(VALU_DEP_1)
	v_lshlrev_b64_e32 v[1:2], 2, v[1:2]
	s_wait_kmcnt 0x0
	v_add_co_u32 v1, vcc_lo, s0, v1
	s_delay_alu instid0(VALU_DEP_1)
	v_add_co_ci_u32_e64 v2, null, s1, v2, vcc_lo
	s_lshl_b32 s0, s5, 5
	s_wait_alu 0xfffe
	s_add_co_i32 s0, s9, s0
	global_load_b32 v5, v[1:2], off
	s_wait_alu 0xfffe
	s_sub_co_i32 s0, s0, 32
	s_wait_alu 0xfffe
	s_ashr_i32 s1, s0, 31
	s_wait_alu 0xfffe
	s_lshl_b64 s[0:1], s[0:1], 3
	s_cmp_lt_i32 s7, s8
	s_wait_alu 0xfffe
	s_add_nc_u64 s[0:1], s[2:3], s[0:1]
	s_load_b32 s10, s[0:1], 0x4
	s_cbranch_scc1 .LBB57_4
; %bb.2:
	s_load_b32 s0, s[0:1], 0x0
	s_add_co_i32 s7, ttmp9, 1
	s_wait_kmcnt 0x0
	v_mov_b32_e32 v6, s10
	s_mul_i32 s1, s6, s7
	s_lshl_b32 s7, s9, 6
	s_wait_alu 0xfffe
	s_lshl_b32 s11, s1, 11
	s_lshl_b32 s6, s4, 7
	s_wait_alu 0xfffe
	s_add_co_i32 s11, s7, s11
	s_lshl_b32 s1, s1, 5
	s_wait_alu 0xfffe
	v_or_b32_e32 v0, s11, v0
	s_ashr_i32 s7, s6, 31
	s_add_co_i32 s1, s9, s1
	s_lshl_b32 s4, s4, 5
	s_lshl_b64 s[6:7], s[6:7], 2
	v_add_nc_u32_e32 v3, 0xfffff000, v0
	s_wait_alu 0xfffe
	s_add_co_i32 s4, s1, s4
	s_add_nc_u64 s[6:7], s[2:3], s[6:7]
	s_add_co_i32 s1, s5, -1
	s_sub_co_i32 s4, s4, 64
.LBB57_3:                               ; =>This Inner Loop Header: Depth=1
	v_ashrrev_i32_e32 v4, 31, v3
	s_ashr_i32 s5, s4, 31
	v_mov_b32_e32 v10, v6
	s_lshl_b64 s[10:11], s[4:5], 3
	s_wait_loadcnt 0x0
	v_mov_b32_e32 v9, v5
	v_lshlrev_b64_e32 v[7:8], 2, v[3:4]
	s_wait_alu 0xfffe
	s_add_nc_u64 s[10:11], s[2:3], s[10:11]
	v_max_num_f32_e64 v4, s0, s0
	s_load_b64 s[10:11], s[10:11], 0x0
	v_add_nc_u32_e32 v3, 0xfffff800, v3
	v_add_co_u32 v7, vcc_lo, s6, v7
	s_wait_alu 0xfffd
	v_add_co_ci_u32_e64 v8, null, s7, v8, vcc_lo
	v_readfirstlane_b32 s5, v4
	global_load_b32 v0, v[7:8], off
	s_wait_kmcnt 0x0
	v_max_num_f32_e64 v4, s10, s10
	s_delay_alu instid0(VALU_DEP_1) | instskip(SKIP_1) | instid1(SALU_CYCLE_3)
	v_readfirstlane_b32 s9, v4
	s_max_num_f32 s5, s5, s9
	s_sub_f32 s0, s0, s5
	s_sub_f32 s9, s10, s5
	s_wait_alu 0xfffe
	s_delay_alu instid0(SALU_CYCLE_1) | instskip(NEXT) | instid1(SALU_CYCLE_1)
	s_mul_f32 s10, s0, 0x3fb8aa3b
	s_mul_f32 s12, s9, 0x3fb8aa3b
	s_wait_alu 0xfffe
	s_delay_alu instid0(SALU_CYCLE_1)
	s_xor_b32 s13, s10, 0x80000000
	s_rndne_f32 s14, s10
	s_fmamk_f32 s13, s0, 0x3fb8aa3b, s13
	s_cmp_nlt_f32 s0, 0xc2ce8ed0
	s_rndne_f32 s15, s12
	s_wait_alu 0xfffe
	s_sub_f32 s10, s10, s14
	s_fmamk_f32 s13, s0, 0x32a5705f, s13
	s_cvt_i32_f32 s14, s14
	s_cselect_b32 vcc_lo, -1, 0
	s_cmp_ngt_f32 s0, 0x42b17218
	s_wait_alu 0xfffe
	s_add_f32 s10, s10, s13
	s_sub_f32 s13, s12, s15
	s_wait_alu 0xfffe
	s_delay_alu instid0(SALU_CYCLE_1) | instskip(SKIP_1) | instid1(TRANS32_DEP_1)
	v_s_exp_f32 s10, s10
	s_wait_alu 0xf1ff
	v_ldexp_f32 v4, s10, s14
	s_cvt_i32_f32 s10, s15
	s_delay_alu instid0(VALU_DEP_1) | instskip(SKIP_3) | instid1(VALU_DEP_1)
	v_cndmask_b32_e32 v4, 0, v4, vcc_lo
	s_cselect_b32 vcc_lo, -1, 0
	s_cmp_ge_f32 s0, 0xc1a00000
	s_wait_alu 0xfffe
	v_cndmask_b32_e32 v4, 0x7f800000, v4, vcc_lo
	s_cselect_b32 vcc_lo, -1, 0
	s_xor_b32 s0, s12, 0x80000000
	s_cmp_nlt_f32 s9, 0xc2ce8ed0
	s_wait_alu 0xfffe
	s_fmamk_f32 s0, s9, 0x3fb8aa3b, s0
	s_wait_alu 0xfffe
	s_delay_alu instid0(SALU_CYCLE_2) | instskip(SKIP_1) | instid1(SALU_CYCLE_2)
	s_fmamk_f32 s0, s9, 0x32a5705f, s0
	s_wait_alu 0xfffe
	s_add_f32 s0, s13, s0
	s_wait_alu 0xfffe
	s_delay_alu instid0(SALU_CYCLE_2) | instskip(SKIP_1) | instid1(TRANS32_DEP_1)
	v_s_exp_f32 s0, s0
	s_wait_alu 0xf1ff
	v_ldexp_f32 v7, s0, s10
	s_cselect_b32 s0, -1, 0
	s_cmp_ngt_f32 s9, 0x42b17218
	s_wait_alu 0xfffe
	s_delay_alu instid0(VALU_DEP_1) | instskip(SKIP_3) | instid1(VALU_DEP_1)
	v_cndmask_b32_e64 v7, 0, v7, s0
	s_cselect_b32 s0, -1, 0
	s_cmp_ge_f32 s9, 0xc1a00000
	s_wait_alu 0xfffe
	v_cndmask_b32_e64 v7, 0x7f800000, v7, s0
	s_cselect_b32 s0, -1, 0
	s_add_co_i32 s1, s1, -1
	s_sub_co_i32 s4, s4, 32
	s_wait_alu 0xfffe
	s_cmp_le_i32 s1, s8
	v_cndmask_b32_e64 v7, 0, v7, s0
	s_mov_b32 s0, s5
	s_wait_loadcnt 0x0
	s_delay_alu instid0(VALU_DEP_1) | instskip(NEXT) | instid1(VALU_DEP_1)
	v_dual_mul_f32 v5, v0, v7 :: v_dual_cndmask_b32 v4, 0, v4
	v_dual_mul_f32 v8, s11, v7 :: v_dual_fmac_f32 v5, v9, v4
	s_delay_alu instid0(VALU_DEP_1) | instskip(NEXT) | instid1(VALU_DEP_1)
	v_mov_b32_e32 v6, v8
	v_fmac_f32_e32 v6, v10, v4
	s_cbranch_scc0 .LBB57_3
	s_branch .LBB57_5
.LBB57_4:
	s_wait_kmcnt 0x0
	v_mov_b32_e32 v6, s10
.LBB57_5:
	s_wait_loadcnt 0x0
	s_delay_alu instid0(VALU_DEP_1) | instskip(NEXT) | instid1(VALU_DEP_1)
	v_div_scale_f32 v0, null, v6, v6, v5
	v_rcp_f32_e32 v3, v0
	s_delay_alu instid0(TRANS32_DEP_1) | instskip(NEXT) | instid1(VALU_DEP_1)
	v_fma_f32 v4, -v0, v3, 1.0
	v_fmac_f32_e32 v3, v4, v3
	v_div_scale_f32 v4, vcc_lo, v5, v6, v5
	s_delay_alu instid0(VALU_DEP_1) | instskip(NEXT) | instid1(VALU_DEP_1)
	v_mul_f32_e32 v7, v4, v3
	v_fma_f32 v8, -v0, v7, v4
	s_delay_alu instid0(VALU_DEP_1) | instskip(NEXT) | instid1(VALU_DEP_1)
	v_fmac_f32_e32 v7, v8, v3
	v_fma_f32 v0, -v0, v7, v4
	s_wait_alu 0xfffd
	s_delay_alu instid0(VALU_DEP_1) | instskip(NEXT) | instid1(VALU_DEP_1)
	v_div_fmas_f32 v0, v0, v3, v7
	v_div_fixup_f32 v0, v0, v6, v5
	global_store_b32 v[1:2], v0, off
.LBB57_6:
	s_endpgm
	.section	.rodata,"a",@progbits
	.p2align	6, 0x0
	.amdhsa_kernel _ZL33flash_attn_stream_k_fixup_uniformILi64ELi32ELi1EEvPfPK15HIP_vector_typeIfLj2EEiiiiiiS1_IjLj3EES5_S5_
		.amdhsa_group_segment_fixed_size 0
		.amdhsa_private_segment_fixed_size 0
		.amdhsa_kernarg_size 76
		.amdhsa_user_sgpr_count 2
		.amdhsa_user_sgpr_dispatch_ptr 0
		.amdhsa_user_sgpr_queue_ptr 0
		.amdhsa_user_sgpr_kernarg_segment_ptr 1
		.amdhsa_user_sgpr_dispatch_id 0
		.amdhsa_user_sgpr_private_segment_size 0
		.amdhsa_wavefront_size32 1
		.amdhsa_uses_dynamic_stack 0
		.amdhsa_enable_private_segment 0
		.amdhsa_system_sgpr_workgroup_id_x 1
		.amdhsa_system_sgpr_workgroup_id_y 1
		.amdhsa_system_sgpr_workgroup_id_z 1
		.amdhsa_system_sgpr_workgroup_info 0
		.amdhsa_system_vgpr_workitem_id 0
		.amdhsa_next_free_vgpr 11
		.amdhsa_next_free_sgpr 16
		.amdhsa_reserve_vcc 1
		.amdhsa_float_round_mode_32 0
		.amdhsa_float_round_mode_16_64 0
		.amdhsa_float_denorm_mode_32 3
		.amdhsa_float_denorm_mode_16_64 3
		.amdhsa_fp16_overflow 0
		.amdhsa_workgroup_processor_mode 1
		.amdhsa_memory_ordered 1
		.amdhsa_forward_progress 1
		.amdhsa_inst_pref_size 9
		.amdhsa_round_robin_scheduling 0
		.amdhsa_exception_fp_ieee_invalid_op 0
		.amdhsa_exception_fp_denorm_src 0
		.amdhsa_exception_fp_ieee_div_zero 0
		.amdhsa_exception_fp_ieee_overflow 0
		.amdhsa_exception_fp_ieee_underflow 0
		.amdhsa_exception_fp_ieee_inexact 0
		.amdhsa_exception_int_div_zero 0
	.end_amdhsa_kernel
	.section	.text._ZL33flash_attn_stream_k_fixup_uniformILi64ELi32ELi1EEvPfPK15HIP_vector_typeIfLj2EEiiiiiiS1_IjLj3EES5_S5_,"axG",@progbits,_ZL33flash_attn_stream_k_fixup_uniformILi64ELi32ELi1EEvPfPK15HIP_vector_typeIfLj2EEiiiiiiS1_IjLj3EES5_S5_,comdat
.Lfunc_end57:
	.size	_ZL33flash_attn_stream_k_fixup_uniformILi64ELi32ELi1EEvPfPK15HIP_vector_typeIfLj2EEiiiiiiS1_IjLj3EES5_S5_, .Lfunc_end57-_ZL33flash_attn_stream_k_fixup_uniformILi64ELi32ELi1EEvPfPK15HIP_vector_typeIfLj2EEiiiiiiS1_IjLj3EES5_S5_
                                        ; -- End function
	.set _ZL33flash_attn_stream_k_fixup_uniformILi64ELi32ELi1EEvPfPK15HIP_vector_typeIfLj2EEiiiiiiS1_IjLj3EES5_S5_.num_vgpr, 11
	.set _ZL33flash_attn_stream_k_fixup_uniformILi64ELi32ELi1EEvPfPK15HIP_vector_typeIfLj2EEiiiiiiS1_IjLj3EES5_S5_.num_agpr, 0
	.set _ZL33flash_attn_stream_k_fixup_uniformILi64ELi32ELi1EEvPfPK15HIP_vector_typeIfLj2EEiiiiiiS1_IjLj3EES5_S5_.numbered_sgpr, 16
	.set _ZL33flash_attn_stream_k_fixup_uniformILi64ELi32ELi1EEvPfPK15HIP_vector_typeIfLj2EEiiiiiiS1_IjLj3EES5_S5_.num_named_barrier, 0
	.set _ZL33flash_attn_stream_k_fixup_uniformILi64ELi32ELi1EEvPfPK15HIP_vector_typeIfLj2EEiiiiiiS1_IjLj3EES5_S5_.private_seg_size, 0
	.set _ZL33flash_attn_stream_k_fixup_uniformILi64ELi32ELi1EEvPfPK15HIP_vector_typeIfLj2EEiiiiiiS1_IjLj3EES5_S5_.uses_vcc, 1
	.set _ZL33flash_attn_stream_k_fixup_uniformILi64ELi32ELi1EEvPfPK15HIP_vector_typeIfLj2EEiiiiiiS1_IjLj3EES5_S5_.uses_flat_scratch, 0
	.set _ZL33flash_attn_stream_k_fixup_uniformILi64ELi32ELi1EEvPfPK15HIP_vector_typeIfLj2EEiiiiiiS1_IjLj3EES5_S5_.has_dyn_sized_stack, 0
	.set _ZL33flash_attn_stream_k_fixup_uniformILi64ELi32ELi1EEvPfPK15HIP_vector_typeIfLj2EEiiiiiiS1_IjLj3EES5_S5_.has_recursion, 0
	.set _ZL33flash_attn_stream_k_fixup_uniformILi64ELi32ELi1EEvPfPK15HIP_vector_typeIfLj2EEiiiiiiS1_IjLj3EES5_S5_.has_indirect_call, 0
	.section	.AMDGPU.csdata,"",@progbits
; Kernel info:
; codeLenInByte = 1120
; TotalNumSgprs: 18
; NumVgprs: 11
; ScratchSize: 0
; MemoryBound: 0
; FloatMode: 240
; IeeeMode: 1
; LDSByteSize: 0 bytes/workgroup (compile time only)
; SGPRBlocks: 0
; VGPRBlocks: 1
; NumSGPRsForWavesPerEU: 18
; NumVGPRsForWavesPerEU: 11
; Occupancy: 16
; WaveLimiterHint : 0
; COMPUTE_PGM_RSRC2:SCRATCH_EN: 0
; COMPUTE_PGM_RSRC2:USER_SGPR: 2
; COMPUTE_PGM_RSRC2:TRAP_HANDLER: 0
; COMPUTE_PGM_RSRC2:TGID_X_EN: 1
; COMPUTE_PGM_RSRC2:TGID_Y_EN: 1
; COMPUTE_PGM_RSRC2:TGID_Z_EN: 1
; COMPUTE_PGM_RSRC2:TIDIG_COMP_CNT: 0
	.section	.text._ZL33flash_attn_stream_k_fixup_generalILi64ELi32ELi1EEvPfPK15HIP_vector_typeIfLj2EEiiiiS1_IjLj3EES5_S5_S5_,"axG",@progbits,_ZL33flash_attn_stream_k_fixup_generalILi64ELi32ELi1EEvPfPK15HIP_vector_typeIfLj2EEiiiiS1_IjLj3EES5_S5_S5_,comdat
	.globl	_ZL33flash_attn_stream_k_fixup_generalILi64ELi32ELi1EEvPfPK15HIP_vector_typeIfLj2EEiiiiS1_IjLj3EES5_S5_S5_ ; -- Begin function _ZL33flash_attn_stream_k_fixup_generalILi64ELi32ELi1EEvPfPK15HIP_vector_typeIfLj2EEiiiiS1_IjLj3EES5_S5_S5_
	.p2align	8
	.type	_ZL33flash_attn_stream_k_fixup_generalILi64ELi32ELi1EEvPfPK15HIP_vector_typeIfLj2EEiiiiS1_IjLj3EES5_S5_S5_,@function
_ZL33flash_attn_stream_k_fixup_generalILi64ELi32ELi1EEvPfPK15HIP_vector_typeIfLj2EEiiiiS1_IjLj3EES5_S5_S5_: ; @_ZL33flash_attn_stream_k_fixup_generalILi64ELi32ELi1EEvPfPK15HIP_vector_typeIfLj2EEiiiiS1_IjLj3EES5_S5_S5_
; %bb.0:
	s_clause 0x1
	s_load_b128 s[4:7], s[0:1], 0x10
	s_load_b32 s16, s[0:1], 0x50
	s_mov_b32 s2, ttmp9
	s_ashr_i32 s3, ttmp9, 31
	s_mov_b32 s17, 0
	s_delay_alu instid0(SALU_CYCLE_1) | instskip(SKIP_3) | instid1(SALU_CYCLE_1)
	s_mov_b32 s8, s17
	s_wait_kmcnt 0x0
	s_ashr_i32 s19, s7, 31
	s_mov_b32 s18, s7
	s_mul_u64 s[2:3], s[18:19], s[2:3]
	s_delay_alu instid0(SALU_CYCLE_1) | instskip(NEXT) | instid1(SALU_CYCLE_1)
	s_mov_b32 s9, s3
	s_cmp_lg_u64 s[8:9], 0
	s_cbranch_scc0 .LBB58_21
; %bb.1:
	s_add_nc_u64 s[8:9], s[16:17], 0
	s_mov_b32 s15, s17
	s_xor_b64 s[8:9], s[8:9], 0
	s_mov_b32 s23, s17
	s_cvt_f32_u32 s7, s8
	s_cvt_f32_u32 s10, s9
	s_sub_nc_u64 s[12:13], 0, s[8:9]
	s_delay_alu instid0(SALU_CYCLE_2) | instskip(NEXT) | instid1(SALU_CYCLE_3)
	s_fmamk_f32 s7, s10, 0x4f800000, s7
	v_s_rcp_f32 s7, s7
	s_delay_alu instid0(TRANS32_DEP_1) | instskip(SKIP_1) | instid1(SALU_CYCLE_2)
	s_mul_f32 s7, s7, 0x5f7ffffc
	s_wait_alu 0xfffe
	s_mul_f32 s10, s7, 0x2f800000
	s_delay_alu instid0(SALU_CYCLE_3) | instskip(NEXT) | instid1(SALU_CYCLE_3)
	s_trunc_f32 s10, s10
	s_fmamk_f32 s7, s10, 0xcf800000, s7
	s_cvt_u32_f32 s11, s10
	s_wait_alu 0xfffe
	s_delay_alu instid0(SALU_CYCLE_1) | instskip(NEXT) | instid1(SALU_CYCLE_3)
	s_cvt_u32_f32 s10, s7
	s_mul_u64 s[20:21], s[12:13], s[10:11]
	s_delay_alu instid0(SALU_CYCLE_1)
	s_mul_hi_u32 s25, s10, s21
	s_mul_i32 s24, s10, s21
	s_mul_hi_u32 s14, s10, s20
	s_mul_i32 s22, s11, s20
	s_add_nc_u64 s[14:15], s[14:15], s[24:25]
	s_mul_hi_u32 s7, s11, s20
	s_mul_hi_u32 s26, s11, s21
	s_add_co_u32 s14, s14, s22
	s_wait_alu 0xfffe
	s_add_co_ci_u32 s22, s15, s7
	s_mul_i32 s20, s11, s21
	s_add_co_ci_u32 s21, s26, 0
	s_delay_alu instid0(SALU_CYCLE_1)
	s_add_nc_u64 s[14:15], s[22:23], s[20:21]
	s_mov_b32 s21, s17
	s_add_co_u32 s10, s10, s14
	s_cselect_b32 s7, -1, 0
	s_wait_alu 0xfffe
	s_cmp_lg_u32 s7, 0
	s_add_co_ci_u32 s11, s11, s15
	s_mov_b32 s15, s17
	s_mul_u64 s[12:13], s[12:13], s[10:11]
	s_delay_alu instid0(SALU_CYCLE_1)
	s_mul_hi_u32 s23, s10, s13
	s_mul_i32 s22, s10, s13
	s_mul_hi_u32 s14, s10, s12
	s_mul_i32 s20, s11, s12
	s_add_nc_u64 s[14:15], s[14:15], s[22:23]
	s_mul_hi_u32 s7, s11, s12
	s_mul_hi_u32 s24, s11, s13
	s_mul_i32 s12, s11, s13
	s_add_co_u32 s13, s14, s20
	s_wait_alu 0xfffe
	s_add_co_ci_u32 s20, s15, s7
	s_add_co_ci_u32 s13, s24, 0
	s_mov_b32 s15, s17
	s_add_nc_u64 s[12:13], s[20:21], s[12:13]
	s_delay_alu instid0(SALU_CYCLE_1) | instskip(SKIP_1) | instid1(SALU_CYCLE_1)
	s_add_co_u32 s7, s10, s12
	s_cselect_b32 s10, -1, 0
	s_cmp_lg_u32 s10, 0
	s_add_co_ci_u32 s20, s11, s13
	s_ashr_i32 s10, s3, 31
	s_delay_alu instid0(SALU_CYCLE_1) | instskip(NEXT) | instid1(SALU_CYCLE_1)
	s_mov_b32 s11, s10
	s_add_nc_u64 s[12:13], s[2:3], s[10:11]
	s_delay_alu instid0(SALU_CYCLE_1) | instskip(NEXT) | instid1(SALU_CYCLE_1)
	s_xor_b64 s[12:13], s[12:13], s[10:11]
	s_mul_hi_u32 s23, s12, s20
	s_mul_i32 s22, s12, s20
	s_wait_alu 0xfffe
	s_mul_hi_u32 s14, s12, s7
	s_mul_hi_u32 s24, s13, s7
	s_mul_i32 s7, s13, s7
	s_add_nc_u64 s[14:15], s[14:15], s[22:23]
	s_mul_hi_u32 s3, s13, s20
	s_wait_alu 0xfffe
	s_add_co_u32 s7, s14, s7
	s_mul_i32 s22, s13, s20
	s_add_co_ci_u32 s20, s15, s24
	s_add_co_ci_u32 s23, s3, 0
	s_delay_alu instid0(SALU_CYCLE_1) | instskip(NEXT) | instid1(SALU_CYCLE_1)
	s_add_nc_u64 s[14:15], s[20:21], s[22:23]
	s_mul_u64 s[20:21], s[8:9], s[14:15]
	s_delay_alu instid0(SALU_CYCLE_1)
	s_sub_co_u32 s3, s12, s20
	s_cselect_b32 s7, -1, 0
	s_sub_co_i32 s12, s13, s21
	s_wait_alu 0xfffe
	s_cmp_lg_u32 s7, 0
	s_sub_co_ci_u32 s12, s12, s9
	s_sub_co_u32 s20, s3, s8
	s_cselect_b32 s22, -1, 0
	s_delay_alu instid0(SALU_CYCLE_1) | instskip(SKIP_2) | instid1(SALU_CYCLE_1)
	s_cmp_lg_u32 s22, 0
	s_add_nc_u64 s[22:23], s[14:15], 1
	s_sub_co_ci_u32 s12, s12, 0
	s_cmp_ge_u32 s12, s9
	s_cselect_b32 s24, -1, 0
	s_cmp_ge_u32 s20, s8
	s_cselect_b32 s20, -1, 0
	s_cmp_eq_u32 s12, s9
	s_cselect_b32 s12, s20, s24
	s_add_nc_u64 s[24:25], s[14:15], 2
	s_cmp_lg_u32 s12, 0
	s_cselect_b32 s12, s24, s22
	s_cselect_b32 s20, s25, s23
	s_cmp_lg_u32 s7, 0
	s_sub_co_ci_u32 s7, s13, s21
	s_wait_alu 0xfffe
	s_cmp_ge_u32 s7, s9
	s_cselect_b32 s13, -1, 0
	s_cmp_ge_u32 s3, s8
	s_cselect_b32 s3, -1, 0
	s_cmp_eq_u32 s7, s9
	s_cselect_b32 s3, s3, s13
	s_delay_alu instid0(SALU_CYCLE_1) | instskip(SKIP_4) | instid1(SALU_CYCLE_1)
	s_cmp_lg_u32 s3, 0
	s_mov_b32 s3, s17
	s_cselect_b32 s9, s20, s15
	s_cselect_b32 s8, s12, s14
	s_xor_b64 s[10:11], s[10:11], 0
	s_xor_b64 s[8:9], s[8:9], s[10:11]
	s_delay_alu instid0(SALU_CYCLE_1)
	s_sub_nc_u64 s[20:21], s[8:9], s[10:11]
	s_and_not1_b32 vcc_lo, exec_lo, s3
	s_cbranch_vccnz .LBB58_3
.LBB58_2:
	v_cvt_f32_u32_e32 v1, s16
	s_sub_co_i32 s7, 0, s16
	s_delay_alu instid0(VALU_DEP_1) | instskip(NEXT) | instid1(TRANS32_DEP_1)
	v_rcp_iflag_f32_e32 v1, v1
	v_mul_f32_e32 v1, 0x4f7ffffe, v1
	s_delay_alu instid0(VALU_DEP_1) | instskip(NEXT) | instid1(VALU_DEP_1)
	v_cvt_u32_f32_e32 v1, v1
	v_readfirstlane_b32 s3, v1
	s_wait_alu 0xfffe
	s_mul_i32 s7, s7, s3
	s_wait_alu 0xfffe
	s_mul_hi_u32 s7, s3, s7
	s_wait_alu 0xfffe
	s_add_co_i32 s3, s3, s7
	s_delay_alu instid0(SALU_CYCLE_1) | instskip(NEXT) | instid1(SALU_CYCLE_1)
	s_mul_hi_u32 s3, s2, s3
	s_mul_i32 s7, s3, s16
	s_wait_alu 0xfffe
	s_sub_co_i32 s2, s2, s7
	s_add_co_i32 s7, s3, 1
	s_sub_co_i32 s8, s2, s16
	s_cmp_ge_u32 s2, s16
	s_wait_alu 0xfffe
	s_cselect_b32 s3, s7, s3
	s_cselect_b32 s2, s8, s2
	s_add_co_i32 s7, s3, 1
	s_cmp_ge_u32 s2, s16
	s_wait_alu 0xfffe
	s_cselect_b32 s20, s7, s3
.LBB58_3:
	s_add_co_i32 s2, ttmp9, 1
	s_mov_b32 s8, 0
	s_ashr_i32 s3, s2, 31
	s_delay_alu instid0(SALU_CYCLE_1) | instskip(NEXT) | instid1(SALU_CYCLE_1)
	s_mul_u64 s[2:3], s[18:19], s[2:3]
	s_mov_b32 s9, s3
	s_delay_alu instid0(SALU_CYCLE_1)
	s_cmp_lg_u64 s[8:9], 0
	s_cbranch_scc0 .LBB58_22
; %bb.4:
	s_add_nc_u64 s[10:11], s[16:17], 0
	s_mov_b32 s23, s8
	s_xor_b64 s[10:11], s[10:11], 0
	s_mov_b32 s27, s8
	s_cvt_f32_u32 s7, s10
	s_cvt_f32_u32 s9, s11
	s_sub_nc_u64 s[14:15], 0, s[10:11]
	s_wait_alu 0xfffe
	s_delay_alu instid0(SALU_CYCLE_1) | instskip(SKIP_1) | instid1(SALU_CYCLE_2)
	s_fmamk_f32 s7, s9, 0x4f800000, s7
	s_wait_alu 0xfffe
	v_s_rcp_f32 s7, s7
	s_delay_alu instid0(TRANS32_DEP_1) | instskip(SKIP_1) | instid1(SALU_CYCLE_2)
	s_mul_f32 s7, s7, 0x5f7ffffc
	s_wait_alu 0xfffe
	s_mul_f32 s9, s7, 0x2f800000
	s_delay_alu instid0(SALU_CYCLE_3) | instskip(NEXT) | instid1(SALU_CYCLE_3)
	s_trunc_f32 s9, s9
	s_fmamk_f32 s7, s9, 0xcf800000, s7
	s_cvt_u32_f32 s13, s9
	s_wait_alu 0xfffe
	s_delay_alu instid0(SALU_CYCLE_1) | instskip(NEXT) | instid1(SALU_CYCLE_3)
	s_cvt_u32_f32 s12, s7
	s_mul_u64 s[24:25], s[14:15], s[12:13]
	s_delay_alu instid0(SALU_CYCLE_1)
	s_mul_hi_u32 s29, s12, s25
	s_mul_i32 s28, s12, s25
	s_mul_hi_u32 s22, s12, s24
	s_mul_i32 s9, s13, s24
	s_add_nc_u64 s[22:23], s[22:23], s[28:29]
	s_mul_hi_u32 s7, s13, s24
	s_mul_hi_u32 s21, s13, s25
	s_add_co_u32 s9, s22, s9
	s_wait_alu 0xfffe
	s_add_co_ci_u32 s26, s23, s7
	s_mul_i32 s24, s13, s25
	s_add_co_ci_u32 s25, s21, 0
	s_delay_alu instid0(SALU_CYCLE_1)
	s_add_nc_u64 s[22:23], s[26:27], s[24:25]
	s_mov_b32 s25, s8
	s_add_co_u32 s12, s12, s22
	s_cselect_b32 s7, -1, 0
	s_wait_alu 0xfffe
	s_cmp_lg_u32 s7, 0
	s_add_co_ci_u32 s13, s13, s23
	s_mov_b32 s23, s8
	s_mul_u64 s[14:15], s[14:15], s[12:13]
	s_delay_alu instid0(SALU_CYCLE_1)
	s_mul_hi_u32 s27, s12, s15
	s_mul_i32 s26, s12, s15
	s_mul_hi_u32 s22, s12, s14
	s_mul_i32 s9, s13, s14
	s_add_nc_u64 s[22:23], s[22:23], s[26:27]
	s_mul_hi_u32 s7, s13, s14
	s_mul_hi_u32 s21, s13, s15
	s_add_co_u32 s9, s22, s9
	s_wait_alu 0xfffe
	s_add_co_ci_u32 s24, s23, s7
	s_mul_i32 s14, s13, s15
	s_add_co_ci_u32 s15, s21, 0
	s_mov_b32 s23, s8
	s_add_nc_u64 s[14:15], s[24:25], s[14:15]
	s_delay_alu instid0(SALU_CYCLE_1) | instskip(SKIP_1) | instid1(SALU_CYCLE_1)
	s_add_co_u32 s7, s12, s14
	s_cselect_b32 s9, -1, 0
	s_cmp_lg_u32 s9, 0
	s_add_co_ci_u32 s9, s13, s15
	s_ashr_i32 s12, s3, 31
	s_delay_alu instid0(SALU_CYCLE_1) | instskip(NEXT) | instid1(SALU_CYCLE_1)
	s_mov_b32 s13, s12
	s_add_nc_u64 s[14:15], s[2:3], s[12:13]
	s_delay_alu instid0(SALU_CYCLE_1) | instskip(NEXT) | instid1(SALU_CYCLE_1)
	s_xor_b64 s[14:15], s[14:15], s[12:13]
	s_mul_hi_u32 s27, s14, s9
	s_mul_i32 s26, s14, s9
	s_wait_alu 0xfffe
	s_mul_hi_u32 s22, s14, s7
	s_mul_hi_u32 s21, s15, s7
	s_mul_i32 s7, s15, s7
	s_add_nc_u64 s[22:23], s[22:23], s[26:27]
	s_mul_hi_u32 s3, s15, s9
	s_wait_alu 0xfffe
	s_add_co_u32 s7, s22, s7
	s_add_co_ci_u32 s24, s23, s21
	s_mul_i32 s26, s15, s9
	s_add_co_ci_u32 s27, s3, 0
	s_delay_alu instid0(SALU_CYCLE_1) | instskip(NEXT) | instid1(SALU_CYCLE_1)
	s_add_nc_u64 s[22:23], s[24:25], s[26:27]
	s_mul_u64 s[24:25], s[10:11], s[22:23]
	s_add_nc_u64 s[26:27], s[22:23], 1
	s_sub_co_u32 s3, s14, s24
	s_cselect_b32 s7, -1, 0
	s_sub_co_i32 s9, s15, s25
	s_wait_alu 0xfffe
	s_cmp_lg_u32 s7, 0
	s_add_nc_u64 s[28:29], s[22:23], 2
	s_sub_co_ci_u32 s9, s9, s11
	s_sub_co_u32 s14, s3, s10
	s_cselect_b32 s21, -1, 0
	s_delay_alu instid0(SALU_CYCLE_1) | instskip(SKIP_1) | instid1(SALU_CYCLE_1)
	s_cmp_lg_u32 s21, 0
	s_sub_co_ci_u32 s9, s9, 0
	s_cmp_ge_u32 s9, s11
	s_cselect_b32 s21, -1, 0
	s_cmp_ge_u32 s14, s10
	s_cselect_b32 s14, -1, 0
	s_cmp_eq_u32 s9, s11
	s_cselect_b32 s9, s14, s21
	s_delay_alu instid0(SALU_CYCLE_1)
	s_cmp_lg_u32 s9, 0
	s_cselect_b32 s9, s28, s26
	s_cselect_b32 s14, s29, s27
	s_cmp_lg_u32 s7, 0
	s_sub_co_ci_u32 s7, s15, s25
	s_wait_alu 0xfffe
	s_cmp_ge_u32 s7, s11
	s_cselect_b32 s15, -1, 0
	s_cmp_ge_u32 s3, s10
	s_cselect_b32 s3, -1, 0
	s_cmp_eq_u32 s7, s11
	s_cselect_b32 s3, s3, s15
	s_delay_alu instid0(SALU_CYCLE_1) | instskip(SKIP_3) | instid1(SALU_CYCLE_1)
	s_cmp_lg_u32 s3, 0
	s_cselect_b32 s11, s14, s23
	s_cselect_b32 s10, s9, s22
	s_xor_b64 s[12:13], s[12:13], 0
	s_xor_b64 s[10:11], s[10:11], s[12:13]
	s_delay_alu instid0(SALU_CYCLE_1)
	s_sub_nc_u64 s[10:11], s[10:11], s[12:13]
	s_load_b96 s[12:14], s[0:1], 0x44
	s_and_not1_b32 vcc_lo, exec_lo, s8
	s_cbranch_vccnz .LBB58_6
.LBB58_5:
	v_cvt_f32_u32_e32 v1, s16
	s_sub_co_i32 s7, 0, s16
	s_delay_alu instid0(VALU_DEP_1) | instskip(NEXT) | instid1(TRANS32_DEP_1)
	v_rcp_iflag_f32_e32 v1, v1
	v_mul_f32_e32 v1, 0x4f7ffffe, v1
	s_delay_alu instid0(VALU_DEP_1) | instskip(NEXT) | instid1(VALU_DEP_1)
	v_cvt_u32_f32_e32 v1, v1
	v_readfirstlane_b32 s3, v1
	s_wait_alu 0xfffe
	s_mul_i32 s7, s7, s3
	s_wait_alu 0xfffe
	s_mul_hi_u32 s7, s3, s7
	s_wait_alu 0xfffe
	s_add_co_i32 s3, s3, s7
	s_delay_alu instid0(SALU_CYCLE_1) | instskip(NEXT) | instid1(SALU_CYCLE_1)
	s_mul_hi_u32 s3, s2, s3
	s_mul_i32 s7, s3, s16
	s_wait_alu 0xfffe
	s_sub_co_i32 s2, s2, s7
	s_add_co_i32 s7, s3, 1
	s_sub_co_i32 s8, s2, s16
	s_cmp_ge_u32 s2, s16
	s_wait_alu 0xfffe
	s_cselect_b32 s3, s7, s3
	s_cselect_b32 s2, s8, s2
	s_add_co_i32 s7, s3, 1
	s_cmp_ge_u32 s2, s16
	s_wait_alu 0xfffe
	s_cselect_b32 s10, s7, s3
.LBB58_6:
	s_mov_b32 s21, 0
	s_wait_kmcnt 0x0
	s_mov_b32 s22, s12
	s_mov_b32 s23, s21
	s_cmp_eq_u32 s20, s10
	s_mul_u64 s[2:3], s[20:21], s[22:23]
	s_cselect_b32 s7, -1, 0
	s_add_co_i32 s2, s3, s20
	s_mov_b32 s11, s21
	s_lshr_b32 s12, s2, s13
	s_mul_u64 s[2:3], s[10:11], s[22:23]
	s_mul_i32 s2, s12, s14
	s_delay_alu instid0(SALU_CYCLE_1) | instskip(SKIP_2) | instid1(SALU_CYCLE_1)
	s_cmp_eq_u32 s2, s20
	s_cselect_b32 s2, -1, 0
	s_add_co_i32 s3, s3, s10
	s_lshr_b32 s3, s3, s13
	s_delay_alu instid0(SALU_CYCLE_1)
	s_cmp_eq_u32 s12, s3
	s_mul_i32 s3, s3, s14
	s_cselect_b32 s8, -1, 0
	s_cmp_lg_u32 s3, s10
	s_cselect_b32 s3, -1, 0
	s_wait_alu 0xfffe
	s_or_b32 s2, s7, s2
	s_and_b32 s3, s8, s3
	s_delay_alu instid0(SALU_CYCLE_1) | instskip(NEXT) | instid1(SALU_CYCLE_1)
	s_or_b32 s2, s2, s3
	s_and_b32 vcc_lo, exec_lo, s2
	s_cbranch_vccnz .LBB58_24
; %bb.7:
	s_load_b256 s[24:31], s[0:1], 0x20
	s_mov_b32 s3, s21
	s_and_b32 s15, ttmp7, 0xffff
	s_wait_kmcnt 0x0
	s_mov_b32 s2, s24
	s_delay_alu instid0(SALU_CYCLE_1) | instskip(NEXT) | instid1(SALU_CYCLE_1)
	s_mul_u64 s[2:3], s[20:21], s[2:3]
	s_add_co_i32 s2, s3, s20
	s_delay_alu instid0(SALU_CYCLE_1) | instskip(SKIP_4) | instid1(SALU_CYCLE_1)
	s_lshr_b32 s3, s2, s25
	s_load_b32 s2, s[0:1], 0x40
	s_mul_i32 s7, s3, s26
	s_wait_alu 0xfffe
	s_sub_co_i32 s8, s20, s7
	s_mul_hi_u32 s7, s8, s27
	s_wait_alu 0xfffe
	s_add_co_i32 s7, s8, s7
	s_wait_alu 0xfffe
	s_lshr_b32 s7, s7, s28
	s_wait_alu 0xfffe
	s_mul_i32 s9, s7, s29
	s_delay_alu instid0(SALU_CYCLE_1) | instskip(NEXT) | instid1(SALU_CYCLE_1)
	s_sub_co_i32 s8, s8, s9
	s_mul_hi_u32 s9, s8, s30
	s_delay_alu instid0(SALU_CYCLE_1) | instskip(NEXT) | instid1(SALU_CYCLE_1)
	s_add_co_i32 s9, s8, s9
	s_lshr_b32 s24, s9, s31
	s_mov_b32 s9, s21
	s_wait_kmcnt 0x0
	s_mul_i32 s2, s24, s2
	s_delay_alu instid0(SALU_CYCLE_1) | instskip(NEXT) | instid1(SALU_CYCLE_1)
	s_sub_co_i32 s8, s8, s2
	s_mul_u64 s[10:11], s[8:9], s[22:23]
	s_delay_alu instid0(SALU_CYCLE_1) | instskip(NEXT) | instid1(SALU_CYCLE_1)
	s_add_co_i32 s2, s8, s11
	s_lshr_b32 s21, s2, s13
	s_delay_alu instid0(SALU_CYCLE_1) | instskip(NEXT) | instid1(SALU_CYCLE_1)
	s_lshl_b32 s2, s21, 5
	s_add_co_i32 s8, s2, s15
	s_lshr_b32 s2, ttmp7, 16
	s_cmp_lt_i32 s8, s4
	s_cselect_b32 s8, -1, 0
	s_add_co_i32 s9, s24, s2
	s_delay_alu instid0(SALU_CYCLE_1) | instskip(SKIP_1) | instid1(SALU_CYCLE_1)
	s_cmp_lt_i32 s9, s6
	s_cselect_b32 s9, -1, 0
	s_and_b32 s8, s8, s9
	s_delay_alu instid0(SALU_CYCLE_1)
	s_and_not1_b32 vcc_lo, exec_lo, s8
	s_cbranch_vccnz .LBB58_24
; %bb.8:
	s_mul_i32 s3, s3, s4
	s_mul_i32 s7, s7, s6
	s_add_co_i32 s3, s3, s15
	s_load_b128 s[8:11], s[0:1], 0x0
	s_mul_i32 s3, s3, s5
	s_mul_i32 s1, s5, s21
	s_add_co_i32 s3, s3, s2
	s_lshl_b32 s1, s1, 11
	s_add_co_i32 s0, s3, s7
	s_add_co_i32 s15, s15, s2
	;; [unrolled: 1-line block ×3, first 2 shown]
	v_cvt_f32_u32_e32 v4, s16
	s_lshl_b32 s0, s0, 6
	s_add_co_i32 s34, ttmp9, -1
	s_add_co_i32 s1, s1, s0
	s_delay_alu instid0(VALU_DEP_1)
	v_rcp_iflag_f32_e32 v4, v4
	v_or_b32_e32 v1, s1, v0
	s_add_nc_u64 s[0:1], s[16:17], 0
	v_lshl_or_b32 v0, s15, 6, v0
	s_wait_alu 0xfffe
	s_xor_b64 s[6:7], s[0:1], 0
	s_lshl_b32 s0, ttmp9, 5
	v_ashrrev_i32_e32 v2, 31, v1
	s_wait_alu 0xfffe
	s_cvt_f32_u32 s1, s6
	s_cvt_f32_u32 s2, s7
	s_add_co_i32 s0, s0, s15
	s_sub_nc_u64 s[30:31], 0, s[6:7]
	v_lshlrev_b64_e32 v[1:2], 2, v[1:2]
	s_wait_alu 0xfffe
	s_fmamk_f32 s2, s2, 0x4f800000, s1
	s_ashr_i32 s1, s0, 31
	s_wait_alu 0xfffe
	s_lshl_b64 s[0:1], s[0:1], 3
	v_s_rcp_f32 s2, s2
	s_wait_kmcnt 0x0
	v_add_co_u32 v1, vcc_lo, s8, v1
	s_delay_alu instid0(VALU_DEP_1)
	v_add_co_ci_u32_e64 v2, null, s9, v2, vcc_lo
	s_wait_alu 0xfffe
	s_add_nc_u64 s[0:1], s[10:11], s[0:1]
	s_mov_b32 s8, 0
	s_load_b64 s[26:27], s[0:1], 0x0
	global_load_b32 v3, v[1:2], off
	s_mul_f32 s2, s2, 0x5f7ffffc
	v_mul_f32_e32 v4, 0x4f7ffffe, v4
	s_lshl_b32 s0, s16, 7
	s_wait_alu 0xfffe
	s_mul_f32 s1, s2, 0x2f800000
	s_wait_alu 0xfffe
	s_delay_alu instid0(SALU_CYCLE_2)
	s_trunc_f32 s3, s1
	s_mov_b32 s1, s8
	s_wait_alu 0xfffe
	s_lshl_b64 s[0:1], s[0:1], 2
	s_fmamk_f32 s2, s3, 0xcf800000, s2
	s_cvt_u32_f32 s29, s3
	s_wait_alu 0xfffe
	s_add_nc_u64 s[24:25], s[10:11], s[0:1]
	s_cvt_u32_f32 s28, s2
	s_wait_kmcnt 0x0
	v_mov_b32_e32 v5, s27
	v_cvt_u32_f32_e32 v4, v4
.LBB58_9:                               ; =>This Inner Loop Header: Depth=1
	s_wait_alu 0xfffe
	s_ashr_i32 s35, s34, 31
	s_mov_b32 s2, -1
	s_wait_alu 0xfffe
	s_mul_u64 s[0:1], s[34:35], s[18:19]
                                        ; implicit-def: $sgpr38_sgpr39
	s_wait_alu 0xfffe
	s_mov_b32 s9, s1
	s_wait_alu 0xfffe
	s_cmp_lg_u64 s[8:9], 0
	s_cbranch_scc0 .LBB58_11
; %bb.10:                               ;   in Loop: Header=BB58_9 Depth=1
	s_mul_u64 s[2:3], s[30:31], s[28:29]
	s_mov_b32 s37, s8
	s_wait_alu 0xfffe
	s_mul_hi_u32 s5, s28, s3
	s_mul_i32 s4, s28, s3
	s_mul_hi_u32 s36, s28, s2
	s_mul_hi_u32 s9, s29, s2
	s_wait_alu 0xfffe
	s_add_nc_u64 s[4:5], s[36:37], s[4:5]
	s_mul_i32 s2, s29, s2
	s_mul_hi_u32 s17, s29, s3
	s_wait_alu 0xfffe
	s_add_co_u32 s2, s4, s2
	s_add_co_ci_u32 s2, s5, s9
	s_add_co_ci_u32 s5, s17, 0
	s_mul_i32 s4, s29, s3
	s_mov_b32 s3, s8
	s_mov_b32 s39, s8
	s_wait_alu 0xfffe
	s_add_nc_u64 s[2:3], s[2:3], s[4:5]
	s_wait_alu 0xfffe
	s_add_co_u32 s2, s28, s2
	s_cselect_b32 s4, -1, 0
	s_wait_alu 0xfffe
	s_cmp_lg_u32 s4, 0
	s_add_co_ci_u32 s3, s29, s3
	s_wait_alu 0xfffe
	s_mul_u64 s[4:5], s[30:31], s[2:3]
	s_wait_alu 0xfffe
	s_mul_hi_u32 s37, s2, s5
	s_mul_i32 s36, s2, s5
	s_mul_hi_u32 s38, s2, s4
	s_mul_hi_u32 s9, s3, s4
	s_mul_i32 s4, s3, s4
	s_wait_alu 0xfffe
	s_add_nc_u64 s[36:37], s[38:39], s[36:37]
	s_mul_hi_u32 s17, s3, s5
	s_wait_alu 0xfffe
	s_add_co_u32 s4, s36, s4
	s_add_co_ci_u32 s4, s37, s9
	s_add_co_ci_u32 s37, s17, 0
	s_mul_i32 s36, s3, s5
	s_mov_b32 s5, s8
	s_wait_alu 0xfffe
	s_add_nc_u64 s[4:5], s[4:5], s[36:37]
	s_mov_b32 s37, s8
	s_wait_alu 0xfffe
	s_add_co_u32 s9, s2, s4
	s_cselect_b32 s2, -1, 0
	s_wait_alu 0xfffe
	s_cmp_lg_u32 s2, 0
	s_add_co_ci_u32 s17, s3, s5
	s_ashr_i32 s2, s1, 31
	s_wait_alu 0xfffe
	s_mov_b32 s3, s2
	s_wait_alu 0xfffe
	s_add_nc_u64 s[4:5], s[0:1], s[2:3]
	s_wait_alu 0xfffe
	s_xor_b64 s[4:5], s[4:5], s[2:3]
	s_wait_alu 0xfffe
	s_mul_hi_u32 s39, s4, s17
	s_mul_i32 s38, s4, s17
	s_mul_hi_u32 s36, s4, s9
	s_mul_i32 s21, s5, s9
	s_wait_alu 0xfffe
	s_add_nc_u64 s[36:37], s[36:37], s[38:39]
	s_mul_hi_u32 s9, s5, s9
	s_mul_hi_u32 s1, s5, s17
	s_wait_alu 0xfffe
	s_add_co_u32 s21, s36, s21
	s_add_co_ci_u32 s36, s37, s9
	s_add_co_ci_u32 s39, s1, 0
	s_mul_i32 s38, s5, s17
	s_mov_b32 s37, s8
	s_wait_alu 0xfffe
	s_add_nc_u64 s[36:37], s[36:37], s[38:39]
	s_wait_alu 0xfffe
	s_mul_u64 s[38:39], s[6:7], s[36:37]
	s_add_nc_u64 s[40:41], s[36:37], 1
	s_sub_co_u32 s1, s4, s38
	s_cselect_b32 s4, -1, 0
	s_sub_co_i32 s9, s5, s39
	s_wait_alu 0xfffe
	s_cmp_lg_u32 s4, 0
	s_add_nc_u64 s[42:43], s[36:37], 2
	s_sub_co_ci_u32 s9, s9, s7
	s_sub_co_u32 s17, s1, s6
	s_cselect_b32 s21, -1, 0
	s_delay_alu instid0(SALU_CYCLE_1)
	s_cmp_lg_u32 s21, 0
	s_wait_alu 0xfffe
	s_sub_co_ci_u32 s9, s9, 0
	s_wait_alu 0xfffe
	s_cmp_ge_u32 s9, s7
	s_cselect_b32 s21, -1, 0
	s_cmp_ge_u32 s17, s6
	s_cselect_b32 s17, -1, 0
	s_cmp_eq_u32 s9, s7
	s_wait_alu 0xfffe
	s_cselect_b32 s9, s17, s21
	s_wait_alu 0xfffe
	s_cmp_lg_u32 s9, 0
	s_cselect_b32 s9, s42, s40
	s_cselect_b32 s17, s43, s41
	s_cmp_lg_u32 s4, 0
	s_sub_co_ci_u32 s4, s5, s39
	s_wait_alu 0xfffe
	s_cmp_ge_u32 s4, s7
	s_cselect_b32 s5, -1, 0
	s_cmp_ge_u32 s1, s6
	s_cselect_b32 s1, -1, 0
	s_cmp_eq_u32 s4, s7
	s_wait_alu 0xfffe
	s_cselect_b32 s1, s1, s5
	s_wait_alu 0xfffe
	s_cmp_lg_u32 s1, 0
	s_cselect_b32 s5, s17, s37
	s_cselect_b32 s4, s9, s36
	s_xor_b64 s[2:3], s[2:3], 0
	s_wait_alu 0xfffe
	s_xor_b64 s[4:5], s[4:5], s[2:3]
	s_wait_alu 0xfffe
	s_sub_nc_u64 s[38:39], s[4:5], s[2:3]
	s_mov_b32 s2, 0
.LBB58_11:                              ;   in Loop: Header=BB58_9 Depth=1
	s_wait_alu 0xfffe
	s_and_not1_b32 vcc_lo, exec_lo, s2
	s_wait_alu 0xfffe
	s_cbranch_vccnz .LBB58_13
; %bb.12:                               ;   in Loop: Header=BB58_9 Depth=1
	v_readfirstlane_b32 s1, v4
	s_sub_co_i32 s2, 0, s16
	s_wait_alu 0xfffe
	s_mul_i32 s2, s2, s1
	s_wait_alu 0xfffe
	s_mul_hi_u32 s2, s1, s2
	s_wait_alu 0xfffe
	s_add_co_i32 s1, s1, s2
	s_wait_alu 0xfffe
	s_mul_hi_u32 s1, s0, s1
	s_wait_alu 0xfffe
	s_mul_i32 s2, s1, s16
	s_wait_alu 0xfffe
	s_sub_co_i32 s0, s0, s2
	s_add_co_i32 s2, s1, 1
	s_wait_alu 0xfffe
	s_sub_co_i32 s3, s0, s16
	s_cmp_ge_u32 s0, s16
	s_cselect_b32 s1, s2, s1
	s_wait_alu 0xfffe
	s_cselect_b32 s0, s3, s0
	s_add_co_i32 s2, s1, 1
	s_wait_alu 0xfffe
	s_cmp_ge_u32 s0, s16
	s_cselect_b32 s38, s2, s1
.LBB58_13:                              ;   in Loop: Header=BB58_9 Depth=1
	v_readfirstlane_b32 s9, v0
	s_cmp_lg_u32 s20, s38
	s_mov_b32 s0, -1
                                        ; implicit-def: $sgpr21
                                        ; implicit-def: $vgpr6
                                        ; implicit-def: $vgpr7
                                        ; implicit-def: $sgpr17
                                        ; implicit-def: $sgpr27
	s_cbranch_scc1 .LBB58_16
; %bb.14:                               ;   in Loop: Header=BB58_9 Depth=1
	s_wait_alu 0xfffe
	s_and_not1_b32 vcc_lo, exec_lo, s0
	s_wait_alu 0xfffe
	s_cbranch_vccz .LBB58_19
.LBB58_15:                              ;   in Loop: Header=BB58_9 Depth=1
	s_and_not1_b32 vcc_lo, exec_lo, s21
	s_wait_alu 0xfffe
	s_cbranch_vccnz .LBB58_20
	s_branch .LBB58_23
.LBB58_16:                              ;   in Loop: Header=BB58_9 Depth=1
	s_add_co_i32 s0, s34, s16
	s_mov_b32 s1, s8
	s_wait_alu 0xfffe
	s_lshl_b32 s0, s0, 5
	v_max_num_f32_e64 v6, s26, s26
	s_wait_alu 0xfffe
	s_add_co_i32 s0, s0, s15
	s_mov_b32 s39, s8
	s_wait_alu 0xfffe
	s_lshl_b64 s[0:1], s[0:1], 3
	s_mul_u64 s[40:41], s[38:39], s[22:23]
	s_wait_alu 0xfffe
	s_add_nc_u64 s[0:1], s[10:11], s[0:1]
	s_mov_b32 s27, s20
	s_load_b64 s[36:37], s[0:1], 0x0
	v_readfirstlane_b32 s0, v6
	s_wait_kmcnt 0x0
	v_max_num_f32_e64 v7, s36, s36
	s_delay_alu instid0(VALU_DEP_1) | instskip(SKIP_2) | instid1(SALU_CYCLE_2)
	v_readfirstlane_b32 s1, v7
	s_max_num_f32 s9, s0, s1
	s_wait_alu 0xfffe
	s_sub_f32 s33, s26, s9
	s_sub_f32 s35, s36, s9
	s_wait_alu 0xfffe
	s_delay_alu instid0(SALU_CYCLE_1)
	s_cmp_nlt_f32 s33, 0xc2ce8ed0
	s_cselect_b32 s0, -1, 0
	s_cmp_ngt_f32 s33, 0x42b17218
	s_cselect_b32 s1, -1, 0
	s_cmp_ge_f32 s33, 0xc1a00000
	s_cselect_b32 s2, -1, 0
	s_cmp_nlt_f32 s35, 0xc2ce8ed0
	s_cselect_b32 s3, -1, 0
	s_cmp_ngt_f32 s35, 0x42b17218
	s_cselect_b32 s4, -1, 0
	s_cmp_ge_f32 s35, 0xc1a00000
	s_cselect_b32 s5, -1, 0
	s_add_co_i32 s17, s41, s38
	s_wait_alu 0xfffe
	s_lshr_b32 s17, s17, s13
	s_wait_alu 0xfffe
	s_mul_i32 s21, s17, s14
	s_delay_alu instid0(SALU_CYCLE_1)
	s_cmp_eq_u32 s21, s38
	s_cselect_b32 s21, -1, 0
	s_cmp_lt_u32 s17, s12
	s_cselect_b32 s17, -1, 0
	s_wait_alu 0xfffe
	s_or_b32 s17, s17, s21
	s_mov_b32 s21, -1
	s_wait_alu 0xfffe
	s_and_b32 vcc_lo, exec_lo, s17
	s_mov_b32 s17, s34
	s_wait_alu 0xfffe
	s_cbranch_vccnz .LBB58_18
; %bb.17:                               ;   in Loop: Header=BB58_9 Depth=1
	s_add_co_i32 s17, s34, -1
	s_mov_b32 s21, 0
	s_mov_b32 s27, s38
.LBB58_18:                              ;   in Loop: Header=BB58_9 Depth=1
	v_lshl_add_u32 v6, s34, 11, v0
	s_mul_f32 s36, s35, 0x3fb8aa3b
	s_mul_f32 s38, s33, 0x3fb8aa3b
	s_wait_alu 0xfffe
	s_delay_alu instid0(SALU_CYCLE_1)
	s_xor_b32 s39, s36, 0x80000000
	v_ashrrev_i32_e32 v7, 31, v6
	s_rndne_f32 s40, s36
	s_fmamk_f32 s39, s35, 0x3fb8aa3b, s39
	s_xor_b32 s41, s38, 0x80000000
	s_rndne_f32 s42, s38
	v_lshlrev_b64_e32 v[6:7], 2, v[6:7]
	s_sub_f32 s36, s36, s40
	s_fmamk_f32 s35, s35, 0x32a5705f, s39
	s_fmamk_f32 s39, s33, 0x3fb8aa3b, s41
	s_sub_f32 s38, s38, s42
	s_delay_alu instid0(VALU_DEP_1)
	v_add_co_u32 v6, vcc_lo, s24, v6
	s_wait_alu 0xfffd
	v_add_co_ci_u32_e64 v7, null, s25, v7, vcc_lo
	s_wait_alu 0xfffe
	s_add_f32 s35, s36, s35
	s_fmamk_f32 s33, s33, 0x32a5705f, s39
	s_cvt_i32_f32 s36, s40
	global_load_b32 v6, v[6:7], off
	s_wait_alu 0xfffe
	v_s_exp_f32 s35, s35
	s_add_f32 s33, s38, s33
	s_wait_alu 0xfffe
	s_delay_alu instid0(SALU_CYCLE_2) | instskip(NEXT) | instid1(TRANS32_DEP_2)
	v_s_exp_f32 s33, s33
	v_ldexp_f32 v7, s35, s36
	s_cvt_i32_f32 s35, s42
	s_wait_alu 0xf1fe
	s_delay_alu instid0(TRANS32_DEP_1) | instid1(SALU_CYCLE_2)
	v_ldexp_f32 v8, s33, s35
	s_delay_alu instid0(VALU_DEP_2) | instskip(NEXT) | instid1(VALU_DEP_2)
	v_cndmask_b32_e64 v7, 0, v7, s3
	v_cndmask_b32_e64 v8, 0, v8, s0
	s_delay_alu instid0(VALU_DEP_2) | instskip(NEXT) | instid1(VALU_DEP_2)
	v_cndmask_b32_e64 v7, 0x7f800000, v7, s4
	v_cndmask_b32_e64 v8, 0x7f800000, v8, s1
	;; [unrolled: 3-line block ×3, first 2 shown]
	s_wait_loadcnt 0x0
	s_delay_alu instid0(VALU_DEP_2) | instskip(SKIP_1) | instid1(VALU_DEP_1)
	v_mul_f32_e32 v6, v6, v7
	v_mul_f32_e32 v7, s37, v7
	v_fmac_f32_e32 v7, v5, v8
	s_delay_alu instid0(VALU_DEP_3)
	v_fmac_f32_e32 v6, v3, v8
	s_cbranch_execnz .LBB58_15
.LBB58_19:                              ;   in Loop: Header=BB58_9 Depth=1
	s_wait_loadcnt 0x0
	v_dual_mov_b32 v7, v5 :: v_dual_mov_b32 v6, v3
	s_add_co_i32 s17, s34, -1
	s_mov_b32 s27, s20
	s_mov_b32 s9, s26
	s_cbranch_execz .LBB58_23
.LBB58_20:                              ;   in Loop: Header=BB58_9 Depth=1
	v_mov_b32_e32 v5, v7
	s_wait_loadcnt 0x0
	v_mov_b32_e32 v3, v6
	s_wait_alu 0xfffe
	s_mov_b32 s20, s27
	s_mov_b32 s34, s17
	;; [unrolled: 1-line block ×3, first 2 shown]
	s_branch .LBB58_9
.LBB58_21:
                                        ; implicit-def: $sgpr20_sgpr21
	s_branch .LBB58_2
.LBB58_22:
                                        ; implicit-def: $sgpr10_sgpr11
	s_load_b96 s[12:14], s[0:1], 0x44
	s_branch .LBB58_5
.LBB58_23:
	v_div_scale_f32 v0, null, v7, v7, v6
	s_wait_loadcnt 0x0
	s_delay_alu instid0(VALU_DEP_1) | instskip(NEXT) | instid1(TRANS32_DEP_1)
	v_rcp_f32_e32 v3, v0
	v_fma_f32 v4, -v0, v3, 1.0
	s_delay_alu instid0(VALU_DEP_1) | instskip(SKIP_1) | instid1(VALU_DEP_1)
	v_fmac_f32_e32 v3, v4, v3
	v_div_scale_f32 v4, vcc_lo, v6, v7, v6
	v_mul_f32_e32 v5, v4, v3
	s_delay_alu instid0(VALU_DEP_1) | instskip(NEXT) | instid1(VALU_DEP_1)
	v_fma_f32 v8, -v0, v5, v4
	v_fmac_f32_e32 v5, v8, v3
	s_delay_alu instid0(VALU_DEP_1) | instskip(SKIP_1) | instid1(VALU_DEP_1)
	v_fma_f32 v0, -v0, v5, v4
	s_wait_alu 0xfffd
	v_div_fmas_f32 v0, v0, v3, v5
	s_delay_alu instid0(VALU_DEP_1)
	v_div_fixup_f32 v0, v0, v7, v6
	global_store_b32 v[1:2], v0, off
.LBB58_24:
	s_endpgm
	.section	.rodata,"a",@progbits
	.p2align	6, 0x0
	.amdhsa_kernel _ZL33flash_attn_stream_k_fixup_generalILi64ELi32ELi1EEvPfPK15HIP_vector_typeIfLj2EEiiiiS1_IjLj3EES5_S5_S5_
		.amdhsa_group_segment_fixed_size 0
		.amdhsa_private_segment_fixed_size 0
		.amdhsa_kernarg_size 336
		.amdhsa_user_sgpr_count 2
		.amdhsa_user_sgpr_dispatch_ptr 0
		.amdhsa_user_sgpr_queue_ptr 0
		.amdhsa_user_sgpr_kernarg_segment_ptr 1
		.amdhsa_user_sgpr_dispatch_id 0
		.amdhsa_user_sgpr_private_segment_size 0
		.amdhsa_wavefront_size32 1
		.amdhsa_uses_dynamic_stack 0
		.amdhsa_enable_private_segment 0
		.amdhsa_system_sgpr_workgroup_id_x 1
		.amdhsa_system_sgpr_workgroup_id_y 1
		.amdhsa_system_sgpr_workgroup_id_z 1
		.amdhsa_system_sgpr_workgroup_info 0
		.amdhsa_system_vgpr_workitem_id 0
		.amdhsa_next_free_vgpr 9
		.amdhsa_next_free_sgpr 44
		.amdhsa_reserve_vcc 1
		.amdhsa_float_round_mode_32 0
		.amdhsa_float_round_mode_16_64 0
		.amdhsa_float_denorm_mode_32 3
		.amdhsa_float_denorm_mode_16_64 3
		.amdhsa_fp16_overflow 0
		.amdhsa_workgroup_processor_mode 1
		.amdhsa_memory_ordered 1
		.amdhsa_forward_progress 1
		.amdhsa_inst_pref_size 28
		.amdhsa_round_robin_scheduling 0
		.amdhsa_exception_fp_ieee_invalid_op 0
		.amdhsa_exception_fp_denorm_src 0
		.amdhsa_exception_fp_ieee_div_zero 0
		.amdhsa_exception_fp_ieee_overflow 0
		.amdhsa_exception_fp_ieee_underflow 0
		.amdhsa_exception_fp_ieee_inexact 0
		.amdhsa_exception_int_div_zero 0
	.end_amdhsa_kernel
	.section	.text._ZL33flash_attn_stream_k_fixup_generalILi64ELi32ELi1EEvPfPK15HIP_vector_typeIfLj2EEiiiiS1_IjLj3EES5_S5_S5_,"axG",@progbits,_ZL33flash_attn_stream_k_fixup_generalILi64ELi32ELi1EEvPfPK15HIP_vector_typeIfLj2EEiiiiS1_IjLj3EES5_S5_S5_,comdat
.Lfunc_end58:
	.size	_ZL33flash_attn_stream_k_fixup_generalILi64ELi32ELi1EEvPfPK15HIP_vector_typeIfLj2EEiiiiS1_IjLj3EES5_S5_S5_, .Lfunc_end58-_ZL33flash_attn_stream_k_fixup_generalILi64ELi32ELi1EEvPfPK15HIP_vector_typeIfLj2EEiiiiS1_IjLj3EES5_S5_S5_
                                        ; -- End function
	.set _ZL33flash_attn_stream_k_fixup_generalILi64ELi32ELi1EEvPfPK15HIP_vector_typeIfLj2EEiiiiS1_IjLj3EES5_S5_S5_.num_vgpr, 9
	.set _ZL33flash_attn_stream_k_fixup_generalILi64ELi32ELi1EEvPfPK15HIP_vector_typeIfLj2EEiiiiS1_IjLj3EES5_S5_S5_.num_agpr, 0
	.set _ZL33flash_attn_stream_k_fixup_generalILi64ELi32ELi1EEvPfPK15HIP_vector_typeIfLj2EEiiiiS1_IjLj3EES5_S5_S5_.numbered_sgpr, 44
	.set _ZL33flash_attn_stream_k_fixup_generalILi64ELi32ELi1EEvPfPK15HIP_vector_typeIfLj2EEiiiiS1_IjLj3EES5_S5_S5_.num_named_barrier, 0
	.set _ZL33flash_attn_stream_k_fixup_generalILi64ELi32ELi1EEvPfPK15HIP_vector_typeIfLj2EEiiiiS1_IjLj3EES5_S5_S5_.private_seg_size, 0
	.set _ZL33flash_attn_stream_k_fixup_generalILi64ELi32ELi1EEvPfPK15HIP_vector_typeIfLj2EEiiiiS1_IjLj3EES5_S5_S5_.uses_vcc, 1
	.set _ZL33flash_attn_stream_k_fixup_generalILi64ELi32ELi1EEvPfPK15HIP_vector_typeIfLj2EEiiiiS1_IjLj3EES5_S5_S5_.uses_flat_scratch, 0
	.set _ZL33flash_attn_stream_k_fixup_generalILi64ELi32ELi1EEvPfPK15HIP_vector_typeIfLj2EEiiiiS1_IjLj3EES5_S5_S5_.has_dyn_sized_stack, 0
	.set _ZL33flash_attn_stream_k_fixup_generalILi64ELi32ELi1EEvPfPK15HIP_vector_typeIfLj2EEiiiiS1_IjLj3EES5_S5_S5_.has_recursion, 0
	.set _ZL33flash_attn_stream_k_fixup_generalILi64ELi32ELi1EEvPfPK15HIP_vector_typeIfLj2EEiiiiS1_IjLj3EES5_S5_S5_.has_indirect_call, 0
	.section	.AMDGPU.csdata,"",@progbits
; Kernel info:
; codeLenInByte = 3556
; TotalNumSgprs: 46
; NumVgprs: 9
; ScratchSize: 0
; MemoryBound: 0
; FloatMode: 240
; IeeeMode: 1
; LDSByteSize: 0 bytes/workgroup (compile time only)
; SGPRBlocks: 0
; VGPRBlocks: 1
; NumSGPRsForWavesPerEU: 46
; NumVGPRsForWavesPerEU: 9
; Occupancy: 16
; WaveLimiterHint : 0
; COMPUTE_PGM_RSRC2:SCRATCH_EN: 0
; COMPUTE_PGM_RSRC2:USER_SGPR: 2
; COMPUTE_PGM_RSRC2:TRAP_HANDLER: 0
; COMPUTE_PGM_RSRC2:TGID_X_EN: 1
; COMPUTE_PGM_RSRC2:TGID_Y_EN: 1
; COMPUTE_PGM_RSRC2:TGID_Z_EN: 1
; COMPUTE_PGM_RSRC2:TIDIG_COMP_CNT: 0
	.section	.text._ZL15flash_attn_tileILi64ELi64ELi16ELi1ELb0EEvPKcS1_S1_S1_S1_PKiPfP15HIP_vector_typeIfLj2EEffffjfiS5_IjLj3EEiiiiiiiiiiiliiliiiiil,"axG",@progbits,_ZL15flash_attn_tileILi64ELi64ELi16ELi1ELb0EEvPKcS1_S1_S1_S1_PKiPfP15HIP_vector_typeIfLj2EEffffjfiS5_IjLj3EEiiiiiiiiiiiliiliiiiil,comdat
	.globl	_ZL15flash_attn_tileILi64ELi64ELi16ELi1ELb0EEvPKcS1_S1_S1_S1_PKiPfP15HIP_vector_typeIfLj2EEffffjfiS5_IjLj3EEiiiiiiiiiiiliiliiiiil ; -- Begin function _ZL15flash_attn_tileILi64ELi64ELi16ELi1ELb0EEvPKcS1_S1_S1_S1_PKiPfP15HIP_vector_typeIfLj2EEffffjfiS5_IjLj3EEiiiiiiiiiiiliiliiiiil
	.p2align	8
	.type	_ZL15flash_attn_tileILi64ELi64ELi16ELi1ELb0EEvPKcS1_S1_S1_S1_PKiPfP15HIP_vector_typeIfLj2EEffffjfiS5_IjLj3EEiiiiiiiiiiiliiliiiiil,@function
_ZL15flash_attn_tileILi64ELi64ELi16ELi1ELb0EEvPKcS1_S1_S1_S1_PKiPfP15HIP_vector_typeIfLj2EEffffjfiS5_IjLj3EEiiiiiiiiiiiliiliiiiil: ; @_ZL15flash_attn_tileILi64ELi64ELi16ELi1ELb0EEvPKcS1_S1_S1_S1_PKiPfP15HIP_vector_typeIfLj2EEffffjfiS5_IjLj3EEiiiiiiiiiiiliiliiiiil
; %bb.0:
	s_clause 0x1
	s_load_b128 s[24:27], s[0:1], 0x5c
	s_load_b64 s[2:3], s[0:1], 0x80
	s_lshr_b32 s6, ttmp7, 16
	s_load_b64 s[30:31], s[0:1], 0xb8
	s_mov_b32 s41, 0
	s_mov_b64 s[38:39], 0
	s_wait_kmcnt 0x0
	s_cvt_f32_u32 s4, s27
	s_sub_co_i32 s5, 0, s27
	s_delay_alu instid0(SALU_CYCLE_2) | instskip(NEXT) | instid1(TRANS32_DEP_1)
	v_rcp_iflag_f32_e32 v1, s4
	v_readfirstlane_b32 s4, v1
	s_mul_f32 s4, s4, 0x4f7ffffe
	s_wait_alu 0xfffe
	s_delay_alu instid0(SALU_CYCLE_2) | instskip(SKIP_1) | instid1(SALU_CYCLE_2)
	s_cvt_u32_f32 s4, s4
	s_wait_alu 0xfffe
	s_mul_i32 s5, s5, s4
	s_wait_alu 0xfffe
	s_mul_hi_u32 s5, s4, s5
	s_wait_alu 0xfffe
	s_add_co_i32 s4, s4, s5
	s_wait_alu 0xfffe
	s_mul_hi_u32 s4, s6, s4
	s_wait_alu 0xfffe
	s_mul_i32 s5, s4, s27
	s_add_co_i32 s7, s4, 1
	s_wait_alu 0xfffe
	s_sub_co_i32 s5, s6, s5
	s_wait_alu 0xfffe
	s_sub_co_i32 s8, s5, s27
	s_cmp_ge_u32 s5, s27
	s_cselect_b32 s4, s7, s4
	s_cselect_b32 s5, s8, s5
	s_wait_alu 0xfffe
	s_add_co_i32 s7, s4, 1
	s_cmp_ge_u32 s5, s27
	s_cselect_b32 s36, s7, s4
	s_abs_i32 s4, s3
	s_abs_i32 s9, s27
	s_wait_alu 0xfffe
	s_cvt_f32_u32 s5, s4
	s_sub_co_i32 s7, 0, s4
	s_mul_i32 s8, s36, s27
	s_xor_b32 s3, s27, s3
	s_wait_alu 0xfffe
	v_rcp_iflag_f32_e32 v1, s5
	s_sub_co_i32 s34, s6, s8
	s_ashr_i32 s3, s3, 31
	s_delay_alu instid0(TRANS32_DEP_1) | instskip(SKIP_2) | instid1(SALU_CYCLE_2)
	v_readfirstlane_b32 s5, v1
	s_mul_f32 s5, s5, 0x4f7ffffe
	s_wait_alu 0xfffe
	s_cvt_u32_f32 s5, s5
	s_wait_alu 0xfffe
	s_delay_alu instid0(SALU_CYCLE_2) | instskip(NEXT) | instid1(SALU_CYCLE_1)
	s_mul_i32 s7, s7, s5
	s_mul_hi_u32 s7, s5, s7
	s_delay_alu instid0(SALU_CYCLE_1)
	s_add_co_i32 s5, s5, s7
	s_wait_alu 0xfffe
	s_mul_hi_u32 s5, s9, s5
	s_wait_alu 0xfffe
	s_mul_i32 s6, s5, s4
	s_add_co_i32 s7, s5, 1
	s_sub_co_i32 s6, s9, s6
	s_delay_alu instid0(SALU_CYCLE_1)
	s_sub_co_i32 s8, s6, s4
	s_cmp_ge_u32 s6, s4
	s_cselect_b32 s5, s7, s5
	s_cselect_b32 s6, s8, s6
	s_wait_alu 0xfffe
	s_add_co_i32 s7, s5, 1
	s_cmp_ge_u32 s6, s4
	s_load_b512 s[8:23], s[0:1], 0x0
	s_cselect_b32 s4, s7, s5
	s_abs_i32 s40, s34
	s_wait_alu 0xfffe
	s_xor_b32 s4, s4, s3
	s_wait_alu 0xfffe
	s_sub_co_i32 s33, s4, s3
	s_delay_alu instid0(SALU_CYCLE_1) | instskip(NEXT) | instid1(SALU_CYCLE_1)
	s_abs_i32 s3, s33
	s_cvt_f32_u32 s4, s3
	s_sub_co_i32 s5, 0, s3
	s_wait_alu 0xfffe
	s_delay_alu instid0(SALU_CYCLE_1) | instskip(NEXT) | instid1(TRANS32_DEP_1)
	v_rcp_iflag_f32_e32 v1, s4
	v_readfirstlane_b32 s4, v1
	s_mul_f32 s4, s4, 0x4f7ffffe
	s_wait_alu 0xfffe
	s_delay_alu instid0(SALU_CYCLE_2) | instskip(SKIP_1) | instid1(SALU_CYCLE_2)
	s_cvt_u32_f32 s4, s4
	s_wait_alu 0xfffe
	s_mul_i32 s5, s5, s4
	s_wait_alu 0xfffe
	s_mul_hi_u32 s5, s4, s5
	s_wait_alu 0xfffe
	s_add_co_i32 s42, s4, s5
	s_wait_kmcnt 0x0
	s_cmp_eq_u64 s[14:15], 0
	s_cbranch_scc1 .LBB59_2
; %bb.1:
	s_abs_i32 s6, s30
	s_delay_alu instid0(SALU_CYCLE_1) | instskip(SKIP_1) | instid1(SALU_CYCLE_2)
	s_cvt_f32_u32 s4, s6
	s_wait_alu 0xfffe
	v_rcp_iflag_f32_e32 v1, s4
	s_delay_alu instid0(TRANS32_DEP_1) | instskip(SKIP_2) | instid1(SALU_CYCLE_2)
	v_readfirstlane_b32 s4, v1
	s_mul_f32 s4, s4, 0x4f7ffffe
	s_wait_alu 0xfffe
	s_cvt_u32_f32 s7, s4
	s_sub_co_i32 s4, 0, s6
	s_wait_alu 0xfffe
	s_delay_alu instid0(SALU_CYCLE_1) | instskip(SKIP_4) | instid1(SALU_CYCLE_1)
	s_mul_i32 s4, s4, s7
	s_wait_alu 0xfffe
	s_mul_hi_u32 s28, s7, s4
	s_load_b64 s[4:5], s[0:1], 0xc8
	s_add_co_i32 s7, s7, s28
	s_mul_hi_u32 s7, s36, s7
	s_delay_alu instid0(SALU_CYCLE_1) | instskip(NEXT) | instid1(SALU_CYCLE_1)
	s_mul_i32 s7, s7, s6
	s_sub_co_i32 s7, s36, s7
	s_delay_alu instid0(SALU_CYCLE_1) | instskip(SKIP_2) | instid1(SALU_CYCLE_1)
	s_sub_co_i32 s28, s7, s6
	s_cmp_ge_u32 s7, s6
	s_cselect_b32 s7, s28, s7
	s_sub_co_i32 s28, s7, s6
	s_cmp_ge_u32 s7, s6
	s_cselect_b32 s6, s28, s7
	s_delay_alu instid0(SALU_CYCLE_1)
	s_ashr_i32 s7, s6, 31
	s_wait_kmcnt 0x0
	s_mul_u64 s[4:5], s[4:5], s[6:7]
	s_wait_alu 0xfffe
	s_add_nc_u64 s[38:39], s[14:15], s[4:5]
.LBB59_2:
	s_clause 0x1
	s_load_b128 s[4:7], s[0:1], 0x40
	s_load_b32 s14, s[0:1], 0x50
	v_mov_b32_e32 v51, 1.0
	s_mov_b32 s43, s41
	s_wait_kmcnt 0x0
	s_cmp_le_f32 s5, 0
	s_cbranch_scc1 .LBB59_4
; %bb.3:
	v_sub_co_u32 v1, s5, s34, s14
	s_and_b32 s15, s5, exec_lo
	s_cselect_b32 s7, s6, s7
	v_readfirstlane_b32 s14, v1
	s_lshl_b32 s6, s14, 1
	s_add_co_i32 s14, s34, 1
	s_or_b32 s6, s6, 1
	s_and_b32 s5, s5, exec_lo
	s_wait_alu 0xfffe
	s_cselect_b32 s5, s14, s6
	s_cmp_neq_f32 s7, 1.0
	s_wait_alu 0xfffe
	s_cvt_f32_i32 s5, s5
	s_wait_alu 0xfffe
	s_delay_alu instid0(SALU_CYCLE_2) | instskip(NEXT) | instid1(SALU_CYCLE_1)
	s_cselect_b32 s6, s5, 1.0
	s_cmp_neq_f32 s6, 0
	s_cselect_b32 s5, s7, 1.0
	s_wait_alu 0xfffe
	v_frexp_mant_f32_e64 v1, |s5|
	s_delay_alu instid0(VALU_DEP_1)
	v_readfirstlane_b32 s7, v1
	v_cvt_f64_f32_e64 v[1:2], |s5|
	s_cmp_lt_f32 s7, 0x3f2aaaab
	s_cselect_b32 s14, -1, 0
	s_wait_alu 0xfffe
	s_and_b32 s15, s14, exec_lo
	s_cselect_b32 s15, 2.0, 1.0
	s_wait_alu 0xfffe
	s_mul_f32 s7, s7, s15
	s_delay_alu instid0(SALU_CYCLE_3) | instskip(SKIP_2) | instid1(SALU_CYCLE_1)
	s_add_f32 s15, s7, 1.0
	s_add_f32 s29, s7, -1.0
	s_wait_alu 0xfffe
	v_s_rcp_f32 s28, s15
	s_add_f32 s37, s15, -1.0
	s_delay_alu instid0(SALU_CYCLE_3) | instskip(NEXT) | instid1(TRANS32_DEP_1)
	s_sub_f32 s7, s7, s37
	s_mul_f32 s30, s29, s28
	s_delay_alu instid0(SALU_CYCLE_3) | instskip(SKIP_1) | instid1(SALU_CYCLE_2)
	s_mul_f32 s35, s15, s30
	s_wait_alu 0xfffe
	s_xor_b32 s44, s35, 0x80000000
	s_delay_alu instid0(VALU_DEP_1) | instskip(SKIP_1) | instid1(SALU_CYCLE_3)
	v_frexp_exp_i32_f64_e32 v1, v[1:2]
	s_fmac_f32 s44, s30, s15
	s_fmac_f32 s44, s30, s7
	s_delay_alu instid0(SALU_CYCLE_3) | instskip(NEXT) | instid1(SALU_CYCLE_3)
	s_add_f32 s7, s35, s44
	s_sub_f32 s15, s29, s7
	s_sub_f32 s35, s7, s35
	s_wait_alu 0xfffe
	s_delay_alu instid0(SALU_CYCLE_1) | instskip(NEXT) | instid1(SALU_CYCLE_1)
	s_sub_f32 s29, s29, s15
	s_sub_f32 s35, s35, s44
	s_delay_alu instid0(SALU_CYCLE_2) | instskip(SKIP_1) | instid1(SALU_CYCLE_2)
	s_sub_f32 s7, s29, s7
	s_wait_alu 0xfffe
	s_add_f32 s7, s35, s7
	s_mov_b32 s35, 0x3e76c4e1
	s_delay_alu instid0(SALU_CYCLE_2) | instskip(NEXT) | instid1(SALU_CYCLE_3)
	s_add_f32 s7, s15, s7
	s_mul_f32 s7, s28, s7
	s_delay_alu instid0(SALU_CYCLE_3) | instskip(SKIP_1) | instid1(SALU_CYCLE_2)
	s_add_f32 s15, s30, s7
	s_wait_alu 0xfffe
	s_sub_f32 s28, s15, s30
	s_mul_f32 s29, s15, s15
	s_delay_alu instid0(SALU_CYCLE_2) | instskip(NEXT) | instid1(SALU_CYCLE_2)
	s_sub_f32 s7, s7, s28
	s_xor_b32 s28, s29, 0x80000000
	s_delay_alu instid0(SALU_CYCLE_1) | instskip(NEXT) | instid1(SALU_CYCLE_1)
	s_fmac_f32 s28, s15, s15
	s_add_f32 s30, s7, s7
	s_delay_alu instid0(SALU_CYCLE_3) | instskip(NEXT) | instid1(SALU_CYCLE_3)
	s_fmac_f32 s28, s15, s30
	s_add_f32 s30, s29, s28
	s_delay_alu instid0(SALU_CYCLE_3) | instskip(SKIP_2) | instid1(SALU_CYCLE_1)
	s_fmaak_f32 s35, s30, s35, 0x3e91f4c4
	s_sub_f32 s29, s30, s29
	s_wait_alu 0xfffe
	s_fmaak_f32 s35, s30, s35, 0x3ecccdef
	s_delay_alu instid0(SALU_CYCLE_1) | instskip(SKIP_3) | instid1(SALU_CYCLE_1)
	s_sub_f32 s28, s28, s29
	s_mul_f32 s29, s15, s30
	s_wait_alu 0xfffe
	s_mul_f32 s37, s30, s35
	s_xor_b32 s45, s29, 0x80000000
	s_delay_alu instid0(SALU_CYCLE_2) | instskip(SKIP_2) | instid1(SALU_CYCLE_2)
	s_xor_b32 s44, s37, 0x80000000
	s_fmac_f32 s45, s30, s15
	s_fmac_f32 s44, s30, s35
	;; [unrolled: 1-line block ×3, first 2 shown]
	s_delay_alu instid0(SALU_CYCLE_2) | instskip(NEXT) | instid1(SALU_CYCLE_2)
	s_fmac_f32 s44, s28, s35
	s_fmac_f32 s45, s28, s15
	s_delay_alu instid0(SALU_CYCLE_2) | instskip(SKIP_1) | instid1(SALU_CYCLE_2)
	s_add_f32 s35, s37, s44
	s_wait_alu 0xfffe
	s_sub_f32 s37, s35, s37
	s_add_f32 s46, s35, 0x3f2aaaaa
	s_delay_alu instid0(SALU_CYCLE_2) | instskip(NEXT) | instid1(SALU_CYCLE_2)
	s_sub_f32 s37, s44, s37
	s_add_f32 s44, s46, 0xbf2aaaaa
	s_delay_alu instid0(SALU_CYCLE_2) | instskip(NEXT) | instid1(SALU_CYCLE_2)
	s_add_f32 s30, s37, 0x31739010
	s_sub_f32 s35, s35, s44
	s_wait_alu 0xfffe
	s_delay_alu instid0(SALU_CYCLE_2) | instskip(SKIP_1) | instid1(SALU_CYCLE_2)
	s_add_f32 s28, s30, s35
	s_add_f32 s30, s29, s45
	;; [unrolled: 1-line block ×3, first 2 shown]
	s_delay_alu instid0(SALU_CYCLE_2) | instskip(SKIP_1) | instid1(SALU_CYCLE_1)
	s_sub_f32 s29, s30, s29
	s_wait_alu 0xfffe
	s_mul_f32 s37, s30, s35
	s_sub_f32 s44, s46, s35
	s_sub_f32 s29, s45, s29
	s_delay_alu instid0(SALU_CYCLE_1) | instskip(NEXT) | instid1(SALU_CYCLE_1)
	s_xor_b32 s46, s37, 0x80000000
	s_add_f32 s28, s28, s44
	s_fmac_f32 s46, s30, s35
	v_readfirstlane_b32 s44, v1
	v_ldexp_f32 v1, s15, 1
	s_cmp_lg_u32 s14, 0
	s_fmac_f32 s46, s30, s28
	s_sub_co_ci_u32 s14, s44, 0
	s_delay_alu instid0(VALU_DEP_1) | instskip(NEXT) | instid1(SALU_CYCLE_1)
	v_readfirstlane_b32 s15, v1
	s_fmac_f32 s46, s29, s35
	s_wait_alu 0xfffe
	s_cvt_f32_i32 s14, s14
	v_ldexp_f32 v1, s7, 1
	s_add_f32 s28, s37, s46
	s_wait_alu 0xfffe
	s_mul_f32 s7, s14, 0x3f317218
	s_delay_alu instid0(VALU_DEP_1)
	v_readfirstlane_b32 s35, v1
	s_add_f32 s29, s15, s28
	s_sub_f32 s30, s28, s37
	s_wait_alu 0xfffe
	s_xor_b32 s37, s7, 0x80000000
	s_sub_f32 s15, s29, s15
	s_sub_f32 s30, s46, s30
	s_fmamk_f32 s37, s14, 0x3f317218, s37
	s_wait_alu 0xfffe
	s_sub_f32 s15, s28, s15
	s_add_f32 s28, s35, s30
	s_fmamk_f32 s14, s14, 0xb102e308, s37
	s_wait_alu 0xfffe
	s_delay_alu instid0(SALU_CYCLE_1) | instskip(NEXT) | instid1(SALU_CYCLE_1)
	s_add_f32 s15, s28, s15
	s_add_f32 s28, s7, s14
	s_wait_alu 0xfffe
	s_delay_alu instid0(SALU_CYCLE_1) | instskip(NEXT) | instid1(SALU_CYCLE_1)
	s_add_f32 s30, s29, s15
	s_sub_f32 s7, s28, s7
	s_delay_alu instid0(SALU_CYCLE_2)
	s_add_f32 s35, s28, s30
	s_sub_f32 s29, s30, s29
	s_wait_alu 0xfffe
	s_sub_f32 s7, s14, s7
	s_sub_f32 s37, s35, s28
	;; [unrolled: 1-line block ×3, first 2 shown]
	s_delay_alu instid0(SALU_CYCLE_2) | instskip(SKIP_4) | instid1(SALU_CYCLE_3)
	s_sub_f32 s44, s35, s37
	s_sub_f32 s15, s30, s37
	s_wait_alu 0xfffe
	s_add_f32 s29, s7, s14
	s_sub_f32 s28, s28, s44
	s_add_f32 s15, s15, s28
	s_delay_alu instid0(SALU_CYCLE_1) | instskip(SKIP_1) | instid1(SALU_CYCLE_1)
	s_sub_f32 s28, s29, s7
	s_wait_alu 0xfffe
	s_add_f32 s15, s29, s15
	s_delay_alu instid0(SALU_CYCLE_1) | instskip(SKIP_4) | instid1(SALU_CYCLE_2)
	s_sub_f32 s29, s29, s28
	s_sub_f32 s14, s14, s28
	s_wait_alu 0xfffe
	s_add_f32 s30, s35, s15
	s_sub_f32 s7, s7, s29
	s_sub_f32 s28, s30, s35
	s_wait_alu 0xfffe
	s_delay_alu instid0(SALU_CYCLE_1) | instskip(NEXT) | instid1(SALU_CYCLE_1)
	s_add_f32 s7, s14, s7
	s_sub_f32 s14, s15, s28
	s_wait_alu 0xfffe
	s_delay_alu instid0(SALU_CYCLE_2) | instskip(SKIP_1) | instid1(SALU_CYCLE_2)
	s_add_f32 s7, s7, s14
	s_wait_alu 0xfffe
	s_add_f32 s14, s30, s7
	s_wait_alu 0xfffe
	s_delay_alu instid0(SALU_CYCLE_2) | instskip(SKIP_2) | instid1(SALU_CYCLE_1)
	s_mul_f32 s15, s6, s14
	s_sub_f32 s28, s14, s30
	s_wait_alu 0xfffe
	s_xor_b32 s29, s15, 0x80000000
	s_delay_alu instid0(SALU_CYCLE_1) | instskip(SKIP_2) | instid1(SALU_CYCLE_2)
	s_sub_f32 s7, s7, s28
	s_fmac_f32 s29, s6, s14
	s_wait_alu 0xfffe
	s_fmac_f32 s29, s6, s7
	v_cmp_class_f32_e64 s7, s15, 0x204
	s_delay_alu instid0(SALU_CYCLE_2) | instskip(SKIP_2) | instid1(SALU_CYCLE_1)
	s_add_f32 s14, s15, s29
	s_and_b32 s7, s7, exec_lo
	s_wait_alu 0xfffe
	s_sub_f32 s7, s14, s15
	s_cselect_b32 s14, s15, s14
	s_wait_alu 0xfffe
	s_and_b32 s15, s14, 0x7fffffff
	s_sub_f32 s7, s29, s7
	s_wait_alu 0xfffe
	s_cmp_neq_f32 s15, 0x7f800000
	s_delay_alu instid0(SALU_CYCLE_1)
	s_cselect_b32 s7, s7, 0
	s_cmp_eq_f32 s14, 0x42b17218
	s_cselect_b32 s15, 0x37000000, 0
	s_wait_alu 0xfffe
	s_sub_f32 s14, s14, s15
	s_add_f32 s7, s15, s7
	s_wait_alu 0xfffe
	s_delay_alu instid0(SALU_CYCLE_1) | instskip(NEXT) | instid1(SALU_CYCLE_3)
	s_mul_f32 s28, s14, 0x3fb8aa3b
	s_xor_b32 s29, s28, 0x80000000
	s_rndne_f32 s30, s28
	s_fmamk_f32 s29, s14, 0x3fb8aa3b, s29
	s_cmp_nlt_f32 s14, 0xc2ce8ed0
	s_delay_alu instid0(SALU_CYCLE_1) | instskip(NEXT) | instid1(SALU_CYCLE_1)
	s_sub_f32 s28, s28, s30
	s_fmamk_f32 s29, s14, 0x32a5705f, s29
	s_cselect_b32 vcc_lo, -1, 0
	s_cmp_ngt_f32 s14, 0x42b17218
	s_trunc_f32 s14, s6
	s_add_f32 s28, s28, s29
	s_cvt_i32_f32 s29, s30
	s_delay_alu instid0(SALU_CYCLE_2)
	v_s_exp_f32 s28, s28
	s_wait_alu 0xf1ff
	s_delay_alu instid0(TRANS32_DEP_1) | instid1(SALU_CYCLE_1)
	v_ldexp_f32 v1, s28, s29
	s_mul_f32 s28, s6, 0.5
	s_delay_alu instid0(VALU_DEP_1)
	v_cndmask_b32_e32 v1, 0, v1, vcc_lo
	s_cselect_b32 vcc_lo, -1, 0
	s_wait_alu 0xfffe
	s_cmp_eq_f32 s14, s6
	s_trunc_f32 s29, s28
	v_cndmask_b32_e32 v1, 0x7f800000, v1, vcc_lo
	s_cselect_b32 s30, -1, 0
	s_wait_alu 0xfffe
	s_cmp_neq_f32 s29, s28
	s_delay_alu instid0(VALU_DEP_1)
	v_fma_f32 v2, s7, v1, v1
	v_cmp_class_f32_e64 vcc_lo, v1, 0x204
	s_cselect_b32 s15, -1, 0
	s_wait_alu 0xfffe
	s_and_b32 s7, s30, s15
	s_wait_alu 0xfffd
	v_cndmask_b32_e32 v1, v2, v1, vcc_lo
	s_wait_alu 0xfffe
	s_and_b32 s15, s7, exec_lo
	s_cselect_b32 s15, s5, 1.0
	s_cmp_eq_f32 s14, s6
	v_cmp_class_f32_e64 s14, s5, 0x204
	s_wait_alu 0xfffe
	v_bfi_b32 v1, 0x7fffffff, v1, s15
	s_cselect_b32 vcc_lo, -1, 0
	s_cmp_lt_f32 s5, 0
	s_wait_alu 0xfffe
	s_delay_alu instid0(VALU_DEP_1) | instskip(SKIP_3) | instid1(VALU_DEP_1)
	v_cndmask_b32_e32 v2, 0x7fc00000, v1, vcc_lo
	s_cselect_b32 vcc_lo, -1, 0
	s_cmp_eq_f32 s5, 0
	s_wait_alu 0xfffe
	v_cndmask_b32_e32 v1, v1, v2, vcc_lo
	s_cselect_b32 s15, -1, 0
	s_wait_alu 0xfffe
	s_or_b32 vcc_lo, s15, s14
	s_cmp_lt_f32 s6, 0
	s_cselect_b32 s6, -1, 0
	s_wait_alu 0xfffe
	s_xor_b32 s6, s6, s15
	s_wait_alu 0xfffe
	s_and_b32 s6, s6, exec_lo
	s_cselect_b32 s6, 0, 0x7f800000
	s_and_b32 s7, s7, exec_lo
	s_cselect_b32 s7, s5, 0
	s_cmp_o_f32 s5, s5
	s_wait_alu 0xfffe
	v_mov_b32_e32 v2, s7
	s_delay_alu instid0(VALU_DEP_1) | instskip(NEXT) | instid1(VALU_DEP_1)
	v_bfi_b32 v2, 0x7fffffff, s6, v2
	v_cndmask_b32_e32 v1, v1, v2, vcc_lo
	s_cselect_b32 vcc_lo, -1, 0
	s_wait_alu 0xfffe
	s_delay_alu instid0(VALU_DEP_1)
	v_cndmask_b32_e32 v51, 0x7fc00000, v1, vcc_lo
.LBB59_4:
	v_bfe_u32 v50, v0, 10, 10
	s_lshl_b32 s15, ttmp9, 4
	v_and_b32_e32 v44, 0x3ff, v0
	s_load_b96 s[28:30], s[0:1], 0x70
	s_ashr_i32 s35, s34, 31
	v_lshlrev_b32_e32 v41, 2, v50
	v_lshlrev_b32_e32 v56, 9, v50
	s_ashr_i32 s14, s33, 31
	s_mov_b32 s37, 0
	v_mov_b32_e32 v59, 0
	v_or_b32_e32 v39, 1, v41
	v_add_nc_u32_e32 v43, s15, v41
	v_or_b32_e32 v38, 2, v41
	v_or_b32_e32 v36, 3, v41
	s_delay_alu instid0(VALU_DEP_4) | instskip(NEXT) | instid1(VALU_DEP_4)
	v_add_nc_u32_e32 v42, s15, v39
	v_mul_hi_u32 v1, v43, s24
	s_delay_alu instid0(VALU_DEP_4) | instskip(NEXT) | instid1(VALU_DEP_4)
	v_add_nc_u32_e32 v40, s15, v38
	v_add_nc_u32_e32 v37, s15, v36
	s_delay_alu instid0(VALU_DEP_4) | instskip(NEXT) | instid1(VALU_DEP_3)
	v_mul_hi_u32 v0, v42, s24
	v_mul_hi_u32 v2, v40, s24
	s_delay_alu instid0(VALU_DEP_3)
	v_mul_hi_u32 v3, v37, s24
	v_add_nc_u32_e32 v1, v43, v1
	s_wait_kmcnt 0x0
	s_mul_i32 s44, s34, s29
	s_ashr_i32 s29, s28, 31
	s_mul_i32 s6, s36, s30
	v_add_nc_u32_e32 v0, v42, v0
	v_lshrrev_b32_e32 v1, s25, v1
	v_add_nc_u32_e32 v2, v40, v2
	v_add_nc_u32_e32 v3, v37, v3
	s_wait_alu 0xfffe
	s_lshr_b64 s[46:47], s[28:29], 2
	v_lshrrev_b32_e32 v0, s25, v0
	v_mul_lo_u32 v1, v1, s26
	v_lshrrev_b32_e32 v2, s25, v2
	v_lshrrev_b32_e32 v3, s25, v3
	s_lshr_b32 s5, s29, 2
	v_mul_lo_u32 v5, v0, s26
	s_ashr_i32 s7, s6, 31
	v_mul_lo_u32 v2, v2, s26
	v_mul_lo_u32 v3, v3, s26
	v_sub_nc_u32_e32 v55, v43, v1
	s_ashr_i32 s45, s44, 31
	s_wait_alu 0xfffe
	s_add_nc_u64 s[6:7], s[8:9], s[6:7]
	s_mul_u64 s[8:9], s[40:41], s[42:43]
	v_sub_nc_u32_e32 v11, v42, v5
	v_mad_co_u64_u32 v[0:1], null, s46, v55, 0
	v_sub_nc_u32_e32 v12, v40, v2
	v_sub_nc_u32_e32 v13, v37, v3
	s_delay_alu instid0(VALU_DEP_4)
	v_mad_co_u64_u32 v[2:3], null, s46, v11, 0
	s_wait_alu 0xfffe
	s_add_nc_u64 s[6:7], s[6:7], s[44:45]
	v_mad_co_u64_u32 v[5:6], null, s46, v12, 0
	v_mad_co_u64_u32 v[7:8], null, s46, v13, 0
	s_cmp_eq_u64 s[18:19], 0
	v_mad_co_u64_u32 v[9:10], null, s5, v55, v[1:2]
	v_mov_b32_e32 v1, v3
	v_dual_mov_b32 v3, v6 :: v_dual_mov_b32 v6, v8
	s_delay_alu instid0(VALU_DEP_2) | instskip(NEXT) | instid1(VALU_DEP_4)
	v_mad_co_u64_u32 v[10:11], null, s5, v11, v[1:2]
	v_dual_mov_b32 v1, v9 :: v_dual_lshlrev_b32 v4, 3, v44
	s_delay_alu instid0(VALU_DEP_1) | instskip(NEXT) | instid1(VALU_DEP_2)
	v_lshlrev_b64_e32 v[0:1], 2, v[0:1]
	v_mad_co_u64_u32 v[8:9], null, s5, v12, v[3:4]
	v_mad_co_u64_u32 v[11:12], null, s5, v13, v[6:7]
	v_mov_b32_e32 v3, v10
	s_wait_alu 0xfffe
	v_add_co_u32 v9, s5, s6, v4
	s_wait_alu 0xf1ff
	v_add_co_ci_u32_e64 v12, null, s7, 0, s5
	v_mov_b32_e32 v6, v8
	v_mov_b32_e32 v8, v11
	v_lshlrev_b64_e32 v[2:3], 2, v[2:3]
	v_add_co_u32 v0, vcc_lo, v9, v0
	s_delay_alu instid0(VALU_DEP_4) | instskip(NEXT) | instid1(VALU_DEP_4)
	v_lshlrev_b64_e32 v[5:6], 2, v[5:6]
	v_lshlrev_b64_e32 v[7:8], 2, v[7:8]
	s_wait_alu 0xfffd
	v_add_co_ci_u32_e64 v1, null, v12, v1, vcc_lo
	v_add_co_u32 v2, vcc_lo, v9, v2
	s_wait_alu 0xfffd
	v_add_co_ci_u32_e64 v3, null, v12, v3, vcc_lo
	v_add_co_u32 v5, vcc_lo, v9, v5
	s_wait_alu 0xfffd
	v_add_co_ci_u32_e64 v6, null, v12, v6, vcc_lo
	v_add_co_u32 v7, vcc_lo, v9, v7
	global_load_b64 v[0:1], v[0:1], off
	s_wait_alu 0xfffd
	v_add_co_ci_u32_e64 v8, null, v12, v8, vcc_lo
	s_clause 0x2
	global_load_b64 v[2:3], v[2:3], off
	global_load_b64 v[5:6], v[5:6], off
	;; [unrolled: 1-line block ×3, first 2 shown]
	v_lshl_add_u32 v9, v44, 2, 0x5800
	s_delay_alu instid0(VALU_DEP_1)
	v_add_nc_u32_e32 v10, v9, v56
	v_lshl_add_u32 v11, v39, 7, v9
	v_lshl_add_u32 v12, v38, 7, v9
	;; [unrolled: 1-line block ×3, first 2 shown]
	s_wait_loadcnt 0x3
	v_fma_mixlo_f16 v1, s4, v1, 0
	v_fma_mixlo_f16 v0, s4, v0, 0
	s_wait_loadcnt 0x2
	v_fma_mixlo_f16 v2, s4, v2, 0
	v_fma_mixlo_f16 v3, s4, v3, 0
	;; [unrolled: 3-line block ×4, first 2 shown]
	v_lshlrev_b32_e32 v1, 16, v1
	v_and_b32_e32 v0, 0xffff, v0
	v_lshlrev_b32_e32 v3, 16, v3
	v_and_b32_e32 v2, 0xffff, v2
	;; [unrolled: 2-line block ×4, first 2 shown]
	v_or_b32_e32 v0, v1, v0
	v_or_b32_e32 v1, v3, v2
	;; [unrolled: 1-line block ×3, first 2 shown]
	s_delay_alu instid0(VALU_DEP_4)
	v_or_b32_e32 v3, v8, v7
	ds_store_b32 v10, v0
	ds_store_b32 v11, v1
	;; [unrolled: 1-line block ×4, first 2 shown]
	s_wait_dscnt 0x0
	s_barrier_signal -1
	s_barrier_wait -1
	global_inv scope:SCOPE_SE
	s_cbranch_scc1 .LBB59_6
; %bb.5:
	s_load_b32 s2, s[0:1], 0xd0
	s_mov_b32 s5, s37
	s_wait_kmcnt 0x0
	s_mul_i32 s2, s2, s36
	s_delay_alu instid0(SALU_CYCLE_1)
	s_add_co_i32 s4, s2, ttmp9
	s_wait_alu 0xfffe
	s_lshl_b64 s[4:5], s[4:5], 2
	s_wait_alu 0xfffe
	s_add_nc_u64 s[4:5], s[18:19], s[4:5]
	s_load_b32 s2, s[4:5], 0x0
.LBB59_6:
	s_clause 0x2
	s_load_b64 s[18:19], s[0:1], 0x8c
	s_load_b128 s[4:7], s[0:1], 0x98
	s_load_b64 s[28:29], s[0:1], 0xa8
	s_mul_i32 s8, s9, s3
	s_ashr_i32 s33, s31, 1
	s_sub_co_i32 s31, s40, s8
	s_xor_b32 s30, s35, s14
	s_add_co_i32 s14, s9, 1
	s_sub_co_i32 s40, s31, s3
	v_lshrrev_b32_e32 v63, 3, v44
	v_lshlrev_b32_e32 v46, 2, v44
	v_mul_u32_u24_e32 v58, 0x90, v44
	v_or_b32_e32 v54, 1, v43
	v_or_b32_e32 v53, 2, v43
	;; [unrolled: 1-line block ×3, first 2 shown]
	v_mbcnt_lo_u32_b32 v45, -1, 0
	s_wait_kmcnt 0x0
	s_ashr_i32 s8, s18, 2
	s_ashr_i32 s18, s6, 2
	s_cmp_ge_u32 s31, s3
	s_mul_u64 s[4:5], s[4:5], s[36:37]
	s_wait_alu 0xfffe
	s_cselect_b32 s6, s14, s9
	s_cselect_b32 s9, s40, s31
	s_wait_alu 0xfffe
	s_add_co_i32 s14, s6, 1
	s_cmp_ge_u32 s9, s3
	s_mul_u64 s[28:29], s[28:29], s[36:37]
	s_wait_alu 0xfffe
	s_cselect_b32 s3, s14, s6
	s_add_nc_u64 s[4:5], s[10:11], s[4:5]
	s_xor_b32 s6, s3, s30
	s_add_nc_u64 s[10:11], s[12:13], s[28:29]
	s_wait_alu 0xfffe
	s_sub_co_i32 s9, s6, s30
	s_and_b32 s14, ttmp7, 0xffff
	s_mul_i32 s6, s9, s19
	s_mul_i32 s12, s9, s7
	s_add_co_i32 s3, s2, 0xffffff80
	s_wait_alu 0xfffe
	s_lshl_b32 s28, s14, 7
	s_ashr_i32 s7, s6, 31
	s_ashr_i32 s13, s12, 31
	s_wait_alu 0xfffe
	s_cmp_ge_i32 s28, s3
	s_add_nc_u64 s[4:5], s[4:5], s[6:7]
	s_add_nc_u64 s[30:31], s[10:11], s[12:13]
	s_cbranch_scc1 .LBB59_43
; %bb.7:
	v_dual_mov_b32 v57, 0 :: v_dual_add_nc_u32 v6, v63, v41
	s_ashr_i32 s9, s8, 31
	s_lshl_b32 s6, s8, 4
	s_cmp_lg_u64 s[38:39], 0
	s_delay_alu instid0(VALU_DEP_1)
	v_mul_lo_u32 v0, s8, v6
	v_mul_lo_u32 v5, s18, v6
	v_mul_hi_u32 v1, s24, v54
	s_cselect_b32 s10, -1, 0
	s_lshl_b32 s7, s18, 4
	v_mul_hi_u32 v3, s24, v53
	v_mul_hi_u32 v8, s24, v52
	s_wait_alu 0xfffe
	v_dual_mov_b32 v95, 0 :: v_dual_add_nc_u32 v2, s6, v0
	v_dual_mov_b32 v49, 0 :: v_dual_add_nc_u32 v22, s7, v5
	v_add_nc_u32_e32 v10, v54, v1
	v_dual_mov_b32 v48, 0 :: v_dual_add_nc_u32 v3, v53, v3
	s_delay_alu instid0(VALU_DEP_4) | instskip(NEXT) | instid1(VALU_DEP_4)
	v_dual_mov_b32 v94, 0xfeffffff :: v_dual_add_nc_u32 v7, s6, v2
	v_add_nc_u32_e32 v24, s7, v22
	s_delay_alu instid0(VALU_DEP_4) | instskip(SKIP_1) | instid1(VALU_DEP_4)
	v_lshrrev_b32_e32 v11, s25, v10
	v_dual_mov_b32 v93, 0 :: v_dual_add_nc_u32 v8, v52, v8
	v_dual_mov_b32 v89, 0 :: v_dual_add_nc_u32 v10, s6, v7
	s_delay_alu instid0(VALU_DEP_4) | instskip(SKIP_1) | instid1(VALU_DEP_4)
	v_add_nc_u32_e32 v26, s7, v24
	v_lshrrev_b32_e32 v13, s25, v3
	v_lshrrev_b32_e32 v8, s25, v8
	s_delay_alu instid0(VALU_DEP_4) | instskip(SKIP_3) | instid1(VALU_DEP_4)
	v_add_nc_u32_e32 v12, s6, v10
	v_dual_mov_b32 v96, 0xfeffffff :: v_dual_and_b32 v9, 28, v46
	v_add_nc_u32_e32 v28, s7, v26
	v_mul_lo_u32 v23, v13, s26
	v_add_nc_u32_e32 v14, s6, v12
	v_mul_lo_u32 v25, v8, s26
	v_mul_lo_u32 v21, v11, s26
	v_add_nc_u32_e32 v30, s7, v28
	v_dual_mov_b32 v91, 0xfeffffff :: v_dual_lshlrev_b32 v20, 2, v9
	v_add_nc_u32_e32 v16, s6, v14
	v_sub_nc_u32_e32 v23, v53, v23
	s_delay_alu instid0(VALU_DEP_4)
	v_add_nc_u32_e32 v32, s7, v30
	v_sub_nc_u32_e32 v25, v52, v25
	v_sub_nc_u32_e32 v21, v54, v21
	v_add_nc_u32_e32 v18, s6, v16
	v_mad_u32_u24 v65, 0x90, v6, v20
	v_add_nc_u32_e32 v34, s7, v32
	v_ashrrev_i32_e32 v1, 31, v0
	v_ashrrev_i32_e32 v3, 31, v2
	;; [unrolled: 1-line block ×8, first 2 shown]
	v_mul_lo_u32 v75, v23, s33
	v_lshl_or_b32 v76, v6, 7, v20
	v_mul_lo_u32 v77, v25, s33
	v_ashrrev_i32_e32 v6, 31, v5
	v_ashrrev_i32_e32 v23, 31, v22
	;; [unrolled: 1-line block ×8, first 2 shown]
	v_lshl_add_u32 v78, v50, 10, 0x4800
	v_mul_lo_u32 v73, v55, s33
	v_mul_lo_u32 v74, v21, s33
	v_lshlrev_b64_e32 v[0:1], 2, v[0:1]
	v_lshlrev_b32_e32 v86, 2, v9
	v_lshlrev_b64_e32 v[2:3], 2, v[2:3]
	v_lshlrev_b64_e32 v[8:9], 2, v[7:8]
	;; [unrolled: 1-line block ×15, first 2 shown]
	v_dual_mov_b32 v47, 0 :: v_dual_add_nc_u32 v64, 0x5800, v56
	v_add_nc_u32_e32 v66, 0x900, v65
	v_dual_mov_b32 v90, 0 :: v_dual_add_nc_u32 v67, 0x1200, v65
	v_add_nc_u32_e32 v68, 0x1b00, v65
	v_add_nc_u32_e32 v69, 0x2400, v65
	;; [unrolled: 1-line block ×12, first 2 shown]
	v_dual_mov_b32 v92, 0xfeffffff :: v_dual_add_nc_u32 v87, v78, v4
	v_mbcnt_lo_u32_b32 v88, -1, 0
	s_ashr_i32 s19, s18, 31
	s_add_nc_u64 s[6:7], s[0:1], 0xd0
.LBB59_8:                               ; =>This Inner Loop Header: Depth=1
	s_ashr_i32 s29, s28, 31
	s_wait_alu 0xfffe
	s_mul_u64 s[12:13], s[28:29], s[8:9]
	s_wait_alu 0xfffe
	s_lshl_b64 s[12:13], s[12:13], 2
	s_wait_alu 0xfffe
	s_add_nc_u64 s[12:13], s[4:5], s[12:13]
	s_wait_alu 0xfffe
	v_add_co_u32 v4, vcc_lo, s12, v0
	s_wait_alu 0xfffd
	v_add_co_ci_u32_e64 v5, null, s13, v1, vcc_lo
	v_add_co_u32 v6, vcc_lo, s12, v2
	s_wait_alu 0xfffd
	v_add_co_ci_u32_e64 v7, null, s13, v3, vcc_lo
	;; [unrolled: 3-line block ×4, first 2 shown]
	s_clause 0x1
	global_load_b128 v[4:7], v[4:5], off
	global_load_b128 v[98:101], v[59:60], off
	v_add_co_u32 v59, vcc_lo, s12, v8
	s_wait_alu 0xfffd
	v_add_co_ci_u32_e64 v60, null, s13, v9, vcc_lo
	v_add_co_u32 v61, vcc_lo, s12, v10
	s_wait_alu 0xfffd
	v_add_co_ci_u32_e64 v62, null, s13, v11, vcc_lo
	;; [unrolled: 3-line block ×12, first 2 shown]
	s_clause 0x5
	global_load_b128 v[103:106], v[59:60], off
	global_load_b128 v[107:110], v[61:62], off
	;; [unrolled: 1-line block ×6, first 2 shown]
	v_dual_mov_b32 v102, 0 :: v_dual_mov_b32 v97, 0
	v_dual_mov_b32 v59, 0 :: v_dual_mov_b32 v62, 0
	s_and_not1_b32 vcc_lo, exec_lo, s10
	s_wait_loadcnt 0x7
	ds_store_b128 v65, v[4:7]
	s_wait_loadcnt 0x6
	ds_store_b128 v66, v[98:101]
	;; [unrolled: 2-line block ×8, first 2 shown]
	s_wait_dscnt 0x0
	s_barrier_signal -1
	s_barrier_wait -1
	global_inv scope:SCOPE_SE
	ds_load_b128 v[107:110], v58
	ds_load_b128 v[111:114], v64
	ds_load_b128 v[115:118], v64 offset:128
	ds_load_b128 v[127:130], v58 offset:4608
	;; [unrolled: 1-line block ×6, first 2 shown]
	s_wait_dscnt 0x6
	;;#ASMSTART
	v_dot2_f32_f16 v102, v107, v111, v102
	;;#ASMEND
	;;#ASMSTART
	v_dot2_f32_f16 v102, v108, v112, v102
	;;#ASMEND
	;; [unrolled: 3-line block ×4, first 2 shown]
	s_wait_dscnt 0x5
	;;#ASMSTART
	v_dot2_f32_f16 v97, v107, v115, v97
	;;#ASMEND
	;;#ASMSTART
	v_dot2_f32_f16 v97, v108, v116, v97
	;;#ASMEND
	;; [unrolled: 3-line block ×3, first 2 shown]
	v_mov_b32_e32 v6, 0
	;;#ASMSTART
	v_dot2_f32_f16 v97, v110, v118, v97
	;;#ASMEND
	s_wait_dscnt 0x3
	;;#ASMSTART
	v_dot2_f32_f16 v59, v107, v119, v59
	;;#ASMEND
	;;#ASMSTART
	v_dot2_f32_f16 v59, v108, v120, v59
	;;#ASMEND
	;; [unrolled: 3-line block ×4, first 2 shown]
	s_wait_dscnt 0x2
	;;#ASMSTART
	v_dot2_f32_f16 v6, v107, v123, v6
	;;#ASMEND
	;;#ASMSTART
	v_dot2_f32_f16 v6, v108, v124, v6
	;;#ASMEND
	v_dual_mov_b32 v104, 0 :: v_dual_mov_b32 v99, 0
	;;#ASMSTART
	v_dot2_f32_f16 v6, v109, v125, v6
	;;#ASMEND
	;;#ASMSTART
	v_dot2_f32_f16 v6, v110, v126, v6
	;;#ASMEND
	;; [unrolled: 3-line block ×9, first 2 shown]
	v_mov_b32_e32 v7, 0
	;;#ASMSTART
	v_dot2_f32_f16 v99, v130, v118, v99
	;;#ASMEND
	;;#ASMSTART
	v_dot2_f32_f16 v62, v127, v119, v62
	;;#ASMEND
	;; [unrolled: 3-line block ×7, first 2 shown]
	v_dual_mov_b32 v105, 0 :: v_dual_mov_b32 v98, 0
	;;#ASMSTART
	v_dot2_f32_f16 v7, v129, v125, v7
	;;#ASMEND
	;;#ASMSTART
	v_dot2_f32_f16 v7, v130, v126, v7
	;;#ASMEND
	s_wait_dscnt 0x1
	;;#ASMSTART
	v_dot2_f32_f16 v105, v131, v111, v105
	;;#ASMEND
	;;#ASMSTART
	v_dot2_f32_f16 v105, v132, v112, v105
	;;#ASMEND
	v_dual_mov_b32 v101, 0 :: v_dual_mov_b32 v60, 0
	;;#ASMSTART
	v_dot2_f32_f16 v105, v133, v113, v105
	;;#ASMEND
	;;#ASMSTART
	v_dot2_f32_f16 v105, v134, v114, v105
	;;#ASMEND
	;; [unrolled: 3-line block ×12, first 2 shown]
	v_dual_mov_b32 v106, 0 :: v_dual_mov_b32 v103, 0
	;;#ASMSTART
	v_dot2_f32_f16 v60, v133, v125, v60
	;;#ASMEND
	;;#ASMSTART
	v_dot2_f32_f16 v60, v134, v126, v60
	;;#ASMEND
	s_wait_dscnt 0x0
	;;#ASMSTART
	v_dot2_f32_f16 v106, v135, v111, v106
	;;#ASMEND
	;;#ASMSTART
	v_dot2_f32_f16 v106, v136, v112, v106
	;;#ASMEND
	;; [unrolled: 3-line block ×6, first 2 shown]
	v_dual_mov_b32 v100, 0 :: v_dual_mov_b32 v61, 0
	;;#ASMSTART
	v_dot2_f32_f16 v103, v137, v117, v103
	;;#ASMEND
	;;#ASMSTART
	v_dot2_f32_f16 v103, v138, v118, v103
	;;#ASMEND
	;; [unrolled: 3-line block ×10, first 2 shown]
	ds_load_b128 v[107:110], v58 offset:16
	ds_load_b128 v[111:114], v64 offset:16
	;; [unrolled: 1-line block ×8, first 2 shown]
	s_wait_dscnt 0x6
	;;#ASMSTART
	v_dot2_f32_f16 v102, v107, v111, v102
	;;#ASMEND
	;;#ASMSTART
	v_dot2_f32_f16 v102, v108, v112, v102
	;;#ASMEND
	;;#ASMSTART
	v_dot2_f32_f16 v102, v109, v113, v102
	;;#ASMEND
	;;#ASMSTART
	v_dot2_f32_f16 v102, v110, v114, v102
	;;#ASMEND
	s_wait_dscnt 0x5
	;;#ASMSTART
	v_dot2_f32_f16 v97, v107, v115, v97
	;;#ASMEND
	;;#ASMSTART
	v_dot2_f32_f16 v97, v108, v116, v97
	;;#ASMEND
	;;#ASMSTART
	v_dot2_f32_f16 v97, v109, v117, v97
	;;#ASMEND
	;;#ASMSTART
	v_dot2_f32_f16 v97, v110, v118, v97
	;;#ASMEND
	;; [unrolled: 13-line block ×5, first 2 shown]
	;;#ASMSTART
	v_dot2_f32_f16 v99, v127, v115, v99
	;;#ASMEND
	;;#ASMSTART
	v_dot2_f32_f16 v99, v128, v116, v99
	;;#ASMEND
	;; [unrolled: 3-line block ×12, first 2 shown]
	s_wait_dscnt 0x1
	;;#ASMSTART
	v_dot2_f32_f16 v105, v131, v111, v105
	;;#ASMEND
	;;#ASMSTART
	v_dot2_f32_f16 v105, v132, v112, v105
	;;#ASMEND
	;; [unrolled: 3-line block ×16, first 2 shown]
	s_wait_dscnt 0x0
	;;#ASMSTART
	v_dot2_f32_f16 v106, v135, v111, v106
	;;#ASMEND
	;;#ASMSTART
	v_dot2_f32_f16 v106, v136, v112, v106
	;;#ASMEND
	;; [unrolled: 3-line block ×16, first 2 shown]
	ds_load_b128 v[107:110], v58 offset:32
	ds_load_b128 v[111:114], v64 offset:32
	;; [unrolled: 1-line block ×8, first 2 shown]
	s_wait_dscnt 0x6
	;;#ASMSTART
	v_dot2_f32_f16 v102, v107, v111, v102
	;;#ASMEND
	;;#ASMSTART
	v_dot2_f32_f16 v102, v108, v112, v102
	;;#ASMEND
	;;#ASMSTART
	v_dot2_f32_f16 v102, v109, v113, v102
	;;#ASMEND
	;;#ASMSTART
	v_dot2_f32_f16 v102, v110, v114, v102
	;;#ASMEND
	s_wait_dscnt 0x5
	;;#ASMSTART
	v_dot2_f32_f16 v97, v107, v115, v97
	;;#ASMEND
	;;#ASMSTART
	v_dot2_f32_f16 v97, v108, v116, v97
	;;#ASMEND
	;;#ASMSTART
	v_dot2_f32_f16 v97, v109, v117, v97
	;;#ASMEND
	;;#ASMSTART
	v_dot2_f32_f16 v97, v110, v118, v97
	;;#ASMEND
	;; [unrolled: 13-line block ×5, first 2 shown]
	;;#ASMSTART
	v_dot2_f32_f16 v99, v127, v115, v99
	;;#ASMEND
	;;#ASMSTART
	v_dot2_f32_f16 v99, v128, v116, v99
	;;#ASMEND
	;; [unrolled: 3-line block ×12, first 2 shown]
	s_wait_dscnt 0x1
	;;#ASMSTART
	v_dot2_f32_f16 v105, v131, v111, v105
	;;#ASMEND
	;;#ASMSTART
	v_dot2_f32_f16 v105, v132, v112, v105
	;;#ASMEND
	;; [unrolled: 3-line block ×16, first 2 shown]
	s_wait_dscnt 0x0
	;;#ASMSTART
	v_dot2_f32_f16 v106, v135, v111, v106
	;;#ASMEND
	;;#ASMSTART
	v_dot2_f32_f16 v106, v136, v112, v106
	;;#ASMEND
	;; [unrolled: 3-line block ×16, first 2 shown]
	ds_load_b128 v[107:110], v58 offset:48
	ds_load_b128 v[111:114], v64 offset:48
	;; [unrolled: 1-line block ×8, first 2 shown]
	s_wait_dscnt 0x6
	;;#ASMSTART
	v_dot2_f32_f16 v102, v107, v111, v102
	;;#ASMEND
	;;#ASMSTART
	v_dot2_f32_f16 v102, v108, v112, v102
	;;#ASMEND
	;;#ASMSTART
	v_dot2_f32_f16 v102, v109, v113, v102
	;;#ASMEND
	;;#ASMSTART
	v_dot2_f32_f16 v102, v110, v114, v102
	;;#ASMEND
	s_wait_dscnt 0x5
	;;#ASMSTART
	v_dot2_f32_f16 v97, v107, v115, v97
	;;#ASMEND
	;;#ASMSTART
	v_dot2_f32_f16 v97, v108, v116, v97
	;;#ASMEND
	;;#ASMSTART
	v_dot2_f32_f16 v97, v109, v117, v97
	;;#ASMEND
	;;#ASMSTART
	v_dot2_f32_f16 v97, v110, v118, v97
	;;#ASMEND
	;; [unrolled: 13-line block ×5, first 2 shown]
	;;#ASMSTART
	v_dot2_f32_f16 v99, v127, v115, v99
	;;#ASMEND
	;;#ASMSTART
	v_dot2_f32_f16 v99, v128, v116, v99
	;;#ASMEND
	;;#ASMSTART
	v_dot2_f32_f16 v99, v129, v117, v99
	;;#ASMEND
	;;#ASMSTART
	v_dot2_f32_f16 v99, v130, v118, v99
	;;#ASMEND
	;;#ASMSTART
	v_dot2_f32_f16 v62, v127, v119, v62
	;;#ASMEND
	;;#ASMSTART
	v_dot2_f32_f16 v62, v128, v120, v62
	;;#ASMEND
	;;#ASMSTART
	v_dot2_f32_f16 v62, v129, v121, v62
	;;#ASMEND
	;;#ASMSTART
	v_dot2_f32_f16 v62, v130, v122, v62
	;;#ASMEND
	;;#ASMSTART
	v_dot2_f32_f16 v7, v127, v123, v7
	;;#ASMEND
	;;#ASMSTART
	v_dot2_f32_f16 v7, v128, v124, v7
	;;#ASMEND
	;;#ASMSTART
	v_dot2_f32_f16 v7, v129, v125, v7
	;;#ASMEND
	;;#ASMSTART
	v_dot2_f32_f16 v7, v130, v126, v7
	;;#ASMEND
	s_wait_dscnt 0x1
	;;#ASMSTART
	v_dot2_f32_f16 v105, v131, v111, v105
	;;#ASMEND
	;;#ASMSTART
	v_dot2_f32_f16 v105, v132, v112, v105
	;;#ASMEND
	;; [unrolled: 3-line block ×16, first 2 shown]
	s_wait_dscnt 0x0
	;;#ASMSTART
	v_dot2_f32_f16 v106, v135, v111, v106
	;;#ASMEND
	;;#ASMSTART
	v_dot2_f32_f16 v106, v136, v112, v106
	;;#ASMEND
	;; [unrolled: 3-line block ×16, first 2 shown]
	ds_load_b128 v[107:110], v58 offset:64
	ds_load_b128 v[111:114], v64 offset:64
	;; [unrolled: 1-line block ×8, first 2 shown]
	s_wait_dscnt 0x6
	;;#ASMSTART
	v_dot2_f32_f16 v102, v107, v111, v102
	;;#ASMEND
	;;#ASMSTART
	v_dot2_f32_f16 v102, v108, v112, v102
	;;#ASMEND
	;;#ASMSTART
	v_dot2_f32_f16 v102, v109, v113, v102
	;;#ASMEND
	;;#ASMSTART
	v_dot2_f32_f16 v102, v110, v114, v102
	;;#ASMEND
	s_wait_dscnt 0x5
	;;#ASMSTART
	v_dot2_f32_f16 v97, v107, v115, v97
	;;#ASMEND
	;;#ASMSTART
	v_dot2_f32_f16 v97, v108, v116, v97
	;;#ASMEND
	;;#ASMSTART
	v_dot2_f32_f16 v97, v109, v117, v97
	;;#ASMEND
	;;#ASMSTART
	v_dot2_f32_f16 v97, v110, v118, v97
	;;#ASMEND
	;; [unrolled: 13-line block ×5, first 2 shown]
	;;#ASMSTART
	v_dot2_f32_f16 v99, v127, v115, v99
	;;#ASMEND
	;;#ASMSTART
	v_dot2_f32_f16 v99, v128, v116, v99
	;;#ASMEND
	;; [unrolled: 3-line block ×12, first 2 shown]
	s_wait_dscnt 0x1
	;;#ASMSTART
	v_dot2_f32_f16 v105, v131, v111, v105
	;;#ASMEND
	;;#ASMSTART
	v_dot2_f32_f16 v105, v132, v112, v105
	;;#ASMEND
	;;#ASMSTART
	v_dot2_f32_f16 v105, v133, v113, v105
	;;#ASMEND
	;;#ASMSTART
	v_dot2_f32_f16 v105, v134, v114, v105
	;;#ASMEND
	;;#ASMSTART
	v_dot2_f32_f16 v101, v131, v115, v101
	;;#ASMEND
	;;#ASMSTART
	v_dot2_f32_f16 v101, v132, v116, v101
	;;#ASMEND
	;;#ASMSTART
	v_dot2_f32_f16 v101, v133, v117, v101
	;;#ASMEND
	;;#ASMSTART
	v_dot2_f32_f16 v101, v134, v118, v101
	;;#ASMEND
	;;#ASMSTART
	v_dot2_f32_f16 v98, v131, v119, v98
	;;#ASMEND
	;;#ASMSTART
	v_dot2_f32_f16 v98, v132, v120, v98
	;;#ASMEND
	;;#ASMSTART
	v_dot2_f32_f16 v98, v133, v121, v98
	;;#ASMEND
	;;#ASMSTART
	v_dot2_f32_f16 v98, v134, v122, v98
	;;#ASMEND
	;;#ASMSTART
	v_dot2_f32_f16 v60, v131, v123, v60
	;;#ASMEND
	;;#ASMSTART
	v_dot2_f32_f16 v60, v132, v124, v60
	;;#ASMEND
	;;#ASMSTART
	v_dot2_f32_f16 v60, v133, v125, v60
	;;#ASMEND
	;;#ASMSTART
	v_dot2_f32_f16 v60, v134, v126, v60
	;;#ASMEND
	s_wait_dscnt 0x0
	;;#ASMSTART
	v_dot2_f32_f16 v106, v135, v111, v106
	;;#ASMEND
	;;#ASMSTART
	v_dot2_f32_f16 v106, v136, v112, v106
	;;#ASMEND
	;; [unrolled: 3-line block ×16, first 2 shown]
	ds_load_b128 v[107:110], v58 offset:80
	ds_load_b128 v[111:114], v64 offset:80
	;; [unrolled: 1-line block ×8, first 2 shown]
	s_wait_dscnt 0x6
	;;#ASMSTART
	v_dot2_f32_f16 v102, v107, v111, v102
	;;#ASMEND
	;;#ASMSTART
	v_dot2_f32_f16 v102, v108, v112, v102
	;;#ASMEND
	;;#ASMSTART
	v_dot2_f32_f16 v102, v109, v113, v102
	;;#ASMEND
	;;#ASMSTART
	v_dot2_f32_f16 v102, v110, v114, v102
	;;#ASMEND
	s_wait_dscnt 0x5
	;;#ASMSTART
	v_dot2_f32_f16 v97, v107, v115, v97
	;;#ASMEND
	;;#ASMSTART
	v_dot2_f32_f16 v97, v108, v116, v97
	;;#ASMEND
	;;#ASMSTART
	v_dot2_f32_f16 v97, v109, v117, v97
	;;#ASMEND
	;;#ASMSTART
	v_dot2_f32_f16 v97, v110, v118, v97
	;;#ASMEND
	;; [unrolled: 13-line block ×5, first 2 shown]
	;;#ASMSTART
	v_dot2_f32_f16 v99, v127, v115, v99
	;;#ASMEND
	;;#ASMSTART
	v_dot2_f32_f16 v99, v128, v116, v99
	;;#ASMEND
	;; [unrolled: 3-line block ×12, first 2 shown]
	s_wait_dscnt 0x1
	;;#ASMSTART
	v_dot2_f32_f16 v105, v131, v111, v105
	;;#ASMEND
	;;#ASMSTART
	v_dot2_f32_f16 v105, v132, v112, v105
	;;#ASMEND
	;; [unrolled: 3-line block ×16, first 2 shown]
	s_wait_dscnt 0x0
	;;#ASMSTART
	v_dot2_f32_f16 v106, v135, v111, v106
	;;#ASMEND
	;;#ASMSTART
	v_dot2_f32_f16 v106, v136, v112, v106
	;;#ASMEND
	;; [unrolled: 3-line block ×16, first 2 shown]
	ds_load_b128 v[107:110], v58 offset:96
	ds_load_b128 v[111:114], v64 offset:96
	;; [unrolled: 1-line block ×8, first 2 shown]
	s_wait_dscnt 0x6
	;;#ASMSTART
	v_dot2_f32_f16 v102, v107, v111, v102
	;;#ASMEND
	;;#ASMSTART
	v_dot2_f32_f16 v102, v108, v112, v102
	;;#ASMEND
	;;#ASMSTART
	v_dot2_f32_f16 v102, v109, v113, v102
	;;#ASMEND
	;;#ASMSTART
	v_dot2_f32_f16 v102, v110, v114, v102
	;;#ASMEND
	s_wait_dscnt 0x5
	;;#ASMSTART
	v_dot2_f32_f16 v97, v107, v115, v97
	;;#ASMEND
	;;#ASMSTART
	v_dot2_f32_f16 v97, v108, v116, v97
	;;#ASMEND
	;;#ASMSTART
	v_dot2_f32_f16 v97, v109, v117, v97
	;;#ASMEND
	;;#ASMSTART
	v_dot2_f32_f16 v97, v110, v118, v97
	;;#ASMEND
	;; [unrolled: 13-line block ×5, first 2 shown]
	;;#ASMSTART
	v_dot2_f32_f16 v99, v127, v115, v99
	;;#ASMEND
	;;#ASMSTART
	v_dot2_f32_f16 v99, v128, v116, v99
	;;#ASMEND
	;; [unrolled: 3-line block ×12, first 2 shown]
	s_wait_dscnt 0x1
	;;#ASMSTART
	v_dot2_f32_f16 v105, v131, v111, v105
	;;#ASMEND
	;;#ASMSTART
	v_dot2_f32_f16 v105, v132, v112, v105
	;;#ASMEND
	;;#ASMSTART
	v_dot2_f32_f16 v105, v133, v113, v105
	;;#ASMEND
	;;#ASMSTART
	v_dot2_f32_f16 v105, v134, v114, v105
	;;#ASMEND
	;;#ASMSTART
	v_dot2_f32_f16 v101, v131, v115, v101
	;;#ASMEND
	;;#ASMSTART
	v_dot2_f32_f16 v101, v132, v116, v101
	;;#ASMEND
	;;#ASMSTART
	v_dot2_f32_f16 v101, v133, v117, v101
	;;#ASMEND
	;;#ASMSTART
	v_dot2_f32_f16 v101, v134, v118, v101
	;;#ASMEND
	;;#ASMSTART
	v_dot2_f32_f16 v98, v131, v119, v98
	;;#ASMEND
	;;#ASMSTART
	v_dot2_f32_f16 v98, v132, v120, v98
	;;#ASMEND
	;;#ASMSTART
	v_dot2_f32_f16 v98, v133, v121, v98
	;;#ASMEND
	;;#ASMSTART
	v_dot2_f32_f16 v98, v134, v122, v98
	;;#ASMEND
	;;#ASMSTART
	v_dot2_f32_f16 v60, v131, v123, v60
	;;#ASMEND
	;;#ASMSTART
	v_dot2_f32_f16 v60, v132, v124, v60
	;;#ASMEND
	;;#ASMSTART
	v_dot2_f32_f16 v60, v133, v125, v60
	;;#ASMEND
	;;#ASMSTART
	v_dot2_f32_f16 v60, v134, v126, v60
	;;#ASMEND
	s_wait_dscnt 0x0
	;;#ASMSTART
	v_dot2_f32_f16 v106, v135, v111, v106
	;;#ASMEND
	;;#ASMSTART
	v_dot2_f32_f16 v106, v136, v112, v106
	;;#ASMEND
	;; [unrolled: 3-line block ×16, first 2 shown]
	ds_load_b128 v[108:111], v58 offset:112
	ds_load_b128 v[114:117], v64 offset:112
	;; [unrolled: 1-line block ×8, first 2 shown]
	s_wait_dscnt 0x6
	;;#ASMSTART
	v_dot2_f32_f16 v102, v108, v114, v102
	;;#ASMEND
	;;#ASMSTART
	v_dot2_f32_f16 v102, v109, v115, v102
	;;#ASMEND
	;;#ASMSTART
	v_dot2_f32_f16 v102, v110, v116, v102
	;;#ASMEND
	;;#ASMSTART
	v_dot2_f32_f16 v102, v111, v117, v102
	;;#ASMEND
	s_wait_dscnt 0x5
	;;#ASMSTART
	v_dot2_f32_f16 v97, v108, v118, v97
	;;#ASMEND
	;;#ASMSTART
	v_dot2_f32_f16 v97, v109, v119, v97
	;;#ASMEND
	;;#ASMSTART
	v_dot2_f32_f16 v97, v110, v120, v97
	;;#ASMEND
	;;#ASMSTART
	v_dot2_f32_f16 v97, v111, v121, v97
	;;#ASMEND
	;; [unrolled: 13-line block ×4, first 2 shown]
	;;#ASMSTART
	v_dot2_f32_f16 v104, v130, v114, v104
	;;#ASMEND
	;;#ASMSTART
	v_dot2_f32_f16 v104, v131, v115, v104
	;;#ASMEND
	;; [unrolled: 3-line block ×16, first 2 shown]
	s_wait_dscnt 0x1
	;;#ASMSTART
	v_dot2_f32_f16 v105, v134, v114, v105
	;;#ASMEND
	;;#ASMSTART
	v_dot2_f32_f16 v105, v135, v115, v105
	;;#ASMEND
	;; [unrolled: 3-line block ×11, first 2 shown]
	v_add_nc_u32_e32 v113, s28, v44
	;;#ASMSTART
	v_dot2_f32_f16 v98, v137, v125, v98
	;;#ASMEND
	;;#ASMSTART
	v_dot2_f32_f16 v60, v134, v126, v60
	;;#ASMEND
	;; [unrolled: 3-line block ×5, first 2 shown]
	s_wait_dscnt 0x0
	;;#ASMSTART
	v_dot2_f32_f16 v106, v138, v114, v106
	;;#ASMEND
	;;#ASMSTART
	v_dot2_f32_f16 v106, v139, v115, v106
	;;#ASMEND
	v_dual_mov_b32 v107, 0 :: v_dual_add_nc_u32 v4, v113, v73
	;;#ASMSTART
	v_dot2_f32_f16 v106, v140, v116, v106
	;;#ASMEND
	;;#ASMSTART
	v_dot2_f32_f16 v106, v141, v117, v106
	;;#ASMEND
	;; [unrolled: 3-line block ×7, first 2 shown]
	v_ashrrev_i32_e32 v5, 31, v4
	;;#ASMSTART
	v_dot2_f32_f16 v100, v139, v123, v100
	;;#ASMEND
	;;#ASMSTART
	v_dot2_f32_f16 v100, v140, v124, v100
	;;#ASMEND
	;; [unrolled: 3-line block ×7, first 2 shown]
	s_wait_alu 0xfffe
	s_cbranch_vccnz .LBB59_10
; %bb.9:                                ;   in Loop: Header=BB59_8 Depth=1
	v_lshlrev_b64_e32 v[107:108], 1, v[4:5]
	s_delay_alu instid0(VALU_DEP_1) | instskip(SKIP_1) | instid1(VALU_DEP_2)
	v_add_co_u32 v107, vcc_lo, s38, v107
	s_wait_alu 0xfffd
	v_add_co_ci_u32_e64 v108, null, s39, v108, vcc_lo
	global_load_u16 v107, v[107:108], off
	s_wait_loadcnt 0x0
	v_cvt_f32_f16_e32 v107, v107
	s_delay_alu instid0(VALU_DEP_1)
	v_mul_f32_e32 v107, v51, v107
.LBB59_10:                              ;   in Loop: Header=BB59_8 Depth=1
	v_mov_b32_e32 v108, 0
	v_mov_b32_e32 v110, 0
	s_and_not1_b32 vcc_lo, exec_lo, s10
	s_wait_alu 0xfffe
	s_cbranch_vccnz .LBB59_12
; %bb.11:                               ;   in Loop: Header=BB59_8 Depth=1
	v_lshlrev_b64_e32 v[109:110], 1, v[4:5]
	s_delay_alu instid0(VALU_DEP_1) | instskip(SKIP_1) | instid1(VALU_DEP_2)
	v_add_co_u32 v109, vcc_lo, s38, v109
	s_wait_alu 0xfffd
	v_add_co_ci_u32_e64 v110, null, s39, v110, vcc_lo
	global_load_u16 v109, v[109:110], off offset:64
	s_wait_loadcnt 0x0
	v_cvt_f32_f16_e32 v109, v109
	s_delay_alu instid0(VALU_DEP_1)
	v_mul_f32_e32 v110, v51, v109
.LBB59_12:                              ;   in Loop: Header=BB59_8 Depth=1
	s_and_not1_b32 vcc_lo, exec_lo, s10
	s_wait_alu 0xfffe
	s_cbranch_vccnz .LBB59_14
; %bb.13:                               ;   in Loop: Header=BB59_8 Depth=1
	v_lshlrev_b64_e32 v[108:109], 1, v[4:5]
	s_delay_alu instid0(VALU_DEP_1) | instskip(SKIP_1) | instid1(VALU_DEP_2)
	v_add_co_u32 v108, vcc_lo, s38, v108
	s_wait_alu 0xfffd
	v_add_co_ci_u32_e64 v109, null, s39, v109, vcc_lo
	global_load_u16 v108, v[108:109], off offset:128
	s_wait_loadcnt 0x0
	v_cvt_f32_f16_e32 v108, v108
	s_delay_alu instid0(VALU_DEP_1)
	v_mul_f32_e32 v108, v51, v108
.LBB59_14:                              ;   in Loop: Header=BB59_8 Depth=1
	v_mov_b32_e32 v109, 0
	v_mov_b32_e32 v111, 0
	s_and_not1_b32 vcc_lo, exec_lo, s10
	s_wait_alu 0xfffe
	s_cbranch_vccnz .LBB59_16
; %bb.15:                               ;   in Loop: Header=BB59_8 Depth=1
	v_lshlrev_b64_e32 v[4:5], 1, v[4:5]
	s_delay_alu instid0(VALU_DEP_1) | instskip(SKIP_1) | instid1(VALU_DEP_2)
	v_add_co_u32 v4, vcc_lo, s38, v4
	s_wait_alu 0xfffd
	v_add_co_ci_u32_e64 v5, null, s39, v5, vcc_lo
	global_load_u16 v4, v[4:5], off offset:192
	s_wait_loadcnt 0x0
	v_cvt_f32_f16_e32 v4, v4
	s_delay_alu instid0(VALU_DEP_1)
	v_mul_f32_e32 v111, v51, v4
.LBB59_16:                              ;   in Loop: Header=BB59_8 Depth=1
	v_dual_add_f32 v107, v102, v107 :: v_dual_add_f32 v104, v104, v110
	v_xor_b32_e32 v4, 16, v88
	s_delay_alu instid0(VALU_DEP_3) | instskip(NEXT) | instid1(VALU_DEP_3)
	v_dual_add_f32 v105, v105, v108 :: v_dual_add_f32 v108, v106, v111
	v_dual_add_f32 v5, 0x40051340, v107 :: v_dual_add_f32 v102, 0x40051340, v104
	s_delay_alu instid0(VALU_DEP_3) | instskip(NEXT) | instid1(VALU_DEP_2)
	v_cmp_gt_i32_e32 vcc_lo, 32, v4
	v_max3_num_f32 v5, v96, v5, v102
	s_wait_alu 0xfffd
	v_cndmask_b32_e32 v4, v88, v4, vcc_lo
	v_add_f32_e32 v106, 0x40051340, v105
	v_add_f32_e32 v102, 0x40051340, v108
	s_delay_alu instid0(VALU_DEP_3) | instskip(NEXT) | instid1(VALU_DEP_2)
	v_lshlrev_b32_e32 v115, 2, v4
	v_max3_num_f32 v4, v5, v106, v102
	v_xor_b32_e32 v102, 8, v88
	ds_bpermute_b32 v5, v115, v4
	v_cmp_gt_i32_e32 vcc_lo, 32, v102
	s_wait_alu 0xfffd
	v_cndmask_b32_e32 v102, v88, v102, vcc_lo
	s_delay_alu instid0(VALU_DEP_1) | instskip(SKIP_1) | instid1(VALU_DEP_1)
	v_lshlrev_b32_e32 v112, 2, v102
	v_xor_b32_e32 v102, 4, v88
	v_cmp_gt_i32_e32 vcc_lo, 32, v102
	s_wait_dscnt 0x0
	s_wait_alu 0xfffd
	v_dual_max_num_f32 v5, v5, v5 :: v_dual_cndmask_b32 v102, v88, v102
	s_delay_alu instid0(VALU_DEP_1) | instskip(NEXT) | instid1(VALU_DEP_2)
	v_max_num_f32_e32 v4, v4, v5
	v_lshlrev_b32_e32 v110, 2, v102
	v_xor_b32_e32 v102, 2, v88
	ds_bpermute_b32 v5, v112, v4
	v_cmp_gt_i32_e32 vcc_lo, 32, v102
	s_wait_alu 0xfffd
	v_cndmask_b32_e32 v102, v88, v102, vcc_lo
	s_delay_alu instid0(VALU_DEP_1) | instskip(SKIP_1) | instid1(VALU_DEP_1)
	v_lshlrev_b32_e32 v106, 2, v102
	v_xor_b32_e32 v102, 1, v88
	v_cmp_gt_i32_e32 vcc_lo, 32, v102
	s_wait_dscnt 0x0
	s_wait_alu 0xfffd
	v_dual_max_num_f32 v5, v5, v5 :: v_dual_cndmask_b32 v102, v88, v102
	s_delay_alu instid0(VALU_DEP_1) | instskip(SKIP_1) | instid1(VALU_DEP_2)
	v_max_num_f32_e32 v4, v4, v5
	s_and_not1_b32 vcc_lo, exec_lo, s10
	v_lshlrev_b32_e32 v102, 2, v102
	ds_bpermute_b32 v5, v110, v4
	s_wait_dscnt 0x0
	v_max_num_f32_e32 v5, v5, v5
	s_delay_alu instid0(VALU_DEP_1) | instskip(SKIP_3) | instid1(VALU_DEP_1)
	v_max_num_f32_e32 v4, v4, v5
	ds_bpermute_b32 v5, v106, v4
	s_wait_dscnt 0x0
	v_max_num_f32_e32 v5, v5, v5
	v_max_num_f32_e32 v116, v4, v5
	v_add_nc_u32_e32 v4, v113, v74
	ds_bpermute_b32 v117, v102, v116
	v_ashrrev_i32_e32 v5, 31, v4
	s_wait_alu 0xfffe
	s_cbranch_vccnz .LBB59_18
; %bb.17:                               ;   in Loop: Header=BB59_8 Depth=1
	s_delay_alu instid0(VALU_DEP_1) | instskip(NEXT) | instid1(VALU_DEP_1)
	v_lshlrev_b64_e32 v[118:119], 1, v[4:5]
	v_add_co_u32 v118, vcc_lo, s38, v118
	s_wait_alu 0xfffd
	s_delay_alu instid0(VALU_DEP_2) | instskip(SKIP_3) | instid1(VALU_DEP_1)
	v_add_co_ci_u32_e64 v119, null, s39, v119, vcc_lo
	global_load_u16 v109, v[118:119], off
	s_wait_loadcnt 0x0
	v_cvt_f32_f16_e32 v109, v109
	v_mul_f32_e32 v109, v51, v109
.LBB59_18:                              ;   in Loop: Header=BB59_8 Depth=1
	v_dual_mov_b32 v118, 0 :: v_dual_mov_b32 v119, 0
	s_and_not1_b32 vcc_lo, exec_lo, s10
	s_wait_alu 0xfffe
	s_cbranch_vccnz .LBB59_20
; %bb.19:                               ;   in Loop: Header=BB59_8 Depth=1
	v_lshlrev_b64_e32 v[119:120], 1, v[4:5]
	s_delay_alu instid0(VALU_DEP_1) | instskip(SKIP_1) | instid1(VALU_DEP_2)
	v_add_co_u32 v119, vcc_lo, s38, v119
	s_wait_alu 0xfffd
	v_add_co_ci_u32_e64 v120, null, s39, v120, vcc_lo
	global_load_u16 v111, v[119:120], off offset:64
	s_wait_loadcnt 0x0
	v_cvt_f32_f16_e32 v111, v111
	s_delay_alu instid0(VALU_DEP_1)
	v_mul_f32_e32 v119, v51, v111
.LBB59_20:                              ;   in Loop: Header=BB59_8 Depth=1
	s_and_not1_b32 vcc_lo, exec_lo, s10
	s_wait_alu 0xfffe
	s_cbranch_vccnz .LBB59_22
; %bb.21:                               ;   in Loop: Header=BB59_8 Depth=1
	v_lshlrev_b64_e32 v[120:121], 1, v[4:5]
	s_delay_alu instid0(VALU_DEP_1) | instskip(SKIP_1) | instid1(VALU_DEP_2)
	v_add_co_u32 v120, vcc_lo, s38, v120
	s_wait_alu 0xfffd
	v_add_co_ci_u32_e64 v121, null, s39, v121, vcc_lo
	global_load_u16 v111, v[120:121], off offset:128
	s_wait_loadcnt 0x0
	v_cvt_f32_f16_e32 v111, v111
	s_delay_alu instid0(VALU_DEP_1)
	v_mul_f32_e32 v118, v51, v111
.LBB59_22:                              ;   in Loop: Header=BB59_8 Depth=1
	v_mov_b32_e32 v114, 0
	v_mov_b32_e32 v120, 0
	s_and_not1_b32 vcc_lo, exec_lo, s10
	s_wait_alu 0xfffe
	s_cbranch_vccnz .LBB59_24
; %bb.23:                               ;   in Loop: Header=BB59_8 Depth=1
	v_lshlrev_b64_e32 v[4:5], 1, v[4:5]
	s_delay_alu instid0(VALU_DEP_1) | instskip(SKIP_1) | instid1(VALU_DEP_2)
	v_add_co_u32 v4, vcc_lo, s38, v4
	s_wait_alu 0xfffd
	v_add_co_ci_u32_e64 v5, null, s39, v5, vcc_lo
	global_load_u16 v4, v[4:5], off offset:192
	s_wait_loadcnt 0x0
	v_cvt_f32_f16_e32 v4, v4
	s_delay_alu instid0(VALU_DEP_1)
	v_mul_f32_e32 v120, v51, v4
.LBB59_24:                              ;   in Loop: Header=BB59_8 Depth=1
	v_add_f32_e32 v111, v97, v109
	v_add_f32_e32 v109, v99, v119
	;; [unrolled: 1-line block ×3, first 2 shown]
	s_delay_alu instid0(VALU_DEP_4) | instskip(SKIP_1) | instid1(VALU_DEP_3)
	v_add_f32_e32 v97, v103, v120
	s_and_not1_b32 vcc_lo, exec_lo, s10
	v_dual_add_f32 v4, 0x40051340, v111 :: v_dual_add_f32 v5, 0x40051340, v109
	s_delay_alu instid0(VALU_DEP_3) | instskip(NEXT) | instid1(VALU_DEP_2)
	v_add_f32_e32 v101, 0x40051340, v99
	v_max3_num_f32 v4, v94, v4, v5
	v_add_f32_e32 v5, 0x40051340, v97
	s_delay_alu instid0(VALU_DEP_1) | instskip(SKIP_3) | instid1(VALU_DEP_1)
	v_max3_num_f32 v4, v4, v101, v5
	ds_bpermute_b32 v5, v115, v4
	s_wait_dscnt 0x0
	v_max_num_f32_e32 v5, v5, v5
	v_max_num_f32_e32 v4, v4, v5
	ds_bpermute_b32 v5, v112, v4
	s_wait_dscnt 0x0
	v_max_num_f32_e32 v5, v5, v5
	s_delay_alu instid0(VALU_DEP_1) | instskip(SKIP_3) | instid1(VALU_DEP_1)
	v_max_num_f32_e32 v4, v4, v5
	ds_bpermute_b32 v5, v110, v4
	s_wait_dscnt 0x0
	v_max_num_f32_e32 v5, v5, v5
	v_max_num_f32_e32 v4, v4, v5
	ds_bpermute_b32 v5, v106, v4
	s_wait_dscnt 0x0
	v_max_num_f32_e32 v5, v5, v5
	s_delay_alu instid0(VALU_DEP_1)
	v_max_num_f32_e32 v118, v4, v5
	v_add_nc_u32_e32 v4, v113, v75
	ds_bpermute_b32 v119, v102, v118
	v_ashrrev_i32_e32 v5, 31, v4
	s_wait_alu 0xfffe
	s_cbranch_vccnz .LBB59_26
; %bb.25:                               ;   in Loop: Header=BB59_8 Depth=1
	s_delay_alu instid0(VALU_DEP_1) | instskip(NEXT) | instid1(VALU_DEP_1)
	v_lshlrev_b64_e32 v[120:121], 1, v[4:5]
	v_add_co_u32 v120, vcc_lo, s38, v120
	s_wait_alu 0xfffd
	s_delay_alu instid0(VALU_DEP_2) | instskip(SKIP_3) | instid1(VALU_DEP_1)
	v_add_co_ci_u32_e64 v121, null, s39, v121, vcc_lo
	global_load_u16 v101, v[120:121], off
	s_wait_loadcnt 0x0
	v_cvt_f32_f16_e32 v101, v101
	v_mul_f32_e32 v114, v51, v101
.LBB59_26:                              ;   in Loop: Header=BB59_8 Depth=1
	v_mov_b32_e32 v121, 0
	v_mov_b32_e32 v101, 0
	s_and_not1_b32 vcc_lo, exec_lo, s10
	s_wait_alu 0xfffe
	s_cbranch_vccnz .LBB59_28
; %bb.27:                               ;   in Loop: Header=BB59_8 Depth=1
	v_lshlrev_b64_e32 v[122:123], 1, v[4:5]
	s_delay_alu instid0(VALU_DEP_1) | instskip(SKIP_1) | instid1(VALU_DEP_2)
	v_add_co_u32 v122, vcc_lo, s38, v122
	s_wait_alu 0xfffd
	v_add_co_ci_u32_e64 v123, null, s39, v123, vcc_lo
	global_load_u16 v101, v[122:123], off offset:64
	s_wait_loadcnt 0x0
	v_cvt_f32_f16_e32 v101, v101
	s_delay_alu instid0(VALU_DEP_1)
	v_mul_f32_e32 v101, v51, v101
.LBB59_28:                              ;   in Loop: Header=BB59_8 Depth=1
	s_and_not1_b32 vcc_lo, exec_lo, s10
	s_wait_alu 0xfffe
	s_cbranch_vccnz .LBB59_30
; %bb.29:                               ;   in Loop: Header=BB59_8 Depth=1
	v_lshlrev_b64_e32 v[120:121], 1, v[4:5]
	s_delay_alu instid0(VALU_DEP_1) | instskip(SKIP_1) | instid1(VALU_DEP_2)
	v_add_co_u32 v120, vcc_lo, s38, v120
	s_wait_alu 0xfffd
	v_add_co_ci_u32_e64 v121, null, s39, v121, vcc_lo
	global_load_u16 v103, v[120:121], off offset:128
	s_wait_loadcnt 0x0
	v_cvt_f32_f16_e32 v103, v103
	s_delay_alu instid0(VALU_DEP_1)
	v_mul_f32_e32 v121, v51, v103
.LBB59_30:                              ;   in Loop: Header=BB59_8 Depth=1
	v_mov_b32_e32 v120, 0
	v_mov_b32_e32 v122, 0
	s_and_not1_b32 vcc_lo, exec_lo, s10
	s_wait_alu 0xfffe
	s_cbranch_vccnz .LBB59_32
; %bb.31:                               ;   in Loop: Header=BB59_8 Depth=1
	v_lshlrev_b64_e32 v[4:5], 1, v[4:5]
	s_delay_alu instid0(VALU_DEP_1) | instskip(SKIP_1) | instid1(VALU_DEP_2)
	v_add_co_u32 v4, vcc_lo, s38, v4
	s_wait_alu 0xfffd
	v_add_co_ci_u32_e64 v5, null, s39, v5, vcc_lo
	global_load_u16 v4, v[4:5], off offset:192
	s_wait_loadcnt 0x0
	v_cvt_f32_f16_e32 v4, v4
	s_delay_alu instid0(VALU_DEP_1)
	v_mul_f32_e32 v122, v51, v4
.LBB59_32:                              ;   in Loop: Header=BB59_8 Depth=1
	v_add_f32_e32 v103, v59, v114
	v_add_f32_e32 v101, v62, v101
	s_delay_alu instid0(VALU_DEP_3) | instskip(SKIP_1) | instid1(VALU_DEP_2)
	v_dual_add_f32 v62, v98, v121 :: v_dual_add_f32 v59, v100, v122
	s_and_not1_b32 vcc_lo, exec_lo, s10
	v_dual_add_f32 v4, 0x40051340, v103 :: v_dual_add_f32 v5, 0x40051340, v101
	s_delay_alu instid0(VALU_DEP_2) | instskip(NEXT) | instid1(VALU_DEP_2)
	v_add_f32_e32 v98, 0x40051340, v62
	v_max3_num_f32 v4, v92, v4, v5
	v_add_f32_e32 v5, 0x40051340, v59
	s_delay_alu instid0(VALU_DEP_1) | instskip(SKIP_3) | instid1(VALU_DEP_1)
	v_max3_num_f32 v4, v4, v98, v5
	ds_bpermute_b32 v5, v115, v4
	s_wait_dscnt 0x0
	v_max_num_f32_e32 v5, v5, v5
	v_max_num_f32_e32 v4, v4, v5
	ds_bpermute_b32 v5, v112, v4
	s_wait_dscnt 0x0
	v_max_num_f32_e32 v5, v5, v5
	s_delay_alu instid0(VALU_DEP_1) | instskip(SKIP_3) | instid1(VALU_DEP_1)
	v_max_num_f32_e32 v4, v4, v5
	ds_bpermute_b32 v5, v110, v4
	s_wait_dscnt 0x0
	v_max_num_f32_e32 v5, v5, v5
	v_max_num_f32_e32 v4, v4, v5
	ds_bpermute_b32 v5, v106, v4
	s_wait_dscnt 0x0
	v_max_num_f32_e32 v5, v5, v5
	s_delay_alu instid0(VALU_DEP_1)
	v_max_num_f32_e32 v121, v4, v5
	v_add_nc_u32_e32 v4, v113, v77
	ds_bpermute_b32 v122, v102, v121
	v_ashrrev_i32_e32 v5, 31, v4
	s_wait_alu 0xfffe
	s_cbranch_vccnz .LBB59_34
; %bb.33:                               ;   in Loop: Header=BB59_8 Depth=1
	s_delay_alu instid0(VALU_DEP_1) | instskip(NEXT) | instid1(VALU_DEP_1)
	v_lshlrev_b64_e32 v[113:114], 1, v[4:5]
	v_add_co_u32 v113, vcc_lo, s38, v113
	s_wait_alu 0xfffd
	s_delay_alu instid0(VALU_DEP_2) | instskip(SKIP_3) | instid1(VALU_DEP_1)
	v_add_co_ci_u32_e64 v114, null, s39, v114, vcc_lo
	global_load_u16 v98, v[113:114], off
	s_wait_loadcnt 0x0
	v_cvt_f32_f16_e32 v98, v98
	v_mul_f32_e32 v120, v51, v98
.LBB59_34:                              ;   in Loop: Header=BB59_8 Depth=1
	v_mov_b32_e32 v98, 0
	v_mov_b32_e32 v100, 0
	s_and_not1_b32 vcc_lo, exec_lo, s10
	s_wait_alu 0xfffe
	s_cbranch_vccnz .LBB59_36
; %bb.35:                               ;   in Loop: Header=BB59_8 Depth=1
	v_lshlrev_b64_e32 v[113:114], 1, v[4:5]
	s_delay_alu instid0(VALU_DEP_1) | instskip(SKIP_1) | instid1(VALU_DEP_2)
	v_add_co_u32 v113, vcc_lo, s38, v113
	s_wait_alu 0xfffd
	v_add_co_ci_u32_e64 v114, null, s39, v114, vcc_lo
	global_load_u16 v100, v[113:114], off offset:64
	s_wait_loadcnt 0x0
	v_cvt_f32_f16_e32 v100, v100
	s_delay_alu instid0(VALU_DEP_1)
	v_mul_f32_e32 v100, v51, v100
.LBB59_36:                              ;   in Loop: Header=BB59_8 Depth=1
	s_and_not1_b32 vcc_lo, exec_lo, s10
	s_wait_alu 0xfffe
	s_cbranch_vccnz .LBB59_38
; %bb.37:                               ;   in Loop: Header=BB59_8 Depth=1
	v_lshlrev_b64_e32 v[113:114], 1, v[4:5]
	s_delay_alu instid0(VALU_DEP_1) | instskip(SKIP_1) | instid1(VALU_DEP_2)
	v_add_co_u32 v113, vcc_lo, s38, v113
	s_wait_alu 0xfffd
	v_add_co_ci_u32_e64 v114, null, s39, v114, vcc_lo
	global_load_u16 v98, v[113:114], off offset:128
	s_wait_loadcnt 0x0
	v_cvt_f32_f16_e32 v98, v98
	s_delay_alu instid0(VALU_DEP_1)
	v_mul_f32_e32 v98, v51, v98
.LBB59_38:                              ;   in Loop: Header=BB59_8 Depth=1
	s_and_not1_b32 vcc_lo, exec_lo, s10
	s_wait_alu 0xfffe
	s_cbranch_vccnz .LBB59_40
; %bb.39:                               ;   in Loop: Header=BB59_8 Depth=1
	v_lshlrev_b64_e32 v[4:5], 1, v[4:5]
	s_delay_alu instid0(VALU_DEP_1) | instskip(SKIP_1) | instid1(VALU_DEP_2)
	v_add_co_u32 v4, vcc_lo, s38, v4
	s_wait_alu 0xfffd
	v_add_co_ci_u32_e64 v5, null, s39, v5, vcc_lo
	global_load_u16 v4, v[4:5], off offset:192
	s_wait_loadcnt 0x0
	v_cvt_f32_f16_e32 v4, v4
	s_delay_alu instid0(VALU_DEP_1)
	v_mul_f32_e32 v4, v51, v4
	s_branch .LBB59_41
.LBB59_40:                              ;   in Loop: Header=BB59_8 Depth=1
	v_mov_b32_e32 v4, 0
.LBB59_41:                              ;   in Loop: Header=BB59_8 Depth=1
	v_add_f32_e32 v100, v7, v100
	s_delay_alu instid0(VALU_DEP_2) | instskip(SKIP_2) | instid1(VALU_DEP_2)
	v_dual_add_f32 v98, v60, v98 :: v_dual_add_f32 v113, v61, v4
	v_add_f32_e32 v114, v6, v120
	s_mul_u64 s[12:13], s[28:29], s[18:19]
	v_dual_add_f32 v5, 0x40051340, v100 :: v_dual_add_f32 v6, 0x40051340, v98
	v_max_num_f32_e32 v117, v117, v117
	s_delay_alu instid0(VALU_DEP_3)
	v_dual_add_f32 v7, 0x40051340, v113 :: v_dual_add_f32 v4, 0x40051340, v114
	s_wait_alu 0xfffe
	s_lshl_b64 s[12:13], s[12:13], 2
	s_wait_loadcnt_dscnt 0x0
	s_wait_alu 0xfffe
	s_add_nc_u64 s[12:13], s[30:31], s[12:13]
	s_barrier_signal -1
	v_max3_num_f32 v4, v91, v4, v5
	v_max_num_f32_e32 v5, v122, v122
	v_max_num_f32_e32 v61, v118, v118
	s_barrier_wait -1
	global_inv scope:SCOPE_SE
	v_max3_num_f32 v7, v4, v6, v7
	v_max_num_f32_e32 v4, v121, v121
	ds_bpermute_b32 v115, v115, v7
	v_max_num_f32_e32 v116, v116, v116
	s_wait_dscnt 0x0
	v_dual_max_num_f32 v6, v4, v5 :: v_dual_max_num_f32 v115, v115, v115
	s_delay_alu instid0(VALU_DEP_1) | instskip(NEXT) | instid1(VALU_DEP_1)
	v_dual_max_num_f32 v4, v116, v117 :: v_dual_max_num_f32 v7, v7, v115
	v_dual_max_num_f32 v60, v119, v119 :: v_dual_sub_f32 v145, v105, v4
	v_sub_f32_e32 v144, v104, v4
	ds_bpermute_b32 v112, v112, v7
	v_max_num_f32_e32 v5, v61, v60
	v_mul_f32_e32 v147, 0x3fb8aa3b, v145
	s_wait_alu 0xfffe
	v_add_co_u32 v60, vcc_lo, s12, v20
	s_wait_alu 0xfffd
	v_add_co_ci_u32_e64 v61, null, s13, v21, vcc_lo
	v_rndne_f32_e32 v153, v147
	v_sub_f32_e32 v146, v108, v4
	v_fma_f32 v152, 0x3fb8aa3b, v145, -v147
	v_add_co_u32 v116, vcc_lo, s12, v22
	s_delay_alu instid0(VALU_DEP_4)
	v_sub_f32_e32 v147, v147, v153
	s_wait_alu 0xfffd
	v_add_co_ci_u32_e64 v117, null, s13, v23, vcc_lo
	v_add_co_u32 v118, vcc_lo, s12, v24
	s_wait_alu 0xfffd
	v_add_co_ci_u32_e64 v119, null, s13, v25, vcc_lo
	v_add_co_u32 v115, vcc_lo, s12, v26
	s_wait_dscnt 0x0
	v_max_num_f32_e32 v104, v112, v112
	s_wait_alu 0xfffd
	v_add_co_ci_u32_e64 v120, null, s13, v27, vcc_lo
	v_add_co_u32 v121, vcc_lo, s12, v28
	s_delay_alu instid0(VALU_DEP_3)
	v_max_num_f32_e32 v7, v7, v104
	s_wait_alu 0xfffd
	v_add_co_ci_u32_e64 v122, null, s13, v29, vcc_lo
	v_add_co_u32 v125, vcc_lo, s12, v30
	ds_bpermute_b32 v110, v110, v7
	s_wait_alu 0xfffd
	v_add_co_ci_u32_e64 v126, null, s13, v31, vcc_lo
	v_add_co_u32 v129, vcc_lo, s12, v32
	s_wait_alu 0xfffd
	v_add_co_ci_u32_e64 v130, null, s13, v33, vcc_lo
	v_add_co_u32 v133, vcc_lo, s12, v34
	s_wait_alu 0xfffd
	v_add_co_ci_u32_e64 v134, null, s13, v35, vcc_lo
	v_sub_f32_e32 v143, v107, v4
	v_add_co_u32 v60, vcc_lo, v60, v86
	s_wait_alu 0xfffd
	v_add_co_ci_u32_e64 v61, null, 0, v61, vcc_lo
	v_add_co_u32 v104, vcc_lo, v116, v86
	s_wait_alu 0xfffd
	v_add_co_ci_u32_e64 v105, null, 0, v117, vcc_lo
	s_wait_dscnt 0x0
	v_max_num_f32_e32 v110, v110, v110
	v_add_co_u32 v107, vcc_lo, v118, v86
	v_mul_f32_e32 v112, 0x3fb8aa3b, v143
	s_delay_alu instid0(VALU_DEP_3)
	v_dual_sub_f32 v96, v96, v4 :: v_dual_max_num_f32 v7, v7, v110
	s_wait_alu 0xfffd
	v_add_co_ci_u32_e64 v108, null, 0, v119, vcc_lo
	v_add_co_u32 v123, vcc_lo, v115, v86
	s_wait_alu 0xfffd
	v_add_co_ci_u32_e64 v124, null, 0, v120, vcc_lo
	v_add_co_u32 v127, vcc_lo, v121, v86
	s_wait_alu 0xfffd
	v_add_co_ci_u32_e64 v128, null, 0, v122, vcc_lo
	s_clause 0x1
	global_load_b128 v[115:118], v[60:61], off
	global_load_b128 v[119:122], v[104:105], off
	ds_bpermute_b32 v60, v106, v7
	v_mul_f32_e32 v61, 0x3fb8aa3b, v146
	v_fma_f32 v148, 0x3fb8aa3b, v143, -v112
	v_rndne_f32_e32 v149, v112
	v_fmac_f32_e32 v152, 0x32a5705f, v145
	v_add_co_u32 v131, vcc_lo, v125, v86
	v_rndne_f32_e32 v155, v61
	v_mul_f32_e32 v110, 0x3fb8aa3b, v144
	v_fma_f32 v154, 0x3fb8aa3b, v146, -v61
	v_dual_sub_f32 v112, v112, v149 :: v_dual_add_f32 v147, v147, v152
	s_delay_alu instid0(VALU_DEP_4) | instskip(NEXT) | instid1(VALU_DEP_4)
	v_sub_f32_e32 v61, v61, v155
	v_fma_f32 v150, 0x3fb8aa3b, v144, -v110
	v_rndne_f32_e32 v151, v110
	v_sub_f32_e32 v111, v111, v5
	s_wait_alu 0xfffd
	v_add_co_ci_u32_e64 v132, null, 0, v126, vcc_lo
	v_fmac_f32_e32 v150, 0x32a5705f, v144
	v_sub_f32_e32 v110, v110, v151
	s_wait_dscnt 0x0
	v_max_num_f32_e32 v60, v60, v60
	v_fmac_f32_e32 v148, 0x32a5705f, v143
	v_add_co_u32 v135, vcc_lo, v129, v86
	s_delay_alu instid0(VALU_DEP_3) | instskip(NEXT) | instid1(VALU_DEP_3)
	v_dual_add_f32 v110, v110, v150 :: v_dual_max_num_f32 v7, v7, v60
	v_add_f32_e32 v112, v112, v148
	v_cvt_i32_f32_e32 v148, v149
	s_wait_alu 0xfffd
	v_add_co_ci_u32_e64 v136, null, 0, v130, vcc_lo
	v_exp_f32_e32 v110, v110
	v_exp_f32_e32 v112, v112
	v_add_co_u32 v139, vcc_lo, v133, v86
	s_wait_alu 0xfffd
	v_add_co_ci_u32_e64 v140, null, 0, v134, vcc_lo
	ds_bpermute_b32 v102, v102, v7
	v_cvt_i32_f32_e32 v149, v151
	v_cmp_ngt_f32_e32 vcc_lo, 0xc2ce8ed0, v143
	s_clause 0x5
	global_load_b128 v[104:107], v[107:108], off
	global_load_b128 v[123:126], v[123:124], off
	;; [unrolled: 1-line block ×6, first 2 shown]
	v_dual_fmac_f32 v154, 0x32a5705f, v146 :: v_dual_sub_f32 v109, v109, v5
	v_ldexp_f32 v112, v112, v148
	v_ldexp_f32 v110, v110, v149
	s_delay_alu instid0(VALU_DEP_3)
	v_dual_mul_f32 v108, 0x3fb8aa3b, v96 :: v_dual_add_f32 v61, v61, v154
	v_exp_f32_e32 v147, v147
	s_wait_alu 0xfffd
	v_cndmask_b32_e32 v112, 0, v112, vcc_lo
	v_cmp_ngt_f32_e32 vcc_lo, 0xc2ce8ed0, v144
	v_fma_f32 v156, 0x3fb8aa3b, v96, -v108
	v_rndne_f32_e32 v60, v108
	v_cvt_i32_f32_e32 v150, v153
	v_exp_f32_e32 v61, v61
	s_wait_alu 0xfffd
	v_dual_cndmask_b32 v110, 0, v110 :: v_dual_sub_f32 v99, v99, v5
	v_cmp_nlt_f32_e32 vcc_lo, 0x42b17218, v143
	v_fmac_f32_e32 v156, 0x32a5705f, v96
	v_ldexp_f32 v147, v147, v150
	s_wait_dscnt 0x0
	v_max_num_f32_e32 v102, v102, v102
	v_sub_f32_e32 v108, v108, v60
	s_wait_alu 0xfffd
	v_dual_cndmask_b32 v112, 0x7f800000, v112 :: v_dual_sub_f32 v97, v97, v5
	v_cmp_nlt_f32_e32 vcc_lo, 0x42b17218, v144
	v_cvt_i32_f32_e32 v151, v155
	v_dual_max_num_f32 v7, v7, v102 :: v_dual_add_f32 v108, v108, v156
	v_cvt_i32_f32_e32 v60, v60
	s_wait_alu 0xfffd
	v_cndmask_b32_e32 v110, 0x7f800000, v110, vcc_lo
	v_cmp_ngt_f32_e32 vcc_lo, 0xc2ce8ed0, v145
	v_ldexp_f32 v61, v61, v151
	v_exp_f32_e32 v108, v108
	s_delay_alu instid0(VALU_DEP_3)
	v_dual_sub_f32 v94, v94, v5 :: v_dual_add_f32 v143, v112, v110
	s_wait_alu 0xfffd
	v_cndmask_b32_e32 v102, 0, v147, vcc_lo
	v_cmp_nlt_f32_e32 vcc_lo, 0x42b17218, v145
	v_sub_f32_e32 v62, v62, v6
	v_sub_f32_e32 v98, v98, v7
	v_cvt_f16_f32_e32 v112, v112
	v_sub_f32_e32 v103, v103, v6
	s_wait_alu 0xfffd
	v_cndmask_b32_e32 v102, 0x7f800000, v102, vcc_lo
	v_cmp_ngt_f32_e32 vcc_lo, 0xc2ce8ed0, v146
	v_ldexp_f32 v60, v108, v60
	v_dual_mul_f32 v108, 0x3fb8aa3b, v111 :: v_dual_sub_f32 v101, v101, v6
	s_delay_alu instid0(VALU_DEP_4)
	v_add_f32_e32 v143, v102, v143
	s_wait_alu 0xfffd
	v_cndmask_b32_e32 v61, 0, v61, vcc_lo
	v_cmp_nlt_f32_e32 vcc_lo, 0x42b17218, v146
	v_rndne_f32_e32 v145, v108
	v_dual_mul_f32 v146, 0x3fb8aa3b, v109 :: v_dual_sub_f32 v59, v59, v6
	s_wait_alu 0xfffd
	v_dual_sub_f32 v155, v91, v7 :: v_dual_cndmask_b32 v144, 0x7f800000, v61
	v_cmp_ngt_f32_e32 vcc_lo, 0xc2ce8ed0, v96
	s_delay_alu instid0(VALU_DEP_3) | instskip(SKIP_1) | instid1(VALU_DEP_3)
	v_rndne_f32_e32 v147, v146
	s_wait_alu 0xfffd
	v_dual_add_f32 v61, v144, v143 :: v_dual_cndmask_b32 v60, 0, v60
	v_fma_f32 v143, 0x3fb8aa3b, v111, -v108
	v_cmp_nlt_f32_e32 vcc_lo, 0x42b17218, v96
	v_sub_f32_e32 v96, v108, v145
	v_fma_f32 v108, 0x3fb8aa3b, v109, -v146
	s_delay_alu instid0(VALU_DEP_4)
	v_fmac_f32_e32 v143, 0x32a5705f, v111
	s_wait_alu 0xfffd
	v_cndmask_b32_e32 v60, 0x7f800000, v60, vcc_lo
	v_cmp_ngt_f32_e32 vcc_lo, 0xc2ce8ed0, v111
	v_fmac_f32_e32 v108, 0x32a5705f, v109
	v_add_f32_e32 v96, v96, v143
	s_delay_alu instid0(VALU_DEP_4) | instskip(SKIP_2) | instid1(VALU_DEP_4)
	v_cvt_f16_f32_e64 v148, v60
	v_sub_f32_e32 v143, v146, v147
	v_fmac_f32_e32 v61, v95, v60
	v_exp_f32_e32 v60, v96
	s_delay_alu instid0(VALU_DEP_3) | instskip(NEXT) | instid1(VALU_DEP_3)
	v_and_b32_e32 v146, 0xffff, v148
	v_dual_add_f32 v95, v143, v108 :: v_dual_mul_f32 v96, 0x3fb8aa3b, v99
	v_cvt_i32_f32_e32 v143, v145
	v_cvt_f16_f32_e32 v110, v110
	s_delay_alu instid0(VALU_DEP_4) | instskip(NEXT) | instid1(VALU_DEP_4)
	v_mul_u32_u24_e32 v108, 0x10001, v146
	v_exp_f32_e32 v95, v95
	v_fma_f32 v145, 0x3fb8aa3b, v99, -v96
	v_rndne_f32_e32 v146, v96
	s_delay_alu instid0(TRANS32_DEP_2) | instskip(SKIP_2) | instid1(VALU_DEP_4)
	v_ldexp_f32 v60, v60, v143
	v_cvt_i32_f32_e32 v143, v147
	v_mul_f32_e32 v147, 0x3fb8aa3b, v97
	v_dual_fmac_f32 v145, 0x32a5705f, v99 :: v_dual_sub_f32 v96, v96, v146
	s_wait_alu 0xfffd
	v_cndmask_b32_e32 v60, 0, v60, vcc_lo
	v_cmp_ngt_f32_e32 vcc_lo, 0xc2ce8ed0, v109
	v_ldexp_f32 v95, v95, v143
	v_fma_f32 v143, 0x3fb8aa3b, v97, -v147
	v_add_f32_e32 v96, v96, v145
	v_rndne_f32_e32 v145, v147
	s_wait_alu 0xfffd
	v_cndmask_b32_e32 v95, 0, v95, vcc_lo
	v_fmac_f32_e32 v143, 0x32a5705f, v97
	v_exp_f32_e32 v96, v96
	v_sub_f32_e32 v147, v147, v145
	v_cmp_nlt_f32_e32 vcc_lo, 0x42b17218, v111
	v_cvt_i32_f32_e32 v145, v145
	v_cvt_f16_f32_e32 v102, v102
	s_wait_alu 0xfffd
	v_dual_add_f32 v111, v147, v143 :: v_dual_cndmask_b32 v60, 0x7f800000, v60
	v_cmp_nlt_f32_e32 vcc_lo, 0x42b17218, v109
	v_cvt_i32_f32_e32 v109, v146
	v_mul_f32_e32 v143, 0x3fb8aa3b, v94
	v_cvt_f16_f32_e64 v144, v144
	v_cvt_f16_f32_e64 v146, v60
	s_wait_alu 0xfffd
	v_cndmask_b32_e32 v95, 0x7f800000, v95, vcc_lo
	v_ldexp_f32 v96, v96, v109
	v_exp_f32_e32 v109, v111
	v_fma_f32 v111, 0x3fb8aa3b, v94, -v143
	v_rndne_f32_e32 v147, v143
	v_cmp_ngt_f32_e32 vcc_lo, 0xc2ce8ed0, v99
	v_add_f32_e32 v60, v60, v95
	v_cvt_f16_f32_e32 v95, v95
	v_fmac_f32_e32 v111, 0x32a5705f, v94
	s_wait_alu 0xfffd
	v_dual_sub_f32 v143, v143, v147 :: v_dual_cndmask_b32 v96, 0, v96
	v_cmp_nlt_f32_e32 vcc_lo, 0x42b17218, v99
	v_ldexp_f32 v99, v109, v145
	s_delay_alu instid0(VALU_DEP_3)
	v_add_f32_e32 v109, v143, v111
	v_mul_f32_e32 v111, 0x3fb8aa3b, v103
	s_wait_alu 0xfffd
	v_cndmask_b32_e32 v96, 0x7f800000, v96, vcc_lo
	v_cmp_ngt_f32_e32 vcc_lo, 0xc2ce8ed0, v97
	v_exp_f32_e32 v109, v109
	v_rndne_f32_e32 v145, v111
	s_wait_alu 0xfffd
	v_dual_add_f32 v60, v96, v60 :: v_dual_cndmask_b32 v99, 0, v99
	v_cmp_nlt_f32_e32 vcc_lo, 0x42b17218, v97
	v_cvt_f16_f32_e64 v143, v96
	v_cvt_i32_f32_e32 v97, v147
	s_wait_alu 0xfffd
	v_cndmask_b32_e32 v96, 0x7f800000, v99, vcc_lo
	v_fma_f32 v99, 0x3fb8aa3b, v103, -v111
	s_delay_alu instid0(VALU_DEP_3)
	v_ldexp_f32 v97, v109, v97
	v_sub_f32_e32 v109, v111, v145
	v_mul_f32_e32 v111, 0x3fb8aa3b, v101
	v_cmp_ngt_f32_e32 vcc_lo, 0xc2ce8ed0, v94
	v_dual_fmac_f32 v99, 0x32a5705f, v103 :: v_dual_add_f32 v60, v96, v60
	v_cvt_f16_f32_e64 v147, v96
	s_wait_alu 0xfffd
	s_delay_alu instid0(VALU_DEP_2) | instskip(SKIP_3) | instid1(VALU_DEP_3)
	v_dual_cndmask_b32 v96, 0, v97 :: v_dual_add_f32 v97, v109, v99
	v_fma_f32 v99, 0x3fb8aa3b, v101, -v111
	v_rndne_f32_e32 v109, v111
	v_cmp_nlt_f32_e32 vcc_lo, 0x42b17218, v94
	v_fmac_f32_e32 v99, 0x32a5705f, v101
	s_wait_alu 0xfffd
	v_cndmask_b32_e32 v94, 0x7f800000, v96, vcc_lo
	v_exp_f32_e32 v96, v97
	v_sub_f32_e32 v97, v111, v109
	v_cmp_ngt_f32_e32 vcc_lo, 0xc2ce8ed0, v103
	v_cvt_i32_f32_e32 v109, v109
	v_fmac_f32_e32 v60, v93, v94
	v_cvt_f16_f32_e32 v111, v94
	v_cvt_i32_f32_e32 v93, v145
	v_dual_add_f32 v94, v97, v99 :: v_dual_sub_f32 v99, v92, v6
	v_mul_f32_e32 v97, 0x3fb8aa3b, v62
	v_mul_f32_e32 v145, 0x3fb8aa3b, v59
	s_delay_alu instid0(VALU_DEP_4) | instskip(NEXT) | instid1(VALU_DEP_4)
	v_ldexp_f32 v92, v96, v93
	v_exp_f32_e32 v93, v94
	s_delay_alu instid0(VALU_DEP_3)
	v_fma_f32 v94, 0x3fb8aa3b, v62, -v97
	v_rndne_f32_e32 v96, v97
	s_wait_alu 0xfffd
	v_cndmask_b32_e32 v92, 0, v92, vcc_lo
	v_cmp_nlt_f32_e32 vcc_lo, 0x42b17218, v103
	v_fma_f32 v148, 0x3fb8aa3b, v59, -v145
	v_rndne_f32_e32 v149, v145
	v_sub_f32_e32 v97, v97, v96
	v_cvt_i32_f32_e32 v96, v96
	v_ldexp_f32 v93, v93, v109
	v_mul_f32_e32 v109, 0x3fb8aa3b, v99
	s_wait_alu 0xfffd
	v_cndmask_b32_e32 v92, 0x7f800000, v92, vcc_lo
	v_cmp_ngt_f32_e32 vcc_lo, 0xc2ce8ed0, v101
	v_fmac_f32_e32 v148, 0x32a5705f, v59
	s_delay_alu instid0(VALU_DEP_3)
	v_cvt_f16_f32_e32 v103, v92
	s_wait_alu 0xfffd
	v_cndmask_b32_e32 v93, 0, v93, vcc_lo
	v_cmp_nlt_f32_e32 vcc_lo, 0x42b17218, v101
	v_fma_f32 v101, 0x3fb8aa3b, v99, -v109
	v_fmac_f32_e32 v94, 0x32a5705f, v62
	s_wait_alu 0xfffd
	v_cndmask_b32_e32 v93, 0x7f800000, v93, vcc_lo
	s_delay_alu instid0(VALU_DEP_2) | instskip(SKIP_3) | instid1(VALU_DEP_4)
	v_dual_fmac_f32 v101, 0x32a5705f, v99 :: v_dual_add_f32 v94, v97, v94
	v_sub_f32_e32 v97, v145, v149
	v_cmp_ngt_f32_e32 vcc_lo, 0xc2ce8ed0, v62
	v_rndne_f32_e32 v145, v109
	v_exp_f32_e32 v94, v94
	s_delay_alu instid0(VALU_DEP_3) | instskip(SKIP_1) | instid1(VALU_DEP_2)
	v_dual_add_f32 v97, v97, v148 :: v_dual_add_f32 v148, v92, v93
	v_cvt_f16_f32_e32 v93, v93
	v_exp_f32_e32 v97, v97
	s_delay_alu instid0(TRANS32_DEP_2) | instskip(SKIP_2) | instid1(VALU_DEP_2)
	v_ldexp_f32 v92, v94, v96
	v_cvt_i32_f32_e32 v94, v149
	s_wait_alu 0xfffd
	v_cndmask_b32_e32 v92, 0, v92, vcc_lo
	v_cmp_nlt_f32_e32 vcc_lo, 0x42b17218, v62
	s_delay_alu instid0(TRANS32_DEP_1) | instid1(VALU_DEP_3)
	v_ldexp_f32 v94, v97, v94
	s_wait_alu 0xfffd
	s_delay_alu instid0(VALU_DEP_3)
	v_cndmask_b32_e32 v62, 0x7f800000, v92, vcc_lo
	v_cmp_ngt_f32_e32 vcc_lo, 0xc2ce8ed0, v59
	v_sub_f32_e32 v92, v114, v7
	s_wait_alu 0xfffd
	v_cndmask_b32_e32 v94, 0, v94, vcc_lo
	v_cmp_nlt_f32_e32 vcc_lo, 0x42b17218, v59
	s_wait_alu 0xfffd
	s_delay_alu instid0(VALU_DEP_2) | instskip(SKIP_3) | instid1(VALU_DEP_4)
	v_cndmask_b32_e32 v59, 0x7f800000, v94, vcc_lo
	v_cmp_ngt_f32_e32 vcc_lo, 0xc2ce8ed0, v99
	v_sub_f32_e32 v96, v109, v145
	v_cvt_i32_f32_e32 v94, v145
	v_cvt_f16_f32_e64 v145, v59
	s_delay_alu instid0(VALU_DEP_3) | instskip(NEXT) | instid1(VALU_DEP_1)
	v_dual_add_f32 v96, v96, v101 :: v_dual_mul_f32 v101, 0x3fb8aa3b, v92
	v_fma_f32 v109, 0x3fb8aa3b, v92, -v101
	v_rndne_f32_e32 v114, v101
	s_delay_alu instid0(VALU_DEP_2) | instskip(NEXT) | instid1(VALU_DEP_2)
	v_fmac_f32_e32 v109, 0x32a5705f, v92
	v_sub_f32_e32 v101, v101, v114
	v_cvt_i32_f32_e32 v114, v114
	s_delay_alu instid0(VALU_DEP_2) | instskip(SKIP_2) | instid1(VALU_DEP_2)
	v_add_f32_e32 v101, v101, v109
	v_sub_f32_e32 v109, v113, v7
	v_exp_f32_e32 v96, v96
	v_exp_f32_e32 v101, v101
	s_delay_alu instid0(VALU_DEP_1) | instskip(NEXT) | instid1(VALU_DEP_1)
	v_mul_f32_e32 v151, 0x3fb8aa3b, v109
	v_fma_f32 v153, 0x3fb8aa3b, v109, -v151
	s_delay_alu instid0(TRANS32_DEP_2) | instskip(SKIP_1) | instid1(TRANS32_DEP_1)
	v_ldexp_f32 v94, v96, v94
	v_rndne_f32_e32 v154, v151
	v_ldexp_f32 v91, v101, v114
	s_delay_alu instid0(VALU_DEP_4)
	v_fmac_f32_e32 v153, 0x32a5705f, v109
	v_mul_f32_e32 v113, 0x3fb8aa3b, v98
	s_wait_alu 0xfffd
	v_cndmask_b32_e32 v149, 0, v94, vcc_lo
	v_sub_f32_e32 v151, v151, v154
	v_cmp_ngt_f32_e32 vcc_lo, 0xc2ce8ed0, v92
	v_mul_f32_e32 v114, 0x3fb8aa3b, v155
	v_rndne_f32_e32 v152, v113
	v_sub_f32_e32 v100, v100, v7
	v_cvt_f16_f32_e32 v97, v62
	s_wait_alu 0xfffd
	v_cndmask_b32_e32 v91, 0, v91, vcc_lo
	v_cmp_nlt_f32_e32 vcc_lo, 0x42b17218, v92
	v_cvt_i32_f32_e32 v92, v152
	v_mul_f32_e32 v96, 0x3fb8aa3b, v100
	v_add_f32_e32 v62, v62, v148
	s_delay_alu instid0(VALU_DEP_2) | instskip(SKIP_1) | instid1(VALU_DEP_3)
	v_fma_f32 v94, 0x3fb8aa3b, v100, -v96
	v_rndne_f32_e32 v150, v96
	v_add_f32_e32 v62, v59, v62
	s_delay_alu instid0(VALU_DEP_3) | instskip(NEXT) | instid1(VALU_DEP_3)
	v_fmac_f32_e32 v94, 0x32a5705f, v100
	v_sub_f32_e32 v96, v96, v150
	v_cvt_i32_f32_e32 v101, v150
	s_delay_alu instid0(VALU_DEP_2) | instskip(SKIP_2) | instid1(VALU_DEP_3)
	v_add_f32_e32 v94, v96, v94
	v_fma_f32 v96, 0x3fb8aa3b, v98, -v113
	v_sub_f32_e32 v113, v113, v152
	v_exp_f32_e32 v94, v94
	s_delay_alu instid0(VALU_DEP_2) | instskip(NEXT) | instid1(TRANS32_DEP_1)
	v_fmac_f32_e32 v96, 0x32a5705f, v98
	v_ldexp_f32 v94, v94, v101
	s_delay_alu instid0(VALU_DEP_2) | instskip(NEXT) | instid1(VALU_DEP_1)
	v_dual_add_f32 v96, v113, v96 :: v_dual_add_f32 v113, v151, v153
	v_exp_f32_e32 v101, v113
	s_wait_alu 0xfffd
	v_cndmask_b32_e32 v113, 0x7f800000, v91, vcc_lo
	v_cmp_ngt_f32_e32 vcc_lo, 0xc2ce8ed0, v100
	s_wait_alu 0xfffd
	v_cndmask_b32_e32 v91, 0, v94, vcc_lo
	v_exp_f32_e32 v96, v96
	v_cmp_nlt_f32_e32 vcc_lo, 0x42b17218, v100
	v_cvt_i32_f32_e32 v94, v154
	s_wait_alu 0xfffd
	v_cndmask_b32_e32 v100, 0x7f800000, v91, vcc_lo
	v_cmp_ngt_f32_e32 vcc_lo, 0xc2ce8ed0, v98
	s_delay_alu instid0(TRANS32_DEP_1)
	v_ldexp_f32 v91, v96, v92
	v_ldexp_f32 v92, v101, v94
	v_rndne_f32_e32 v96, v114
	v_fma_f32 v94, 0x3fb8aa3b, v155, -v114
	s_wait_alu 0xfffd
	v_cndmask_b32_e32 v91, 0, v91, vcc_lo
	v_cmp_ngt_f32_e32 vcc_lo, 0xc2ce8ed0, v109
	v_sub_f32_e32 v101, v114, v96
	v_cvt_i32_f32_e32 v151, v96
	s_wait_alu 0xfffd
	v_cndmask_b32_e32 v92, 0, v92, vcc_lo
	v_cmp_nlt_f32_e32 vcc_lo, 0x42b17218, v98
	s_wait_alu 0xfffd
	v_cndmask_b32_e32 v114, 0x7f800000, v91, vcc_lo
	v_cmp_nlt_f32_e32 vcc_lo, 0x42b17218, v109
	s_delay_alu instid0(VALU_DEP_2)
	v_cvt_f16_f32_e32 v98, v114
	s_wait_alu 0xfffd
	v_cndmask_b32_e32 v109, 0x7f800000, v92, vcc_lo
	v_fmac_f32_e32 v94, 0x32a5705f, v155
	v_cvt_f16_f32_e32 v92, v113
	v_cmp_nlt_f32_e32 vcc_lo, 0x42b17218, v99
	v_pack_b32_f16 v96, v97, v98
	v_pack_b32_f16 v97, v144, v147
	v_add_f32_e32 v91, v101, v94
	v_cvt_f16_f32_e32 v94, v100
	v_cvt_f16_f32_e32 v101, v109
	v_pack_b32_f16 v92, v103, v92
	s_wait_alu 0xfffd
	v_cndmask_b32_e32 v99, 0x7f800000, v149, vcc_lo
	v_exp_f32_e32 v150, v91
	v_pack_b32_f16 v91, v112, v146
	v_pack_b32_f16 v94, v93, v94
	;; [unrolled: 1-line block ×5, first 2 shown]
	ds_store_2addr_b64 v87, v[91:92], v[93:94] offset1:32
	ds_store_2addr_b64 v87, v[95:96], v[97:98] offset0:64 offset1:96
	s_wait_loadcnt 0x7
	ds_store_b128 v76, v[115:118]
	s_wait_loadcnt 0x6
	ds_store_b128 v79, v[119:122]
	;; [unrolled: 2-line block ×8, first 2 shown]
	v_ldexp_f32 v101, v150, v151
	s_wait_dscnt 0x0
	s_barrier_signal -1
	s_barrier_wait -1
	global_inv scope:SCOPE_SE
	ds_load_b128 v[91:94], v78
	v_cmp_ngt_f32_e32 vcc_lo, 0xc2ce8ed0, v155
	v_add_f32_e32 v98, v113, v100
	v_cvt_f16_f32_e32 v97, v99
	ds_load_2addr_b32 v[103:104], v46 offset1:32
	s_wait_alu 0xfffd
	v_dual_cndmask_b32 v96, 0, v101 :: v_dual_and_b32 v95, 0xffff, v111
	v_cmp_nlt_f32_e32 vcc_lo, 0x42b17218, v155
	v_dual_fmac_f32 v62, v90, v99 :: v_dual_and_b32 v59, 0xffff, v97
	s_delay_alu instid0(VALU_DEP_3) | instskip(SKIP_4) | instid1(VALU_DEP_3)
	v_mul_u32_u24_e32 v105, 0x10001, v95
	s_wait_alu 0xfffd
	v_cndmask_b32_e32 v100, 0x7f800000, v96, vcc_lo
	v_add_f32_e32 v96, v114, v98
	v_mul_u32_u24_e32 v106, 0x10001, v59
	v_cvt_f16_f32_e32 v97, v100
	s_delay_alu instid0(VALU_DEP_1)
	v_dual_add_f32 v59, v109, v96 :: v_dual_and_b32 v90, 0xffff, v97
	ds_load_b128 v[95:98], v78 offset:16
	s_wait_dscnt 0x2
	v_and_b32_e32 v99, 0xffff, v91
	v_lshrrev_b32_e32 v91, 16, v91
	v_and_b32_e32 v101, 0xffff, v92
	v_fmac_f32_e32 v59, v89, v100
	v_mul_u32_u24_e32 v90, 0x10001, v90
	v_mul_u32_u24_e32 v89, 0x10001, v99
	;; [unrolled: 1-line block ×4, first 2 shown]
	v_lshrrev_b32_e32 v107, 16, v92
	v_pk_mul_f16 v57, v57, v90
	s_wait_dscnt 0x1
	v_pk_mul_f16 v109, v103, v89
	v_pk_mul_f16 v110, v103, v91
	;; [unrolled: 1-line block ×3, first 2 shown]
	ds_load_b128 v[89:92], v78 offset:32
	ds_load_b128 v[99:102], v78 offset:48
	v_mul_u32_u24_e32 v107, 0x10001, v107
	v_pk_fma_f16 v49, v49, v108, v109
	v_pk_fma_f16 v105, v48, v105, v110
	;; [unrolled: 1-line block ×3, first 2 shown]
	v_and_b32_e32 v108, 0xffff, v93
	v_lshrrev_b32_e32 v93, 16, v93
	ds_load_2addr_b32 v[47:48], v46 offset0:64 offset1:96
	v_and_b32_e32 v109, 0xffff, v94
	v_lshrrev_b32_e32 v94, 16, v94
	v_mul_u32_u24_e32 v108, 0x10001, v108
	v_mul_u32_u24_e32 v93, 0x10001, v93
	v_pk_fma_f16 v57, v103, v107, v57
	v_mul_u32_u24_e32 v103, 0x10001, v109
	v_mul_u32_u24_e32 v94, 0x10001, v94
	v_pk_fma_f16 v49, v104, v108, v49
	v_pk_fma_f16 v93, v104, v93, v105
	s_wait_dscnt 0x3
	v_and_b32_e32 v105, 0xffff, v95
	v_lshrrev_b32_e32 v95, 16, v95
	v_pk_fma_f16 v103, v104, v103, v106
	v_pk_fma_f16 v57, v104, v94, v57
	v_and_b32_e32 v104, 0xffff, v97
	v_lshrrev_b32_e32 v97, 16, v97
	v_mul_u32_u24_e32 v95, 0x10001, v95
	v_and_b32_e32 v107, 0xffff, v96
	v_lshrrev_b32_e32 v96, 16, v96
	v_mul_u32_u24_e32 v105, 0x10001, v105
	v_mul_u32_u24_e32 v97, 0x10001, v97
	s_wait_dscnt 0x0
	v_pk_fma_f16 v95, v47, v95, v93
	ds_load_2addr_b32 v[93:94], v46 offset0:128 offset1:160
	v_mul_u32_u24_e32 v106, 0x10001, v107
	v_mul_u32_u24_e32 v96, 0x10001, v96
	v_pk_fma_f16 v49, v47, v105, v49
	v_pk_fma_f16 v95, v48, v97, v95
	v_and_b32_e32 v97, 0xffff, v89
	v_lshrrev_b32_e32 v89, 16, v89
	v_and_b32_e32 v105, 0xffff, v98
	v_lshrrev_b32_e32 v98, 16, v98
	v_mul_u32_u24_e32 v104, 0x10001, v104
	v_pk_fma_f16 v103, v47, v106, v103
	v_mul_u32_u24_e32 v89, 0x10001, v89
	v_pk_fma_f16 v47, v47, v96, v57
	v_mul_u32_u24_e32 v57, 0x10001, v105
	v_mul_u32_u24_e32 v96, 0x10001, v98
	v_pk_fma_f16 v49, v48, v104, v49
	v_and_b32_e32 v98, 0xffff, v90
	v_lshrrev_b32_e32 v90, 16, v90
	v_mul_u32_u24_e32 v97, 0x10001, v97
	v_pk_fma_f16 v57, v48, v57, v103
	s_wait_dscnt 0x0
	v_pk_fma_f16 v89, v93, v89, v95
	v_and_b32_e32 v95, 0xffff, v91
	v_lshrrev_b32_e32 v91, 16, v91
	v_mul_u32_u24_e32 v98, 0x10001, v98
	v_pk_fma_f16 v96, v48, v96, v47
	v_mul_u32_u24_e32 v90, 0x10001, v90
	v_pk_fma_f16 v49, v93, v97, v49
	v_and_b32_e32 v97, 0xffff, v92
	ds_load_2addr_b32 v[47:48], v46 offset0:192 offset1:224
	v_lshrrev_b32_e32 v92, 16, v92
	v_mul_u32_u24_e32 v91, 0x10001, v91
	v_pk_fma_f16 v57, v93, v98, v57
	v_mul_u32_u24_e32 v95, 0x10001, v95
	v_mul_u32_u24_e32 v97, 0x10001, v97
	v_pk_fma_f16 v90, v93, v90, v96
	v_mul_u32_u24_e32 v92, 0x10001, v92
	v_pk_fma_f16 v93, v94, v91, v89
	v_and_b32_e32 v89, 0xffff, v99
	v_lshrrev_b32_e32 v91, 16, v99
	v_pk_fma_f16 v49, v94, v95, v49
	v_pk_fma_f16 v57, v94, v97, v57
	;; [unrolled: 1-line block ×3, first 2 shown]
	v_and_b32_e32 v95, 0xffff, v100
	v_mul_u32_u24_e32 v97, 0x10001, v89
	v_mul_u32_u24_e32 v98, 0x10001, v91
	ds_load_b128 v[89:92], v78 offset:64
	v_add_nc_u32_e32 v99, 0x400, v46
	v_mul_u32_u24_e32 v95, 0x10001, v95
	v_lshrrev_b32_e32 v96, 16, v100
	s_wait_dscnt 0x1
	v_pk_fma_f16 v49, v47, v97, v49
	v_pk_fma_f16 v93, v47, v98, v93
	v_lshrrev_b32_e32 v100, 16, v101
	v_pk_fma_f16 v57, v47, v95, v57
	v_and_b32_e32 v95, 0xffff, v101
	ds_load_2addr_b32 v[97:98], v99 offset1:32
	v_mul_u32_u24_e32 v96, 0x10001, v96
	v_mul_u32_u24_e32 v100, 0x10001, v100
	v_and_b32_e32 v101, 0xffff, v102
	v_mul_u32_u24_e32 v95, 0x10001, v95
	v_lshrrev_b32_e32 v102, 16, v102
	v_pk_fma_f16 v47, v47, v96, v94
	v_pk_fma_f16 v100, v48, v100, v93
	v_mul_u32_u24_e32 v101, 0x10001, v101
	v_pk_fma_f16 v49, v48, v95, v49
	ds_load_b128 v[93:96], v78 offset:80
	s_wait_dscnt 0x2
	v_and_b32_e32 v103, 0xffff, v89
	v_lshrrev_b32_e32 v89, 16, v89
	v_mul_u32_u24_e32 v102, 0x10001, v102
	v_and_b32_e32 v104, 0xffff, v90
	v_pk_fma_f16 v57, v48, v101, v57
	v_lshrrev_b32_e32 v90, 16, v90
	v_mul_u32_u24_e32 v89, 0x10001, v89
	v_mul_u32_u24_e32 v101, 0x10001, v103
	;; [unrolled: 1-line block ×3, first 2 shown]
	v_pk_fma_f16 v102, v48, v102, v47
	v_mul_u32_u24_e32 v90, 0x10001, v90
	s_wait_dscnt 0x1
	v_pk_fma_f16 v89, v97, v89, v100
	v_and_b32_e32 v100, 0xffff, v91
	v_lshrrev_b32_e32 v91, 16, v91
	v_pk_fma_f16 v49, v97, v101, v49
	v_and_b32_e32 v101, 0xffff, v92
	ds_load_2addr_b32 v[47:48], v99 offset0:64 offset1:96
	v_mul_u32_u24_e32 v100, 0x10001, v100
	v_mul_u32_u24_e32 v91, 0x10001, v91
	v_pk_fma_f16 v57, v97, v103, v57
	v_lshrrev_b32_e32 v92, 16, v92
	v_pk_fma_f16 v97, v97, v90, v102
	v_mul_u32_u24_e32 v90, 0x10001, v101
	v_pk_fma_f16 v49, v98, v100, v49
	v_pk_fma_f16 v100, v98, v91, v89
	s_wait_dscnt 0x1
	v_and_b32_e32 v89, 0xffff, v93
	v_lshrrev_b32_e32 v91, 16, v93
	v_mul_u32_u24_e32 v101, 0x10001, v92
	v_pk_fma_f16 v57, v98, v90, v57
	v_and_b32_e32 v93, 0xffff, v94
	v_mul_u32_u24_e32 v102, 0x10001, v89
	v_mul_u32_u24_e32 v103, 0x10001, v91
	ds_load_b128 v[89:92], v78 offset:96
	v_lshrrev_b32_e32 v94, 16, v94
	v_mul_u32_u24_e32 v93, 0x10001, v93
	v_pk_fma_f16 v101, v98, v101, v97
	ds_load_2addr_b32 v[97:98], v99 offset0:128 offset1:160
	s_wait_dscnt 0x2
	v_pk_fma_f16 v49, v47, v102, v49
	v_mul_u32_u24_e32 v94, 0x10001, v94
	v_pk_fma_f16 v57, v47, v93, v57
	v_and_b32_e32 v93, 0xffff, v95
	v_lshrrev_b32_e32 v95, 16, v95
	v_pk_fma_f16 v100, v47, v103, v100
	v_and_b32_e32 v102, 0xffff, v96
	v_lshrrev_b32_e32 v96, 16, v96
	v_mul_u32_u24_e32 v93, 0x10001, v93
	v_mul_u32_u24_e32 v95, 0x10001, v95
	v_pk_fma_f16 v47, v47, v94, v101
	v_mul_u32_u24_e32 v101, 0x10001, v102
	v_mul_u32_u24_e32 v102, 0x10001, v96
	v_pk_fma_f16 v49, v48, v93, v49
	v_pk_fma_f16 v100, v48, v95, v100
	ds_load_b128 v[93:96], v78 offset:112
	s_wait_dscnt 0x2
	v_and_b32_e32 v103, 0xffff, v89
	v_lshrrev_b32_e32 v89, 16, v89
	v_and_b32_e32 v104, 0xffff, v90
	v_pk_fma_f16 v57, v48, v101, v57
	v_lshrrev_b32_e32 v90, 16, v90
	v_mul_u32_u24_e32 v101, 0x10001, v103
	v_mul_u32_u24_e32 v89, 0x10001, v89
	v_pk_fma_f16 v102, v48, v102, v47
	ds_load_2addr_b32 v[47:48], v99 offset0:192 offset1:224
	v_mul_u32_u24_e32 v103, 0x10001, v104
	v_mul_u32_u24_e32 v90, 0x10001, v90
	s_wait_dscnt 0x2
	v_pk_fma_f16 v89, v97, v89, v100
	v_and_b32_e32 v100, 0xffff, v91
	v_lshrrev_b32_e32 v91, 16, v91
	v_pk_fma_f16 v49, v97, v101, v49
	v_and_b32_e32 v101, 0xffff, v92
	v_lshrrev_b32_e32 v92, 16, v92
	v_pk_fma_f16 v57, v97, v103, v57
	v_mul_u32_u24_e32 v91, 0x10001, v91
	v_mul_u32_u24_e32 v99, 0x10001, v100
	;; [unrolled: 1-line block ×3, first 2 shown]
	v_pk_fma_f16 v90, v97, v90, v102
	v_mul_u32_u24_e32 v92, 0x10001, v92
	v_pk_fma_f16 v97, v98, v91, v89
	s_wait_dscnt 0x1
	v_and_b32_e32 v89, 0xffff, v93
	v_lshrrev_b32_e32 v91, 16, v93
	v_pk_fma_f16 v49, v98, v99, v49
	v_pk_fma_f16 v57, v98, v100, v57
	;; [unrolled: 1-line block ×3, first 2 shown]
	v_and_b32_e32 v98, 0xffff, v94
	v_mul_u32_u24_e32 v99, 0x10001, v89
	v_mul_u32_u24_e32 v100, 0x10001, v91
	ds_load_b128 v[89:92], v78 offset:128
	v_lshrrev_b32_e32 v94, 16, v94
	v_mul_u32_u24_e32 v98, 0x10001, v98
	s_wait_dscnt 0x1
	v_pk_fma_f16 v49, v47, v99, v49
	v_pk_fma_f16 v99, v47, v100, v97
	v_add_nc_u32_e32 v100, 0x800, v46
	v_and_b32_e32 v101, 0xffff, v95
	v_pk_fma_f16 v57, v47, v98, v57
	v_lshrrev_b32_e32 v95, 16, v95
	v_mul_u32_u24_e32 v94, 0x10001, v94
	ds_load_2addr_b32 v[97:98], v100 offset1:32
	v_and_b32_e32 v102, 0xffff, v96
	v_lshrrev_b32_e32 v96, 16, v96
	v_mul_u32_u24_e32 v101, 0x10001, v101
	v_mul_u32_u24_e32 v95, 0x10001, v95
	v_pk_fma_f16 v47, v47, v94, v93
	v_mul_u32_u24_e32 v102, 0x10001, v102
	v_mul_u32_u24_e32 v103, 0x10001, v96
	v_pk_fma_f16 v49, v48, v101, v49
	v_pk_fma_f16 v99, v48, v95, v99
	ds_load_b128 v[93:96], v78 offset:144
	s_wait_dscnt 0x2
	v_and_b32_e32 v101, 0xffff, v89
	v_lshrrev_b32_e32 v89, 16, v89
	v_and_b32_e32 v104, 0xffff, v90
	v_lshrrev_b32_e32 v90, 16, v90
	v_pk_fma_f16 v57, v48, v102, v57
	v_mul_u32_u24_e32 v101, 0x10001, v101
	v_mul_u32_u24_e32 v89, 0x10001, v89
	;; [unrolled: 1-line block ×3, first 2 shown]
	v_pk_fma_f16 v103, v48, v103, v47
	v_mul_u32_u24_e32 v90, 0x10001, v90
	s_wait_dscnt 0x1
	v_pk_fma_f16 v49, v97, v101, v49
	v_pk_fma_f16 v89, v97, v89, v99
	v_and_b32_e32 v99, 0xffff, v91
	v_lshrrev_b32_e32 v91, 16, v91
	v_and_b32_e32 v101, 0xffff, v92
	ds_load_2addr_b32 v[47:48], v100 offset0:64 offset1:96
	v_pk_fma_f16 v57, v97, v102, v57
	v_mul_u32_u24_e32 v99, 0x10001, v99
	v_mul_u32_u24_e32 v91, 0x10001, v91
	v_lshrrev_b32_e32 v92, 16, v92
	v_pk_fma_f16 v97, v97, v90, v103
	v_mul_u32_u24_e32 v90, 0x10001, v101
	v_pk_fma_f16 v49, v98, v99, v49
	v_pk_fma_f16 v99, v98, v91, v89
	s_wait_dscnt 0x1
	v_and_b32_e32 v89, 0xffff, v93
	v_lshrrev_b32_e32 v91, 16, v93
	v_mul_u32_u24_e32 v101, 0x10001, v92
	v_pk_fma_f16 v57, v98, v90, v57
	v_and_b32_e32 v93, 0xffff, v94
	v_mul_u32_u24_e32 v102, 0x10001, v89
	v_mul_u32_u24_e32 v103, 0x10001, v91
	ds_load_b128 v[89:92], v78 offset:160
	v_lshrrev_b32_e32 v94, 16, v94
	v_mul_u32_u24_e32 v93, 0x10001, v93
	v_pk_fma_f16 v101, v98, v101, v97
	ds_load_2addr_b32 v[97:98], v100 offset0:128 offset1:160
	s_wait_dscnt 0x2
	v_pk_fma_f16 v49, v47, v102, v49
	v_mul_u32_u24_e32 v94, 0x10001, v94
	v_pk_fma_f16 v57, v47, v93, v57
	v_and_b32_e32 v93, 0xffff, v95
	v_lshrrev_b32_e32 v95, 16, v95
	v_pk_fma_f16 v99, v47, v103, v99
	v_and_b32_e32 v102, 0xffff, v96
	v_lshrrev_b32_e32 v96, 16, v96
	v_mul_u32_u24_e32 v93, 0x10001, v93
	v_mul_u32_u24_e32 v95, 0x10001, v95
	v_pk_fma_f16 v47, v47, v94, v101
	v_mul_u32_u24_e32 v101, 0x10001, v102
	v_mul_u32_u24_e32 v102, 0x10001, v96
	v_pk_fma_f16 v49, v48, v93, v49
	v_pk_fma_f16 v99, v48, v95, v99
	ds_load_b128 v[93:96], v78 offset:176
	s_wait_dscnt 0x2
	v_and_b32_e32 v103, 0xffff, v89
	v_lshrrev_b32_e32 v89, 16, v89
	v_and_b32_e32 v104, 0xffff, v90
	v_pk_fma_f16 v57, v48, v101, v57
	v_lshrrev_b32_e32 v90, 16, v90
	v_mul_u32_u24_e32 v101, 0x10001, v103
	v_mul_u32_u24_e32 v89, 0x10001, v89
	v_pk_fma_f16 v102, v48, v102, v47
	ds_load_2addr_b32 v[47:48], v100 offset0:192 offset1:224
	v_mul_u32_u24_e32 v103, 0x10001, v104
	v_mul_u32_u24_e32 v90, 0x10001, v90
	s_wait_dscnt 0x2
	v_pk_fma_f16 v89, v97, v89, v99
	v_and_b32_e32 v99, 0xffff, v91
	v_lshrrev_b32_e32 v91, 16, v91
	v_pk_fma_f16 v49, v97, v101, v49
	v_and_b32_e32 v101, 0xffff, v92
	v_lshrrev_b32_e32 v92, 16, v92
	v_pk_fma_f16 v57, v97, v103, v57
	v_mul_u32_u24_e32 v91, 0x10001, v91
	v_mul_u32_u24_e32 v99, 0x10001, v99
	;; [unrolled: 1-line block ×3, first 2 shown]
	v_pk_fma_f16 v90, v97, v90, v102
	v_mul_u32_u24_e32 v92, 0x10001, v92
	v_pk_fma_f16 v97, v98, v91, v89
	s_wait_dscnt 0x1
	v_and_b32_e32 v89, 0xffff, v93
	v_lshrrev_b32_e32 v91, 16, v93
	v_pk_fma_f16 v49, v98, v99, v49
	v_pk_fma_f16 v57, v98, v100, v57
	;; [unrolled: 1-line block ×3, first 2 shown]
	v_and_b32_e32 v98, 0xffff, v94
	v_mul_u32_u24_e32 v99, 0x10001, v89
	v_mul_u32_u24_e32 v100, 0x10001, v91
	ds_load_b128 v[89:92], v78 offset:192
	v_lshrrev_b32_e32 v94, 16, v94
	v_mul_u32_u24_e32 v98, 0x10001, v98
	s_wait_dscnt 0x1
	v_pk_fma_f16 v49, v47, v99, v49
	v_pk_fma_f16 v99, v47, v100, v97
	v_add_nc_u32_e32 v100, 0xc00, v46
	v_and_b32_e32 v101, 0xffff, v95
	v_pk_fma_f16 v57, v47, v98, v57
	v_lshrrev_b32_e32 v95, 16, v95
	v_mul_u32_u24_e32 v94, 0x10001, v94
	ds_load_2addr_b32 v[97:98], v100 offset1:32
	v_and_b32_e32 v102, 0xffff, v96
	v_lshrrev_b32_e32 v96, 16, v96
	v_mul_u32_u24_e32 v101, 0x10001, v101
	v_mul_u32_u24_e32 v95, 0x10001, v95
	v_pk_fma_f16 v47, v47, v94, v93
	v_mul_u32_u24_e32 v102, 0x10001, v102
	v_mul_u32_u24_e32 v103, 0x10001, v96
	v_pk_fma_f16 v49, v48, v101, v49
	v_pk_fma_f16 v99, v48, v95, v99
	ds_load_b128 v[93:96], v78 offset:208
	s_wait_dscnt 0x2
	v_and_b32_e32 v101, 0xffff, v89
	v_lshrrev_b32_e32 v89, 16, v89
	v_and_b32_e32 v104, 0xffff, v90
	v_lshrrev_b32_e32 v90, 16, v90
	v_pk_fma_f16 v57, v48, v102, v57
	v_mul_u32_u24_e32 v101, 0x10001, v101
	v_mul_u32_u24_e32 v89, 0x10001, v89
	;; [unrolled: 1-line block ×3, first 2 shown]
	v_pk_fma_f16 v103, v48, v103, v47
	v_mul_u32_u24_e32 v90, 0x10001, v90
	s_wait_dscnt 0x1
	v_pk_fma_f16 v49, v97, v101, v49
	v_pk_fma_f16 v89, v97, v89, v99
	v_and_b32_e32 v99, 0xffff, v91
	v_lshrrev_b32_e32 v91, 16, v91
	v_and_b32_e32 v101, 0xffff, v92
	ds_load_2addr_b32 v[47:48], v100 offset0:64 offset1:96
	v_pk_fma_f16 v57, v97, v102, v57
	v_mul_u32_u24_e32 v99, 0x10001, v99
	v_mul_u32_u24_e32 v91, 0x10001, v91
	v_lshrrev_b32_e32 v92, 16, v92
	v_pk_fma_f16 v97, v97, v90, v103
	v_mul_u32_u24_e32 v90, 0x10001, v101
	v_pk_fma_f16 v49, v98, v99, v49
	v_pk_fma_f16 v99, v98, v91, v89
	s_wait_dscnt 0x1
	v_and_b32_e32 v89, 0xffff, v93
	v_lshrrev_b32_e32 v91, 16, v93
	v_mul_u32_u24_e32 v101, 0x10001, v92
	v_pk_fma_f16 v57, v98, v90, v57
	v_and_b32_e32 v93, 0xffff, v94
	v_mul_u32_u24_e32 v102, 0x10001, v89
	v_mul_u32_u24_e32 v103, 0x10001, v91
	ds_load_b128 v[89:92], v78 offset:224
	v_lshrrev_b32_e32 v94, 16, v94
	v_mul_u32_u24_e32 v93, 0x10001, v93
	v_pk_fma_f16 v101, v98, v101, v97
	ds_load_2addr_b32 v[97:98], v100 offset0:128 offset1:160
	s_wait_dscnt 0x2
	v_pk_fma_f16 v49, v47, v102, v49
	v_mul_u32_u24_e32 v94, 0x10001, v94
	v_pk_fma_f16 v57, v47, v93, v57
	v_and_b32_e32 v93, 0xffff, v95
	v_lshrrev_b32_e32 v95, 16, v95
	v_pk_fma_f16 v99, v47, v103, v99
	v_and_b32_e32 v102, 0xffff, v96
	v_lshrrev_b32_e32 v96, 16, v96
	v_mul_u32_u24_e32 v93, 0x10001, v93
	v_mul_u32_u24_e32 v95, 0x10001, v95
	v_pk_fma_f16 v47, v47, v94, v101
	v_mul_u32_u24_e32 v101, 0x10001, v102
	v_mul_u32_u24_e32 v102, 0x10001, v96
	v_pk_fma_f16 v49, v48, v93, v49
	v_pk_fma_f16 v99, v48, v95, v99
	ds_load_b128 v[93:96], v78 offset:240
	s_wait_dscnt 0x2
	v_and_b32_e32 v103, 0xffff, v89
	v_lshrrev_b32_e32 v89, 16, v89
	v_and_b32_e32 v104, 0xffff, v90
	v_pk_fma_f16 v57, v48, v101, v57
	v_lshrrev_b32_e32 v90, 16, v90
	v_mul_u32_u24_e32 v101, 0x10001, v103
	v_mul_u32_u24_e32 v89, 0x10001, v89
	v_pk_fma_f16 v102, v48, v102, v47
	ds_load_2addr_b32 v[47:48], v100 offset0:192 offset1:224
	v_mul_u32_u24_e32 v103, 0x10001, v104
	v_mul_u32_u24_e32 v90, 0x10001, v90
	s_wait_dscnt 0x2
	v_pk_fma_f16 v89, v97, v89, v99
	v_and_b32_e32 v99, 0xffff, v91
	v_lshrrev_b32_e32 v91, 16, v91
	v_pk_fma_f16 v49, v97, v101, v49
	v_and_b32_e32 v101, 0xffff, v92
	v_lshrrev_b32_e32 v92, 16, v92
	v_pk_fma_f16 v57, v97, v103, v57
	v_mul_u32_u24_e32 v91, 0x10001, v91
	v_mul_u32_u24_e32 v99, 0x10001, v99
	v_mul_u32_u24_e32 v100, 0x10001, v101
	v_pk_fma_f16 v90, v97, v90, v102
	v_mul_u32_u24_e32 v92, 0x10001, v92
	v_pk_fma_f16 v97, v98, v91, v89
	s_wait_dscnt 0x1
	v_and_b32_e32 v89, 0xffff, v93
	v_lshrrev_b32_e32 v91, 16, v93
	v_pk_fma_f16 v49, v98, v99, v49
	v_pk_fma_f16 v57, v98, v100, v57
	;; [unrolled: 1-line block ×3, first 2 shown]
	v_and_b32_e32 v98, 0xffff, v94
	v_mul_u32_u24_e32 v99, 0x10001, v89
	v_mul_u32_u24_e32 v100, 0x10001, v91
	ds_load_b128 v[89:92], v78 offset:256
	v_lshrrev_b32_e32 v94, 16, v94
	v_mul_u32_u24_e32 v98, 0x10001, v98
	s_wait_dscnt 0x1
	v_pk_fma_f16 v49, v47, v99, v49
	v_pk_fma_f16 v99, v47, v100, v97
	v_add_nc_u32_e32 v100, 0x1000, v46
	v_and_b32_e32 v101, 0xffff, v95
	v_pk_fma_f16 v57, v47, v98, v57
	v_lshrrev_b32_e32 v95, 16, v95
	v_mul_u32_u24_e32 v94, 0x10001, v94
	ds_load_2addr_b32 v[97:98], v100 offset1:32
	v_and_b32_e32 v102, 0xffff, v96
	v_lshrrev_b32_e32 v96, 16, v96
	v_mul_u32_u24_e32 v101, 0x10001, v101
	v_mul_u32_u24_e32 v95, 0x10001, v95
	v_pk_fma_f16 v47, v47, v94, v93
	v_mul_u32_u24_e32 v102, 0x10001, v102
	v_mul_u32_u24_e32 v103, 0x10001, v96
	v_pk_fma_f16 v49, v48, v101, v49
	v_pk_fma_f16 v99, v48, v95, v99
	ds_load_b128 v[93:96], v78 offset:272
	s_wait_dscnt 0x2
	v_and_b32_e32 v101, 0xffff, v89
	v_lshrrev_b32_e32 v89, 16, v89
	v_and_b32_e32 v104, 0xffff, v90
	v_lshrrev_b32_e32 v90, 16, v90
	v_pk_fma_f16 v57, v48, v102, v57
	v_mul_u32_u24_e32 v101, 0x10001, v101
	v_mul_u32_u24_e32 v89, 0x10001, v89
	;; [unrolled: 1-line block ×3, first 2 shown]
	v_pk_fma_f16 v103, v48, v103, v47
	v_mul_u32_u24_e32 v90, 0x10001, v90
	s_wait_dscnt 0x1
	v_pk_fma_f16 v49, v97, v101, v49
	v_pk_fma_f16 v89, v97, v89, v99
	v_and_b32_e32 v99, 0xffff, v91
	v_lshrrev_b32_e32 v91, 16, v91
	v_and_b32_e32 v101, 0xffff, v92
	ds_load_2addr_b32 v[47:48], v100 offset0:64 offset1:96
	v_pk_fma_f16 v57, v97, v102, v57
	v_mul_u32_u24_e32 v99, 0x10001, v99
	v_mul_u32_u24_e32 v91, 0x10001, v91
	v_lshrrev_b32_e32 v92, 16, v92
	v_pk_fma_f16 v97, v97, v90, v103
	v_mul_u32_u24_e32 v90, 0x10001, v101
	v_pk_fma_f16 v49, v98, v99, v49
	v_pk_fma_f16 v99, v98, v91, v89
	s_wait_dscnt 0x1
	v_and_b32_e32 v89, 0xffff, v93
	v_lshrrev_b32_e32 v91, 16, v93
	v_mul_u32_u24_e32 v101, 0x10001, v92
	v_pk_fma_f16 v57, v98, v90, v57
	v_and_b32_e32 v93, 0xffff, v94
	v_mul_u32_u24_e32 v102, 0x10001, v89
	v_mul_u32_u24_e32 v103, 0x10001, v91
	ds_load_b128 v[89:92], v78 offset:288
	v_lshrrev_b32_e32 v94, 16, v94
	v_mul_u32_u24_e32 v93, 0x10001, v93
	v_pk_fma_f16 v101, v98, v101, v97
	ds_load_2addr_b32 v[97:98], v100 offset0:128 offset1:160
	s_wait_dscnt 0x2
	v_pk_fma_f16 v49, v47, v102, v49
	v_mul_u32_u24_e32 v94, 0x10001, v94
	v_pk_fma_f16 v57, v47, v93, v57
	v_and_b32_e32 v93, 0xffff, v95
	v_lshrrev_b32_e32 v95, 16, v95
	v_pk_fma_f16 v99, v47, v103, v99
	v_and_b32_e32 v102, 0xffff, v96
	v_lshrrev_b32_e32 v96, 16, v96
	v_mul_u32_u24_e32 v93, 0x10001, v93
	v_mul_u32_u24_e32 v95, 0x10001, v95
	v_pk_fma_f16 v47, v47, v94, v101
	v_mul_u32_u24_e32 v101, 0x10001, v102
	v_mul_u32_u24_e32 v102, 0x10001, v96
	v_pk_fma_f16 v49, v48, v93, v49
	v_pk_fma_f16 v99, v48, v95, v99
	ds_load_b128 v[93:96], v78 offset:304
	s_wait_dscnt 0x2
	v_and_b32_e32 v103, 0xffff, v89
	v_lshrrev_b32_e32 v89, 16, v89
	v_and_b32_e32 v104, 0xffff, v90
	v_pk_fma_f16 v57, v48, v101, v57
	v_lshrrev_b32_e32 v90, 16, v90
	v_mul_u32_u24_e32 v101, 0x10001, v103
	v_mul_u32_u24_e32 v89, 0x10001, v89
	v_pk_fma_f16 v102, v48, v102, v47
	ds_load_2addr_b32 v[47:48], v100 offset0:192 offset1:224
	v_mul_u32_u24_e32 v103, 0x10001, v104
	v_mul_u32_u24_e32 v90, 0x10001, v90
	s_wait_dscnt 0x2
	v_pk_fma_f16 v89, v97, v89, v99
	v_and_b32_e32 v99, 0xffff, v91
	v_lshrrev_b32_e32 v91, 16, v91
	v_pk_fma_f16 v49, v97, v101, v49
	v_and_b32_e32 v101, 0xffff, v92
	v_lshrrev_b32_e32 v92, 16, v92
	v_pk_fma_f16 v57, v97, v103, v57
	v_mul_u32_u24_e32 v91, 0x10001, v91
	v_mul_u32_u24_e32 v99, 0x10001, v99
	;; [unrolled: 1-line block ×3, first 2 shown]
	v_pk_fma_f16 v90, v97, v90, v102
	v_mul_u32_u24_e32 v92, 0x10001, v92
	v_pk_fma_f16 v97, v98, v91, v89
	s_wait_dscnt 0x1
	v_and_b32_e32 v89, 0xffff, v93
	v_lshrrev_b32_e32 v91, 16, v93
	v_pk_fma_f16 v49, v98, v99, v49
	v_pk_fma_f16 v57, v98, v100, v57
	;; [unrolled: 1-line block ×3, first 2 shown]
	v_and_b32_e32 v98, 0xffff, v94
	v_mul_u32_u24_e32 v99, 0x10001, v89
	v_mul_u32_u24_e32 v100, 0x10001, v91
	ds_load_b128 v[89:92], v78 offset:320
	v_lshrrev_b32_e32 v94, 16, v94
	v_mul_u32_u24_e32 v98, 0x10001, v98
	s_wait_dscnt 0x1
	v_pk_fma_f16 v49, v47, v99, v49
	v_pk_fma_f16 v99, v47, v100, v97
	v_add_nc_u32_e32 v100, 0x1400, v46
	v_and_b32_e32 v101, 0xffff, v95
	v_pk_fma_f16 v57, v47, v98, v57
	v_lshrrev_b32_e32 v95, 16, v95
	v_mul_u32_u24_e32 v94, 0x10001, v94
	ds_load_2addr_b32 v[97:98], v100 offset1:32
	v_and_b32_e32 v102, 0xffff, v96
	v_lshrrev_b32_e32 v96, 16, v96
	v_mul_u32_u24_e32 v101, 0x10001, v101
	v_mul_u32_u24_e32 v95, 0x10001, v95
	v_pk_fma_f16 v47, v47, v94, v93
	v_mul_u32_u24_e32 v102, 0x10001, v102
	v_mul_u32_u24_e32 v103, 0x10001, v96
	v_pk_fma_f16 v49, v48, v101, v49
	v_pk_fma_f16 v99, v48, v95, v99
	ds_load_b128 v[93:96], v78 offset:336
	s_wait_dscnt 0x2
	v_and_b32_e32 v101, 0xffff, v89
	v_lshrrev_b32_e32 v89, 16, v89
	v_and_b32_e32 v104, 0xffff, v90
	v_lshrrev_b32_e32 v90, 16, v90
	v_pk_fma_f16 v57, v48, v102, v57
	v_mul_u32_u24_e32 v101, 0x10001, v101
	v_mul_u32_u24_e32 v89, 0x10001, v89
	v_mul_u32_u24_e32 v102, 0x10001, v104
	v_pk_fma_f16 v103, v48, v103, v47
	v_mul_u32_u24_e32 v90, 0x10001, v90
	s_wait_dscnt 0x1
	v_pk_fma_f16 v49, v97, v101, v49
	v_pk_fma_f16 v89, v97, v89, v99
	v_and_b32_e32 v99, 0xffff, v91
	v_lshrrev_b32_e32 v91, 16, v91
	v_and_b32_e32 v101, 0xffff, v92
	ds_load_2addr_b32 v[47:48], v100 offset0:64 offset1:96
	v_pk_fma_f16 v57, v97, v102, v57
	v_mul_u32_u24_e32 v99, 0x10001, v99
	v_mul_u32_u24_e32 v91, 0x10001, v91
	v_lshrrev_b32_e32 v92, 16, v92
	v_pk_fma_f16 v97, v97, v90, v103
	v_mul_u32_u24_e32 v90, 0x10001, v101
	v_pk_fma_f16 v49, v98, v99, v49
	v_pk_fma_f16 v99, v98, v91, v89
	s_wait_dscnt 0x1
	v_and_b32_e32 v89, 0xffff, v93
	v_lshrrev_b32_e32 v91, 16, v93
	v_mul_u32_u24_e32 v101, 0x10001, v92
	v_pk_fma_f16 v57, v98, v90, v57
	v_and_b32_e32 v93, 0xffff, v94
	v_mul_u32_u24_e32 v102, 0x10001, v89
	v_mul_u32_u24_e32 v103, 0x10001, v91
	ds_load_b128 v[89:92], v78 offset:352
	v_lshrrev_b32_e32 v94, 16, v94
	v_mul_u32_u24_e32 v93, 0x10001, v93
	v_pk_fma_f16 v101, v98, v101, v97
	ds_load_2addr_b32 v[97:98], v100 offset0:128 offset1:160
	s_wait_dscnt 0x2
	v_pk_fma_f16 v49, v47, v102, v49
	v_mul_u32_u24_e32 v94, 0x10001, v94
	v_pk_fma_f16 v57, v47, v93, v57
	v_and_b32_e32 v93, 0xffff, v95
	v_lshrrev_b32_e32 v95, 16, v95
	v_pk_fma_f16 v99, v47, v103, v99
	v_and_b32_e32 v102, 0xffff, v96
	v_lshrrev_b32_e32 v96, 16, v96
	v_mul_u32_u24_e32 v93, 0x10001, v93
	v_mul_u32_u24_e32 v95, 0x10001, v95
	v_pk_fma_f16 v47, v47, v94, v101
	v_mul_u32_u24_e32 v101, 0x10001, v102
	v_mul_u32_u24_e32 v102, 0x10001, v96
	v_pk_fma_f16 v49, v48, v93, v49
	v_pk_fma_f16 v99, v48, v95, v99
	ds_load_b128 v[93:96], v78 offset:368
	s_wait_dscnt 0x2
	v_and_b32_e32 v103, 0xffff, v89
	v_lshrrev_b32_e32 v89, 16, v89
	v_and_b32_e32 v104, 0xffff, v90
	v_pk_fma_f16 v57, v48, v101, v57
	v_lshrrev_b32_e32 v90, 16, v90
	v_mul_u32_u24_e32 v101, 0x10001, v103
	v_mul_u32_u24_e32 v89, 0x10001, v89
	v_pk_fma_f16 v102, v48, v102, v47
	ds_load_2addr_b32 v[47:48], v100 offset0:192 offset1:224
	v_mul_u32_u24_e32 v103, 0x10001, v104
	v_mul_u32_u24_e32 v90, 0x10001, v90
	s_wait_dscnt 0x2
	v_pk_fma_f16 v89, v97, v89, v99
	v_and_b32_e32 v99, 0xffff, v91
	v_lshrrev_b32_e32 v91, 16, v91
	v_pk_fma_f16 v49, v97, v101, v49
	v_and_b32_e32 v101, 0xffff, v92
	v_lshrrev_b32_e32 v92, 16, v92
	v_pk_fma_f16 v57, v97, v103, v57
	v_mul_u32_u24_e32 v91, 0x10001, v91
	v_mul_u32_u24_e32 v99, 0x10001, v99
	v_mul_u32_u24_e32 v100, 0x10001, v101
	v_pk_fma_f16 v90, v97, v90, v102
	v_mul_u32_u24_e32 v92, 0x10001, v92
	v_pk_fma_f16 v97, v98, v91, v89
	s_wait_dscnt 0x1
	v_and_b32_e32 v89, 0xffff, v93
	v_lshrrev_b32_e32 v91, 16, v93
	v_pk_fma_f16 v49, v98, v99, v49
	v_pk_fma_f16 v57, v98, v100, v57
	;; [unrolled: 1-line block ×3, first 2 shown]
	v_and_b32_e32 v98, 0xffff, v94
	v_mul_u32_u24_e32 v99, 0x10001, v89
	v_mul_u32_u24_e32 v100, 0x10001, v91
	ds_load_b128 v[89:92], v78 offset:384
	v_lshrrev_b32_e32 v94, 16, v94
	v_mul_u32_u24_e32 v98, 0x10001, v98
	s_wait_dscnt 0x1
	v_pk_fma_f16 v49, v47, v99, v49
	v_pk_fma_f16 v99, v47, v100, v97
	v_add_nc_u32_e32 v100, 0x1800, v46
	v_and_b32_e32 v101, 0xffff, v95
	v_pk_fma_f16 v57, v47, v98, v57
	v_lshrrev_b32_e32 v95, 16, v95
	v_mul_u32_u24_e32 v94, 0x10001, v94
	ds_load_2addr_b32 v[97:98], v100 offset1:32
	v_and_b32_e32 v102, 0xffff, v96
	v_lshrrev_b32_e32 v96, 16, v96
	v_mul_u32_u24_e32 v101, 0x10001, v101
	v_mul_u32_u24_e32 v95, 0x10001, v95
	v_pk_fma_f16 v47, v47, v94, v93
	v_mul_u32_u24_e32 v102, 0x10001, v102
	v_mul_u32_u24_e32 v103, 0x10001, v96
	v_pk_fma_f16 v49, v48, v101, v49
	v_pk_fma_f16 v99, v48, v95, v99
	ds_load_b128 v[93:96], v78 offset:400
	s_wait_dscnt 0x2
	v_and_b32_e32 v101, 0xffff, v89
	v_lshrrev_b32_e32 v89, 16, v89
	v_and_b32_e32 v104, 0xffff, v90
	v_lshrrev_b32_e32 v90, 16, v90
	v_pk_fma_f16 v57, v48, v102, v57
	v_mul_u32_u24_e32 v101, 0x10001, v101
	v_mul_u32_u24_e32 v89, 0x10001, v89
	;; [unrolled: 1-line block ×3, first 2 shown]
	v_pk_fma_f16 v103, v48, v103, v47
	v_mul_u32_u24_e32 v90, 0x10001, v90
	s_wait_dscnt 0x1
	v_pk_fma_f16 v49, v97, v101, v49
	v_pk_fma_f16 v89, v97, v89, v99
	v_and_b32_e32 v99, 0xffff, v91
	v_lshrrev_b32_e32 v91, 16, v91
	v_and_b32_e32 v101, 0xffff, v92
	ds_load_2addr_b32 v[47:48], v100 offset0:64 offset1:96
	v_pk_fma_f16 v57, v97, v102, v57
	v_mul_u32_u24_e32 v99, 0x10001, v99
	v_mul_u32_u24_e32 v91, 0x10001, v91
	v_lshrrev_b32_e32 v92, 16, v92
	v_pk_fma_f16 v97, v97, v90, v103
	v_mul_u32_u24_e32 v90, 0x10001, v101
	v_pk_fma_f16 v49, v98, v99, v49
	v_pk_fma_f16 v99, v98, v91, v89
	s_wait_dscnt 0x1
	v_and_b32_e32 v89, 0xffff, v93
	v_lshrrev_b32_e32 v91, 16, v93
	v_mul_u32_u24_e32 v101, 0x10001, v92
	v_pk_fma_f16 v57, v98, v90, v57
	v_and_b32_e32 v93, 0xffff, v94
	v_mul_u32_u24_e32 v102, 0x10001, v89
	v_mul_u32_u24_e32 v103, 0x10001, v91
	ds_load_b128 v[89:92], v78 offset:416
	v_lshrrev_b32_e32 v94, 16, v94
	v_mul_u32_u24_e32 v93, 0x10001, v93
	v_pk_fma_f16 v101, v98, v101, v97
	ds_load_2addr_b32 v[97:98], v100 offset0:128 offset1:160
	s_wait_dscnt 0x2
	v_pk_fma_f16 v49, v47, v102, v49
	v_mul_u32_u24_e32 v94, 0x10001, v94
	v_pk_fma_f16 v57, v47, v93, v57
	v_and_b32_e32 v93, 0xffff, v95
	v_lshrrev_b32_e32 v95, 16, v95
	v_pk_fma_f16 v99, v47, v103, v99
	v_and_b32_e32 v102, 0xffff, v96
	v_lshrrev_b32_e32 v96, 16, v96
	v_mul_u32_u24_e32 v93, 0x10001, v93
	v_mul_u32_u24_e32 v95, 0x10001, v95
	v_pk_fma_f16 v47, v47, v94, v101
	v_mul_u32_u24_e32 v101, 0x10001, v102
	v_mul_u32_u24_e32 v102, 0x10001, v96
	v_pk_fma_f16 v49, v48, v93, v49
	v_pk_fma_f16 v99, v48, v95, v99
	ds_load_b128 v[93:96], v78 offset:432
	s_wait_dscnt 0x2
	v_and_b32_e32 v103, 0xffff, v89
	v_lshrrev_b32_e32 v89, 16, v89
	v_and_b32_e32 v104, 0xffff, v90
	v_pk_fma_f16 v57, v48, v101, v57
	v_lshrrev_b32_e32 v90, 16, v90
	v_mul_u32_u24_e32 v101, 0x10001, v103
	v_mul_u32_u24_e32 v89, 0x10001, v89
	v_pk_fma_f16 v102, v48, v102, v47
	ds_load_2addr_b32 v[47:48], v100 offset0:192 offset1:224
	v_mul_u32_u24_e32 v103, 0x10001, v104
	v_mul_u32_u24_e32 v90, 0x10001, v90
	s_wait_dscnt 0x2
	v_pk_fma_f16 v89, v97, v89, v99
	v_and_b32_e32 v99, 0xffff, v91
	v_lshrrev_b32_e32 v91, 16, v91
	v_pk_fma_f16 v49, v97, v101, v49
	v_and_b32_e32 v101, 0xffff, v92
	v_lshrrev_b32_e32 v92, 16, v92
	v_pk_fma_f16 v57, v97, v103, v57
	v_mul_u32_u24_e32 v91, 0x10001, v91
	v_mul_u32_u24_e32 v99, 0x10001, v99
	;; [unrolled: 1-line block ×3, first 2 shown]
	v_pk_fma_f16 v90, v97, v90, v102
	v_mul_u32_u24_e32 v92, 0x10001, v92
	v_pk_fma_f16 v97, v98, v91, v89
	s_wait_dscnt 0x1
	v_and_b32_e32 v89, 0xffff, v93
	v_lshrrev_b32_e32 v91, 16, v93
	v_pk_fma_f16 v49, v98, v99, v49
	v_pk_fma_f16 v57, v98, v100, v57
	;; [unrolled: 1-line block ×3, first 2 shown]
	v_and_b32_e32 v98, 0xffff, v94
	v_mul_u32_u24_e32 v99, 0x10001, v89
	v_mul_u32_u24_e32 v100, 0x10001, v91
	ds_load_b128 v[89:92], v78 offset:448
	v_lshrrev_b32_e32 v94, 16, v94
	v_mul_u32_u24_e32 v98, 0x10001, v98
	s_wait_dscnt 0x1
	v_pk_fma_f16 v49, v47, v99, v49
	v_pk_fma_f16 v99, v47, v100, v97
	v_add_nc_u32_e32 v100, 0x1c00, v46
	v_and_b32_e32 v101, 0xffff, v95
	v_pk_fma_f16 v57, v47, v98, v57
	v_lshrrev_b32_e32 v95, 16, v95
	v_mul_u32_u24_e32 v94, 0x10001, v94
	ds_load_2addr_b32 v[97:98], v100 offset1:32
	v_and_b32_e32 v102, 0xffff, v96
	v_lshrrev_b32_e32 v96, 16, v96
	v_mul_u32_u24_e32 v101, 0x10001, v101
	v_mul_u32_u24_e32 v95, 0x10001, v95
	v_pk_fma_f16 v47, v47, v94, v93
	v_mul_u32_u24_e32 v102, 0x10001, v102
	v_mul_u32_u24_e32 v103, 0x10001, v96
	v_pk_fma_f16 v49, v48, v101, v49
	v_pk_fma_f16 v99, v48, v95, v99
	ds_load_b128 v[93:96], v78 offset:464
	s_wait_dscnt 0x2
	v_and_b32_e32 v101, 0xffff, v89
	v_lshrrev_b32_e32 v89, 16, v89
	v_and_b32_e32 v104, 0xffff, v90
	v_lshrrev_b32_e32 v90, 16, v90
	v_pk_fma_f16 v57, v48, v102, v57
	v_mul_u32_u24_e32 v101, 0x10001, v101
	v_mul_u32_u24_e32 v89, 0x10001, v89
	;; [unrolled: 1-line block ×3, first 2 shown]
	v_pk_fma_f16 v103, v48, v103, v47
	v_mul_u32_u24_e32 v90, 0x10001, v90
	s_wait_dscnt 0x1
	v_pk_fma_f16 v49, v97, v101, v49
	v_pk_fma_f16 v89, v97, v89, v99
	v_and_b32_e32 v99, 0xffff, v91
	v_lshrrev_b32_e32 v91, 16, v91
	v_and_b32_e32 v101, 0xffff, v92
	ds_load_2addr_b32 v[47:48], v100 offset0:64 offset1:96
	v_pk_fma_f16 v57, v97, v102, v57
	v_mul_u32_u24_e32 v99, 0x10001, v99
	v_mul_u32_u24_e32 v91, 0x10001, v91
	v_lshrrev_b32_e32 v92, 16, v92
	v_pk_fma_f16 v97, v97, v90, v103
	v_mul_u32_u24_e32 v90, 0x10001, v101
	v_pk_fma_f16 v49, v98, v99, v49
	v_pk_fma_f16 v99, v98, v91, v89
	s_wait_dscnt 0x1
	v_and_b32_e32 v89, 0xffff, v93
	v_lshrrev_b32_e32 v91, 16, v93
	v_mul_u32_u24_e32 v101, 0x10001, v92
	v_pk_fma_f16 v57, v98, v90, v57
	v_and_b32_e32 v93, 0xffff, v94
	v_mul_u32_u24_e32 v102, 0x10001, v89
	v_mul_u32_u24_e32 v103, 0x10001, v91
	ds_load_b128 v[89:92], v78 offset:480
	v_lshrrev_b32_e32 v94, 16, v94
	v_mul_u32_u24_e32 v93, 0x10001, v93
	v_pk_fma_f16 v101, v98, v101, v97
	ds_load_2addr_b32 v[97:98], v100 offset0:128 offset1:160
	s_wait_dscnt 0x2
	v_pk_fma_f16 v49, v47, v102, v49
	v_mul_u32_u24_e32 v94, 0x10001, v94
	v_pk_fma_f16 v57, v47, v93, v57
	v_and_b32_e32 v93, 0xffff, v95
	v_lshrrev_b32_e32 v95, 16, v95
	v_pk_fma_f16 v99, v47, v103, v99
	v_and_b32_e32 v102, 0xffff, v96
	v_lshrrev_b32_e32 v96, 16, v96
	v_mul_u32_u24_e32 v93, 0x10001, v93
	v_mul_u32_u24_e32 v95, 0x10001, v95
	v_pk_fma_f16 v47, v47, v94, v101
	v_mul_u32_u24_e32 v101, 0x10001, v102
	v_mul_u32_u24_e32 v102, 0x10001, v96
	v_pk_fma_f16 v49, v48, v93, v49
	v_pk_fma_f16 v99, v48, v95, v99
	ds_load_b128 v[93:96], v78 offset:496
	s_wait_dscnt 0x2
	v_and_b32_e32 v103, 0xffff, v89
	v_lshrrev_b32_e32 v89, 16, v89
	v_and_b32_e32 v104, 0xffff, v90
	v_pk_fma_f16 v57, v48, v101, v57
	v_lshrrev_b32_e32 v90, 16, v90
	v_mul_u32_u24_e32 v101, 0x10001, v103
	v_mul_u32_u24_e32 v89, 0x10001, v89
	v_pk_fma_f16 v102, v48, v102, v47
	ds_load_2addr_b32 v[47:48], v100 offset0:192 offset1:224
	v_mul_u32_u24_e32 v103, 0x10001, v104
	v_mul_u32_u24_e32 v90, 0x10001, v90
	s_wait_dscnt 0x2
	v_pk_fma_f16 v89, v97, v89, v99
	v_and_b32_e32 v99, 0xffff, v91
	v_lshrrev_b32_e32 v91, 16, v91
	v_pk_fma_f16 v49, v97, v101, v49
	v_and_b32_e32 v101, 0xffff, v92
	v_lshrrev_b32_e32 v92, 16, v92
	v_pk_fma_f16 v57, v97, v103, v57
	v_mul_u32_u24_e32 v91, 0x10001, v91
	v_mul_u32_u24_e32 v99, 0x10001, v99
	;; [unrolled: 1-line block ×3, first 2 shown]
	v_pk_fma_f16 v90, v97, v90, v102
	v_mul_u32_u24_e32 v92, 0x10001, v92
	v_pk_fma_f16 v97, v98, v91, v89
	s_wait_dscnt 0x1
	v_and_b32_e32 v89, 0xffff, v93
	v_lshrrev_b32_e32 v91, 16, v93
	v_pk_fma_f16 v49, v98, v99, v49
	v_pk_fma_f16 v57, v98, v100, v57
	;; [unrolled: 1-line block ×3, first 2 shown]
	v_and_b32_e32 v98, 0xffff, v94
	v_mul_u32_u24_e32 v99, 0x10001, v89
	v_mul_u32_u24_e32 v100, 0x10001, v91
	ds_load_b128 v[89:92], v78 offset:512
	v_lshrrev_b32_e32 v94, 16, v94
	v_mul_u32_u24_e32 v98, 0x10001, v98
	s_wait_dscnt 0x1
	v_pk_fma_f16 v49, v47, v99, v49
	v_pk_fma_f16 v99, v47, v100, v97
	v_add_nc_u32_e32 v100, 0x2000, v46
	v_and_b32_e32 v101, 0xffff, v95
	v_pk_fma_f16 v57, v47, v98, v57
	v_lshrrev_b32_e32 v95, 16, v95
	v_mul_u32_u24_e32 v94, 0x10001, v94
	ds_load_2addr_b32 v[97:98], v100 offset1:32
	v_and_b32_e32 v102, 0xffff, v96
	v_lshrrev_b32_e32 v96, 16, v96
	v_mul_u32_u24_e32 v101, 0x10001, v101
	v_mul_u32_u24_e32 v95, 0x10001, v95
	v_pk_fma_f16 v47, v47, v94, v93
	v_mul_u32_u24_e32 v102, 0x10001, v102
	v_mul_u32_u24_e32 v103, 0x10001, v96
	v_pk_fma_f16 v49, v48, v101, v49
	v_pk_fma_f16 v99, v48, v95, v99
	ds_load_b128 v[93:96], v78 offset:528
	s_wait_dscnt 0x2
	v_and_b32_e32 v101, 0xffff, v89
	v_lshrrev_b32_e32 v89, 16, v89
	v_and_b32_e32 v104, 0xffff, v90
	v_lshrrev_b32_e32 v90, 16, v90
	v_pk_fma_f16 v57, v48, v102, v57
	v_mul_u32_u24_e32 v101, 0x10001, v101
	v_mul_u32_u24_e32 v89, 0x10001, v89
	;; [unrolled: 1-line block ×3, first 2 shown]
	v_pk_fma_f16 v103, v48, v103, v47
	v_mul_u32_u24_e32 v90, 0x10001, v90
	s_wait_dscnt 0x1
	v_pk_fma_f16 v49, v97, v101, v49
	v_pk_fma_f16 v89, v97, v89, v99
	v_and_b32_e32 v99, 0xffff, v91
	v_lshrrev_b32_e32 v91, 16, v91
	v_and_b32_e32 v101, 0xffff, v92
	ds_load_2addr_b32 v[47:48], v100 offset0:64 offset1:96
	v_pk_fma_f16 v57, v97, v102, v57
	v_mul_u32_u24_e32 v99, 0x10001, v99
	v_mul_u32_u24_e32 v91, 0x10001, v91
	v_lshrrev_b32_e32 v92, 16, v92
	v_pk_fma_f16 v97, v97, v90, v103
	v_mul_u32_u24_e32 v90, 0x10001, v101
	v_pk_fma_f16 v49, v98, v99, v49
	v_pk_fma_f16 v99, v98, v91, v89
	s_wait_dscnt 0x1
	v_and_b32_e32 v89, 0xffff, v93
	v_lshrrev_b32_e32 v91, 16, v93
	v_mul_u32_u24_e32 v101, 0x10001, v92
	v_pk_fma_f16 v57, v98, v90, v57
	v_and_b32_e32 v93, 0xffff, v94
	v_mul_u32_u24_e32 v102, 0x10001, v89
	v_mul_u32_u24_e32 v103, 0x10001, v91
	ds_load_b128 v[89:92], v78 offset:544
	v_lshrrev_b32_e32 v94, 16, v94
	v_mul_u32_u24_e32 v93, 0x10001, v93
	v_pk_fma_f16 v101, v98, v101, v97
	ds_load_2addr_b32 v[97:98], v100 offset0:128 offset1:160
	s_wait_dscnt 0x2
	v_pk_fma_f16 v49, v47, v102, v49
	v_mul_u32_u24_e32 v94, 0x10001, v94
	v_pk_fma_f16 v57, v47, v93, v57
	v_and_b32_e32 v93, 0xffff, v95
	v_lshrrev_b32_e32 v95, 16, v95
	v_pk_fma_f16 v99, v47, v103, v99
	v_and_b32_e32 v102, 0xffff, v96
	v_lshrrev_b32_e32 v96, 16, v96
	v_mul_u32_u24_e32 v93, 0x10001, v93
	v_mul_u32_u24_e32 v95, 0x10001, v95
	v_pk_fma_f16 v47, v47, v94, v101
	v_mul_u32_u24_e32 v101, 0x10001, v102
	v_mul_u32_u24_e32 v102, 0x10001, v96
	v_pk_fma_f16 v49, v48, v93, v49
	v_pk_fma_f16 v99, v48, v95, v99
	ds_load_b128 v[93:96], v78 offset:560
	s_wait_dscnt 0x2
	v_and_b32_e32 v103, 0xffff, v89
	v_lshrrev_b32_e32 v89, 16, v89
	v_and_b32_e32 v104, 0xffff, v90
	v_pk_fma_f16 v57, v48, v101, v57
	v_lshrrev_b32_e32 v90, 16, v90
	v_mul_u32_u24_e32 v101, 0x10001, v103
	v_mul_u32_u24_e32 v89, 0x10001, v89
	v_pk_fma_f16 v102, v48, v102, v47
	ds_load_2addr_b32 v[47:48], v100 offset0:192 offset1:224
	v_mul_u32_u24_e32 v103, 0x10001, v104
	v_mul_u32_u24_e32 v90, 0x10001, v90
	s_wait_dscnt 0x2
	v_pk_fma_f16 v89, v97, v89, v99
	v_and_b32_e32 v99, 0xffff, v91
	v_lshrrev_b32_e32 v91, 16, v91
	v_pk_fma_f16 v49, v97, v101, v49
	v_and_b32_e32 v101, 0xffff, v92
	v_lshrrev_b32_e32 v92, 16, v92
	v_pk_fma_f16 v57, v97, v103, v57
	v_mul_u32_u24_e32 v91, 0x10001, v91
	v_mul_u32_u24_e32 v99, 0x10001, v99
	;; [unrolled: 1-line block ×3, first 2 shown]
	v_pk_fma_f16 v90, v97, v90, v102
	v_mul_u32_u24_e32 v92, 0x10001, v92
	v_pk_fma_f16 v97, v98, v91, v89
	s_wait_dscnt 0x1
	v_and_b32_e32 v89, 0xffff, v93
	v_lshrrev_b32_e32 v91, 16, v93
	v_pk_fma_f16 v49, v98, v99, v49
	v_pk_fma_f16 v57, v98, v100, v57
	;; [unrolled: 1-line block ×3, first 2 shown]
	v_and_b32_e32 v98, 0xffff, v94
	v_mul_u32_u24_e32 v99, 0x10001, v89
	v_mul_u32_u24_e32 v100, 0x10001, v91
	ds_load_b128 v[89:92], v78 offset:576
	v_lshrrev_b32_e32 v94, 16, v94
	v_mul_u32_u24_e32 v98, 0x10001, v98
	s_wait_dscnt 0x1
	v_pk_fma_f16 v49, v47, v99, v49
	v_pk_fma_f16 v99, v47, v100, v97
	v_add_nc_u32_e32 v100, 0x2400, v46
	v_and_b32_e32 v101, 0xffff, v95
	v_pk_fma_f16 v57, v47, v98, v57
	v_lshrrev_b32_e32 v95, 16, v95
	v_mul_u32_u24_e32 v94, 0x10001, v94
	ds_load_2addr_b32 v[97:98], v100 offset1:32
	v_and_b32_e32 v102, 0xffff, v96
	v_lshrrev_b32_e32 v96, 16, v96
	v_mul_u32_u24_e32 v101, 0x10001, v101
	v_mul_u32_u24_e32 v95, 0x10001, v95
	v_pk_fma_f16 v47, v47, v94, v93
	v_mul_u32_u24_e32 v102, 0x10001, v102
	v_mul_u32_u24_e32 v103, 0x10001, v96
	v_pk_fma_f16 v49, v48, v101, v49
	v_pk_fma_f16 v99, v48, v95, v99
	ds_load_b128 v[93:96], v78 offset:592
	s_wait_dscnt 0x2
	v_and_b32_e32 v101, 0xffff, v89
	v_lshrrev_b32_e32 v89, 16, v89
	v_and_b32_e32 v104, 0xffff, v90
	v_lshrrev_b32_e32 v90, 16, v90
	v_pk_fma_f16 v57, v48, v102, v57
	v_mul_u32_u24_e32 v101, 0x10001, v101
	v_mul_u32_u24_e32 v89, 0x10001, v89
	;; [unrolled: 1-line block ×3, first 2 shown]
	v_pk_fma_f16 v103, v48, v103, v47
	v_mul_u32_u24_e32 v90, 0x10001, v90
	s_wait_dscnt 0x1
	v_pk_fma_f16 v49, v97, v101, v49
	v_pk_fma_f16 v89, v97, v89, v99
	v_and_b32_e32 v99, 0xffff, v91
	v_lshrrev_b32_e32 v91, 16, v91
	v_and_b32_e32 v101, 0xffff, v92
	ds_load_2addr_b32 v[47:48], v100 offset0:64 offset1:96
	v_pk_fma_f16 v57, v97, v102, v57
	v_mul_u32_u24_e32 v99, 0x10001, v99
	v_mul_u32_u24_e32 v91, 0x10001, v91
	v_lshrrev_b32_e32 v92, 16, v92
	v_pk_fma_f16 v97, v97, v90, v103
	v_mul_u32_u24_e32 v90, 0x10001, v101
	v_pk_fma_f16 v49, v98, v99, v49
	v_pk_fma_f16 v99, v98, v91, v89
	s_wait_dscnt 0x1
	v_and_b32_e32 v89, 0xffff, v93
	v_lshrrev_b32_e32 v91, 16, v93
	v_mul_u32_u24_e32 v101, 0x10001, v92
	v_pk_fma_f16 v57, v98, v90, v57
	v_and_b32_e32 v93, 0xffff, v94
	v_mul_u32_u24_e32 v102, 0x10001, v89
	v_mul_u32_u24_e32 v103, 0x10001, v91
	ds_load_b128 v[89:92], v78 offset:608
	v_lshrrev_b32_e32 v94, 16, v94
	v_mul_u32_u24_e32 v93, 0x10001, v93
	v_pk_fma_f16 v101, v98, v101, v97
	ds_load_2addr_b32 v[97:98], v100 offset0:128 offset1:160
	s_wait_dscnt 0x2
	v_pk_fma_f16 v49, v47, v102, v49
	v_mul_u32_u24_e32 v94, 0x10001, v94
	v_pk_fma_f16 v57, v47, v93, v57
	v_and_b32_e32 v93, 0xffff, v95
	v_lshrrev_b32_e32 v95, 16, v95
	v_pk_fma_f16 v99, v47, v103, v99
	v_and_b32_e32 v102, 0xffff, v96
	v_lshrrev_b32_e32 v96, 16, v96
	v_mul_u32_u24_e32 v93, 0x10001, v93
	v_mul_u32_u24_e32 v95, 0x10001, v95
	v_pk_fma_f16 v47, v47, v94, v101
	v_mul_u32_u24_e32 v101, 0x10001, v102
	v_mul_u32_u24_e32 v102, 0x10001, v96
	v_pk_fma_f16 v49, v48, v93, v49
	v_pk_fma_f16 v99, v48, v95, v99
	ds_load_b128 v[93:96], v78 offset:624
	s_wait_dscnt 0x2
	v_and_b32_e32 v103, 0xffff, v89
	v_lshrrev_b32_e32 v89, 16, v89
	v_and_b32_e32 v104, 0xffff, v90
	v_pk_fma_f16 v57, v48, v101, v57
	v_lshrrev_b32_e32 v90, 16, v90
	v_mul_u32_u24_e32 v101, 0x10001, v103
	v_mul_u32_u24_e32 v89, 0x10001, v89
	v_pk_fma_f16 v102, v48, v102, v47
	ds_load_2addr_b32 v[47:48], v100 offset0:192 offset1:224
	v_mul_u32_u24_e32 v103, 0x10001, v104
	v_mul_u32_u24_e32 v90, 0x10001, v90
	s_wait_dscnt 0x2
	v_pk_fma_f16 v89, v97, v89, v99
	v_and_b32_e32 v99, 0xffff, v91
	v_lshrrev_b32_e32 v91, 16, v91
	v_pk_fma_f16 v49, v97, v101, v49
	v_and_b32_e32 v101, 0xffff, v92
	v_lshrrev_b32_e32 v92, 16, v92
	v_pk_fma_f16 v57, v97, v103, v57
	v_mul_u32_u24_e32 v91, 0x10001, v91
	v_mul_u32_u24_e32 v99, 0x10001, v99
	;; [unrolled: 1-line block ×3, first 2 shown]
	v_pk_fma_f16 v90, v97, v90, v102
	v_mul_u32_u24_e32 v92, 0x10001, v92
	v_pk_fma_f16 v97, v98, v91, v89
	s_wait_dscnt 0x1
	v_and_b32_e32 v89, 0xffff, v93
	v_lshrrev_b32_e32 v91, 16, v93
	v_pk_fma_f16 v49, v98, v99, v49
	v_pk_fma_f16 v57, v98, v100, v57
	;; [unrolled: 1-line block ×3, first 2 shown]
	v_and_b32_e32 v98, 0xffff, v94
	v_mul_u32_u24_e32 v99, 0x10001, v89
	v_mul_u32_u24_e32 v100, 0x10001, v91
	ds_load_b128 v[89:92], v78 offset:640
	v_lshrrev_b32_e32 v94, 16, v94
	v_mul_u32_u24_e32 v98, 0x10001, v98
	s_wait_dscnt 0x1
	v_pk_fma_f16 v49, v47, v99, v49
	v_pk_fma_f16 v99, v47, v100, v97
	v_add_nc_u32_e32 v100, 0x2800, v46
	v_and_b32_e32 v101, 0xffff, v95
	v_pk_fma_f16 v57, v47, v98, v57
	v_lshrrev_b32_e32 v95, 16, v95
	v_mul_u32_u24_e32 v94, 0x10001, v94
	ds_load_2addr_b32 v[97:98], v100 offset1:32
	v_and_b32_e32 v102, 0xffff, v96
	v_lshrrev_b32_e32 v96, 16, v96
	v_mul_u32_u24_e32 v101, 0x10001, v101
	v_mul_u32_u24_e32 v95, 0x10001, v95
	v_pk_fma_f16 v47, v47, v94, v93
	v_mul_u32_u24_e32 v102, 0x10001, v102
	v_mul_u32_u24_e32 v103, 0x10001, v96
	v_pk_fma_f16 v49, v48, v101, v49
	v_pk_fma_f16 v99, v48, v95, v99
	ds_load_b128 v[93:96], v78 offset:656
	s_wait_dscnt 0x2
	v_and_b32_e32 v101, 0xffff, v89
	v_lshrrev_b32_e32 v89, 16, v89
	v_and_b32_e32 v104, 0xffff, v90
	v_lshrrev_b32_e32 v90, 16, v90
	v_pk_fma_f16 v57, v48, v102, v57
	v_mul_u32_u24_e32 v101, 0x10001, v101
	v_mul_u32_u24_e32 v89, 0x10001, v89
	;; [unrolled: 1-line block ×3, first 2 shown]
	v_pk_fma_f16 v103, v48, v103, v47
	v_mul_u32_u24_e32 v90, 0x10001, v90
	s_wait_dscnt 0x1
	v_pk_fma_f16 v49, v97, v101, v49
	v_pk_fma_f16 v89, v97, v89, v99
	v_and_b32_e32 v99, 0xffff, v91
	v_lshrrev_b32_e32 v91, 16, v91
	v_and_b32_e32 v101, 0xffff, v92
	ds_load_2addr_b32 v[47:48], v100 offset0:64 offset1:96
	v_pk_fma_f16 v57, v97, v102, v57
	v_mul_u32_u24_e32 v99, 0x10001, v99
	v_mul_u32_u24_e32 v91, 0x10001, v91
	v_lshrrev_b32_e32 v92, 16, v92
	v_pk_fma_f16 v97, v97, v90, v103
	v_mul_u32_u24_e32 v90, 0x10001, v101
	v_pk_fma_f16 v49, v98, v99, v49
	v_pk_fma_f16 v99, v98, v91, v89
	s_wait_dscnt 0x1
	v_and_b32_e32 v89, 0xffff, v93
	v_lshrrev_b32_e32 v91, 16, v93
	v_mul_u32_u24_e32 v101, 0x10001, v92
	v_pk_fma_f16 v57, v98, v90, v57
	v_and_b32_e32 v93, 0xffff, v94
	v_mul_u32_u24_e32 v102, 0x10001, v89
	v_mul_u32_u24_e32 v103, 0x10001, v91
	ds_load_b128 v[89:92], v78 offset:672
	v_lshrrev_b32_e32 v94, 16, v94
	v_mul_u32_u24_e32 v93, 0x10001, v93
	v_pk_fma_f16 v101, v98, v101, v97
	ds_load_2addr_b32 v[97:98], v100 offset0:128 offset1:160
	s_wait_dscnt 0x2
	v_pk_fma_f16 v49, v47, v102, v49
	v_mul_u32_u24_e32 v94, 0x10001, v94
	v_pk_fma_f16 v57, v47, v93, v57
	v_and_b32_e32 v93, 0xffff, v95
	v_lshrrev_b32_e32 v95, 16, v95
	v_pk_fma_f16 v99, v47, v103, v99
	v_and_b32_e32 v102, 0xffff, v96
	v_lshrrev_b32_e32 v96, 16, v96
	v_mul_u32_u24_e32 v93, 0x10001, v93
	v_mul_u32_u24_e32 v95, 0x10001, v95
	v_pk_fma_f16 v47, v47, v94, v101
	v_mul_u32_u24_e32 v101, 0x10001, v102
	v_mul_u32_u24_e32 v102, 0x10001, v96
	v_pk_fma_f16 v49, v48, v93, v49
	v_pk_fma_f16 v99, v48, v95, v99
	ds_load_b128 v[93:96], v78 offset:688
	s_wait_dscnt 0x2
	v_and_b32_e32 v103, 0xffff, v89
	v_lshrrev_b32_e32 v89, 16, v89
	v_and_b32_e32 v104, 0xffff, v90
	v_pk_fma_f16 v57, v48, v101, v57
	v_lshrrev_b32_e32 v90, 16, v90
	v_mul_u32_u24_e32 v101, 0x10001, v103
	v_mul_u32_u24_e32 v89, 0x10001, v89
	v_pk_fma_f16 v102, v48, v102, v47
	ds_load_2addr_b32 v[47:48], v100 offset0:192 offset1:224
	v_mul_u32_u24_e32 v103, 0x10001, v104
	v_mul_u32_u24_e32 v90, 0x10001, v90
	s_wait_dscnt 0x2
	v_pk_fma_f16 v89, v97, v89, v99
	v_and_b32_e32 v99, 0xffff, v91
	v_lshrrev_b32_e32 v91, 16, v91
	v_pk_fma_f16 v49, v97, v101, v49
	v_and_b32_e32 v101, 0xffff, v92
	v_lshrrev_b32_e32 v92, 16, v92
	v_pk_fma_f16 v57, v97, v103, v57
	v_mul_u32_u24_e32 v91, 0x10001, v91
	v_mul_u32_u24_e32 v99, 0x10001, v99
	;; [unrolled: 1-line block ×3, first 2 shown]
	v_pk_fma_f16 v90, v97, v90, v102
	v_mul_u32_u24_e32 v92, 0x10001, v92
	v_pk_fma_f16 v97, v98, v91, v89
	s_wait_dscnt 0x1
	v_and_b32_e32 v89, 0xffff, v93
	v_lshrrev_b32_e32 v91, 16, v93
	v_pk_fma_f16 v49, v98, v99, v49
	v_pk_fma_f16 v57, v98, v100, v57
	;; [unrolled: 1-line block ×3, first 2 shown]
	v_and_b32_e32 v98, 0xffff, v94
	v_mul_u32_u24_e32 v99, 0x10001, v89
	v_mul_u32_u24_e32 v100, 0x10001, v91
	ds_load_b128 v[89:92], v78 offset:704
	v_lshrrev_b32_e32 v94, 16, v94
	v_mul_u32_u24_e32 v98, 0x10001, v98
	s_wait_dscnt 0x1
	v_pk_fma_f16 v49, v47, v99, v49
	v_pk_fma_f16 v99, v47, v100, v97
	v_add_nc_u32_e32 v100, 0x2c00, v46
	v_and_b32_e32 v101, 0xffff, v95
	v_pk_fma_f16 v57, v47, v98, v57
	v_lshrrev_b32_e32 v95, 16, v95
	v_mul_u32_u24_e32 v94, 0x10001, v94
	ds_load_2addr_b32 v[97:98], v100 offset1:32
	v_and_b32_e32 v102, 0xffff, v96
	v_lshrrev_b32_e32 v96, 16, v96
	v_mul_u32_u24_e32 v101, 0x10001, v101
	v_mul_u32_u24_e32 v95, 0x10001, v95
	v_pk_fma_f16 v47, v47, v94, v93
	v_mul_u32_u24_e32 v102, 0x10001, v102
	v_mul_u32_u24_e32 v103, 0x10001, v96
	v_pk_fma_f16 v49, v48, v101, v49
	v_pk_fma_f16 v99, v48, v95, v99
	ds_load_b128 v[93:96], v78 offset:720
	s_wait_dscnt 0x2
	v_and_b32_e32 v101, 0xffff, v89
	v_lshrrev_b32_e32 v89, 16, v89
	v_and_b32_e32 v104, 0xffff, v90
	v_lshrrev_b32_e32 v90, 16, v90
	v_pk_fma_f16 v57, v48, v102, v57
	v_mul_u32_u24_e32 v101, 0x10001, v101
	v_mul_u32_u24_e32 v89, 0x10001, v89
	;; [unrolled: 1-line block ×3, first 2 shown]
	v_pk_fma_f16 v103, v48, v103, v47
	v_mul_u32_u24_e32 v90, 0x10001, v90
	s_wait_dscnt 0x1
	v_pk_fma_f16 v49, v97, v101, v49
	v_pk_fma_f16 v89, v97, v89, v99
	v_and_b32_e32 v99, 0xffff, v91
	v_lshrrev_b32_e32 v91, 16, v91
	v_and_b32_e32 v101, 0xffff, v92
	ds_load_2addr_b32 v[47:48], v100 offset0:64 offset1:96
	v_pk_fma_f16 v57, v97, v102, v57
	v_mul_u32_u24_e32 v99, 0x10001, v99
	v_mul_u32_u24_e32 v91, 0x10001, v91
	v_lshrrev_b32_e32 v92, 16, v92
	v_pk_fma_f16 v97, v97, v90, v103
	v_mul_u32_u24_e32 v90, 0x10001, v101
	v_pk_fma_f16 v49, v98, v99, v49
	v_pk_fma_f16 v99, v98, v91, v89
	s_wait_dscnt 0x1
	v_and_b32_e32 v89, 0xffff, v93
	v_lshrrev_b32_e32 v91, 16, v93
	v_mul_u32_u24_e32 v101, 0x10001, v92
	v_pk_fma_f16 v57, v98, v90, v57
	v_and_b32_e32 v93, 0xffff, v94
	v_mul_u32_u24_e32 v102, 0x10001, v89
	v_mul_u32_u24_e32 v103, 0x10001, v91
	ds_load_b128 v[89:92], v78 offset:736
	v_lshrrev_b32_e32 v94, 16, v94
	v_mul_u32_u24_e32 v93, 0x10001, v93
	v_pk_fma_f16 v101, v98, v101, v97
	ds_load_2addr_b32 v[97:98], v100 offset0:128 offset1:160
	s_wait_dscnt 0x2
	v_pk_fma_f16 v49, v47, v102, v49
	v_mul_u32_u24_e32 v94, 0x10001, v94
	v_pk_fma_f16 v57, v47, v93, v57
	v_and_b32_e32 v93, 0xffff, v95
	v_lshrrev_b32_e32 v95, 16, v95
	v_pk_fma_f16 v99, v47, v103, v99
	v_and_b32_e32 v102, 0xffff, v96
	v_lshrrev_b32_e32 v96, 16, v96
	v_mul_u32_u24_e32 v93, 0x10001, v93
	v_mul_u32_u24_e32 v95, 0x10001, v95
	v_pk_fma_f16 v47, v47, v94, v101
	v_mul_u32_u24_e32 v101, 0x10001, v102
	v_mul_u32_u24_e32 v102, 0x10001, v96
	v_pk_fma_f16 v49, v48, v93, v49
	v_pk_fma_f16 v99, v48, v95, v99
	ds_load_b128 v[93:96], v78 offset:752
	s_wait_dscnt 0x2
	v_and_b32_e32 v103, 0xffff, v89
	v_lshrrev_b32_e32 v89, 16, v89
	v_and_b32_e32 v104, 0xffff, v90
	v_pk_fma_f16 v57, v48, v101, v57
	v_lshrrev_b32_e32 v90, 16, v90
	v_mul_u32_u24_e32 v101, 0x10001, v103
	v_mul_u32_u24_e32 v89, 0x10001, v89
	v_pk_fma_f16 v102, v48, v102, v47
	ds_load_2addr_b32 v[47:48], v100 offset0:192 offset1:224
	v_mul_u32_u24_e32 v103, 0x10001, v104
	v_mul_u32_u24_e32 v90, 0x10001, v90
	s_wait_dscnt 0x2
	v_pk_fma_f16 v89, v97, v89, v99
	v_and_b32_e32 v99, 0xffff, v91
	v_lshrrev_b32_e32 v91, 16, v91
	v_pk_fma_f16 v49, v97, v101, v49
	v_and_b32_e32 v101, 0xffff, v92
	v_lshrrev_b32_e32 v92, 16, v92
	v_pk_fma_f16 v57, v97, v103, v57
	v_mul_u32_u24_e32 v91, 0x10001, v91
	v_mul_u32_u24_e32 v99, 0x10001, v99
	;; [unrolled: 1-line block ×3, first 2 shown]
	v_pk_fma_f16 v90, v97, v90, v102
	v_mul_u32_u24_e32 v92, 0x10001, v92
	v_pk_fma_f16 v97, v98, v91, v89
	s_wait_dscnt 0x1
	v_and_b32_e32 v89, 0xffff, v93
	v_lshrrev_b32_e32 v91, 16, v93
	v_pk_fma_f16 v49, v98, v99, v49
	v_pk_fma_f16 v57, v98, v100, v57
	;; [unrolled: 1-line block ×3, first 2 shown]
	v_and_b32_e32 v98, 0xffff, v94
	v_mul_u32_u24_e32 v99, 0x10001, v89
	v_mul_u32_u24_e32 v100, 0x10001, v91
	ds_load_b128 v[89:92], v78 offset:768
	v_lshrrev_b32_e32 v94, 16, v94
	v_mul_u32_u24_e32 v98, 0x10001, v98
	s_wait_dscnt 0x1
	v_pk_fma_f16 v49, v47, v99, v49
	v_pk_fma_f16 v99, v47, v100, v97
	v_add_nc_u32_e32 v100, 0x3000, v46
	v_and_b32_e32 v101, 0xffff, v95
	v_pk_fma_f16 v57, v47, v98, v57
	v_lshrrev_b32_e32 v95, 16, v95
	v_mul_u32_u24_e32 v94, 0x10001, v94
	ds_load_2addr_b32 v[97:98], v100 offset1:32
	v_and_b32_e32 v102, 0xffff, v96
	v_lshrrev_b32_e32 v96, 16, v96
	v_mul_u32_u24_e32 v101, 0x10001, v101
	v_mul_u32_u24_e32 v95, 0x10001, v95
	v_pk_fma_f16 v47, v47, v94, v93
	v_mul_u32_u24_e32 v102, 0x10001, v102
	v_mul_u32_u24_e32 v103, 0x10001, v96
	v_pk_fma_f16 v49, v48, v101, v49
	v_pk_fma_f16 v99, v48, v95, v99
	ds_load_b128 v[93:96], v78 offset:784
	s_wait_dscnt 0x2
	v_and_b32_e32 v101, 0xffff, v89
	v_lshrrev_b32_e32 v89, 16, v89
	v_and_b32_e32 v104, 0xffff, v90
	v_lshrrev_b32_e32 v90, 16, v90
	v_pk_fma_f16 v57, v48, v102, v57
	v_mul_u32_u24_e32 v101, 0x10001, v101
	v_mul_u32_u24_e32 v89, 0x10001, v89
	;; [unrolled: 1-line block ×3, first 2 shown]
	v_pk_fma_f16 v103, v48, v103, v47
	v_mul_u32_u24_e32 v90, 0x10001, v90
	s_wait_dscnt 0x1
	v_pk_fma_f16 v49, v97, v101, v49
	v_pk_fma_f16 v89, v97, v89, v99
	v_and_b32_e32 v99, 0xffff, v91
	v_lshrrev_b32_e32 v91, 16, v91
	v_and_b32_e32 v101, 0xffff, v92
	ds_load_2addr_b32 v[47:48], v100 offset0:64 offset1:96
	v_pk_fma_f16 v57, v97, v102, v57
	v_mul_u32_u24_e32 v99, 0x10001, v99
	v_mul_u32_u24_e32 v91, 0x10001, v91
	v_lshrrev_b32_e32 v92, 16, v92
	v_pk_fma_f16 v97, v97, v90, v103
	v_mul_u32_u24_e32 v90, 0x10001, v101
	v_pk_fma_f16 v49, v98, v99, v49
	v_pk_fma_f16 v99, v98, v91, v89
	s_wait_dscnt 0x1
	v_and_b32_e32 v89, 0xffff, v93
	v_lshrrev_b32_e32 v91, 16, v93
	v_mul_u32_u24_e32 v101, 0x10001, v92
	v_pk_fma_f16 v57, v98, v90, v57
	v_and_b32_e32 v93, 0xffff, v94
	v_mul_u32_u24_e32 v102, 0x10001, v89
	v_mul_u32_u24_e32 v103, 0x10001, v91
	ds_load_b128 v[89:92], v78 offset:800
	v_lshrrev_b32_e32 v94, 16, v94
	v_mul_u32_u24_e32 v93, 0x10001, v93
	v_pk_fma_f16 v101, v98, v101, v97
	ds_load_2addr_b32 v[97:98], v100 offset0:128 offset1:160
	s_wait_dscnt 0x2
	v_pk_fma_f16 v49, v47, v102, v49
	v_mul_u32_u24_e32 v94, 0x10001, v94
	v_pk_fma_f16 v57, v47, v93, v57
	v_and_b32_e32 v93, 0xffff, v95
	v_lshrrev_b32_e32 v95, 16, v95
	v_pk_fma_f16 v99, v47, v103, v99
	v_and_b32_e32 v102, 0xffff, v96
	v_lshrrev_b32_e32 v96, 16, v96
	v_mul_u32_u24_e32 v93, 0x10001, v93
	v_mul_u32_u24_e32 v95, 0x10001, v95
	v_pk_fma_f16 v47, v47, v94, v101
	v_mul_u32_u24_e32 v101, 0x10001, v102
	v_mul_u32_u24_e32 v102, 0x10001, v96
	v_pk_fma_f16 v49, v48, v93, v49
	v_pk_fma_f16 v99, v48, v95, v99
	ds_load_b128 v[93:96], v78 offset:816
	s_wait_dscnt 0x2
	v_and_b32_e32 v103, 0xffff, v89
	v_lshrrev_b32_e32 v89, 16, v89
	v_and_b32_e32 v104, 0xffff, v90
	v_pk_fma_f16 v57, v48, v101, v57
	v_lshrrev_b32_e32 v90, 16, v90
	v_mul_u32_u24_e32 v101, 0x10001, v103
	v_mul_u32_u24_e32 v89, 0x10001, v89
	v_pk_fma_f16 v102, v48, v102, v47
	ds_load_2addr_b32 v[47:48], v100 offset0:192 offset1:224
	v_mul_u32_u24_e32 v103, 0x10001, v104
	v_mul_u32_u24_e32 v90, 0x10001, v90
	s_wait_dscnt 0x2
	v_pk_fma_f16 v89, v97, v89, v99
	v_and_b32_e32 v99, 0xffff, v91
	v_lshrrev_b32_e32 v91, 16, v91
	v_pk_fma_f16 v49, v97, v101, v49
	v_and_b32_e32 v101, 0xffff, v92
	v_lshrrev_b32_e32 v92, 16, v92
	v_pk_fma_f16 v57, v97, v103, v57
	v_mul_u32_u24_e32 v91, 0x10001, v91
	v_mul_u32_u24_e32 v99, 0x10001, v99
	;; [unrolled: 1-line block ×3, first 2 shown]
	v_pk_fma_f16 v90, v97, v90, v102
	v_mul_u32_u24_e32 v92, 0x10001, v92
	v_pk_fma_f16 v97, v98, v91, v89
	s_wait_dscnt 0x1
	v_and_b32_e32 v89, 0xffff, v93
	v_lshrrev_b32_e32 v91, 16, v93
	v_pk_fma_f16 v49, v98, v99, v49
	v_pk_fma_f16 v57, v98, v100, v57
	;; [unrolled: 1-line block ×3, first 2 shown]
	v_and_b32_e32 v98, 0xffff, v94
	v_mul_u32_u24_e32 v99, 0x10001, v89
	v_mul_u32_u24_e32 v100, 0x10001, v91
	ds_load_b128 v[89:92], v78 offset:832
	v_lshrrev_b32_e32 v94, 16, v94
	v_mul_u32_u24_e32 v98, 0x10001, v98
	s_wait_dscnt 0x1
	v_pk_fma_f16 v49, v47, v99, v49
	v_pk_fma_f16 v99, v47, v100, v97
	v_add_nc_u32_e32 v100, 0x3400, v46
	v_and_b32_e32 v101, 0xffff, v95
	v_pk_fma_f16 v57, v47, v98, v57
	v_lshrrev_b32_e32 v95, 16, v95
	v_mul_u32_u24_e32 v94, 0x10001, v94
	ds_load_2addr_b32 v[97:98], v100 offset1:32
	v_and_b32_e32 v102, 0xffff, v96
	v_lshrrev_b32_e32 v96, 16, v96
	v_mul_u32_u24_e32 v101, 0x10001, v101
	v_mul_u32_u24_e32 v95, 0x10001, v95
	v_pk_fma_f16 v47, v47, v94, v93
	v_mul_u32_u24_e32 v102, 0x10001, v102
	v_mul_u32_u24_e32 v103, 0x10001, v96
	v_pk_fma_f16 v49, v48, v101, v49
	v_pk_fma_f16 v99, v48, v95, v99
	ds_load_b128 v[93:96], v78 offset:848
	s_wait_dscnt 0x2
	v_and_b32_e32 v101, 0xffff, v89
	v_lshrrev_b32_e32 v89, 16, v89
	v_and_b32_e32 v104, 0xffff, v90
	v_lshrrev_b32_e32 v90, 16, v90
	v_pk_fma_f16 v57, v48, v102, v57
	v_mul_u32_u24_e32 v101, 0x10001, v101
	v_mul_u32_u24_e32 v89, 0x10001, v89
	;; [unrolled: 1-line block ×3, first 2 shown]
	v_pk_fma_f16 v103, v48, v103, v47
	v_mul_u32_u24_e32 v90, 0x10001, v90
	s_wait_dscnt 0x1
	v_pk_fma_f16 v49, v97, v101, v49
	v_pk_fma_f16 v89, v97, v89, v99
	v_and_b32_e32 v99, 0xffff, v91
	v_lshrrev_b32_e32 v91, 16, v91
	v_and_b32_e32 v101, 0xffff, v92
	ds_load_2addr_b32 v[47:48], v100 offset0:64 offset1:96
	v_pk_fma_f16 v57, v97, v102, v57
	v_mul_u32_u24_e32 v99, 0x10001, v99
	v_mul_u32_u24_e32 v91, 0x10001, v91
	v_lshrrev_b32_e32 v92, 16, v92
	v_pk_fma_f16 v97, v97, v90, v103
	v_mul_u32_u24_e32 v90, 0x10001, v101
	v_pk_fma_f16 v49, v98, v99, v49
	v_pk_fma_f16 v99, v98, v91, v89
	s_wait_dscnt 0x1
	v_and_b32_e32 v89, 0xffff, v93
	v_lshrrev_b32_e32 v91, 16, v93
	v_mul_u32_u24_e32 v101, 0x10001, v92
	v_pk_fma_f16 v57, v98, v90, v57
	v_and_b32_e32 v93, 0xffff, v94
	v_mul_u32_u24_e32 v102, 0x10001, v89
	v_mul_u32_u24_e32 v103, 0x10001, v91
	ds_load_b128 v[89:92], v78 offset:864
	v_lshrrev_b32_e32 v94, 16, v94
	v_mul_u32_u24_e32 v93, 0x10001, v93
	v_pk_fma_f16 v101, v98, v101, v97
	ds_load_2addr_b32 v[97:98], v100 offset0:128 offset1:160
	s_wait_dscnt 0x2
	v_pk_fma_f16 v49, v47, v102, v49
	v_mul_u32_u24_e32 v94, 0x10001, v94
	v_pk_fma_f16 v57, v47, v93, v57
	v_and_b32_e32 v93, 0xffff, v95
	v_lshrrev_b32_e32 v95, 16, v95
	v_pk_fma_f16 v99, v47, v103, v99
	v_and_b32_e32 v102, 0xffff, v96
	v_lshrrev_b32_e32 v96, 16, v96
	v_mul_u32_u24_e32 v93, 0x10001, v93
	v_mul_u32_u24_e32 v95, 0x10001, v95
	v_pk_fma_f16 v47, v47, v94, v101
	v_mul_u32_u24_e32 v101, 0x10001, v102
	v_mul_u32_u24_e32 v102, 0x10001, v96
	v_pk_fma_f16 v49, v48, v93, v49
	v_pk_fma_f16 v99, v48, v95, v99
	ds_load_b128 v[93:96], v78 offset:880
	s_wait_dscnt 0x2
	v_and_b32_e32 v103, 0xffff, v89
	v_lshrrev_b32_e32 v89, 16, v89
	v_and_b32_e32 v104, 0xffff, v90
	v_pk_fma_f16 v57, v48, v101, v57
	v_lshrrev_b32_e32 v90, 16, v90
	v_mul_u32_u24_e32 v101, 0x10001, v103
	v_mul_u32_u24_e32 v89, 0x10001, v89
	v_pk_fma_f16 v102, v48, v102, v47
	ds_load_2addr_b32 v[47:48], v100 offset0:192 offset1:224
	v_mul_u32_u24_e32 v103, 0x10001, v104
	v_mul_u32_u24_e32 v90, 0x10001, v90
	s_wait_dscnt 0x2
	v_pk_fma_f16 v89, v97, v89, v99
	v_and_b32_e32 v99, 0xffff, v91
	v_lshrrev_b32_e32 v91, 16, v91
	v_pk_fma_f16 v49, v97, v101, v49
	v_and_b32_e32 v101, 0xffff, v92
	v_lshrrev_b32_e32 v92, 16, v92
	v_pk_fma_f16 v57, v97, v103, v57
	v_mul_u32_u24_e32 v91, 0x10001, v91
	v_mul_u32_u24_e32 v99, 0x10001, v99
	;; [unrolled: 1-line block ×3, first 2 shown]
	v_pk_fma_f16 v90, v97, v90, v102
	v_mul_u32_u24_e32 v92, 0x10001, v92
	v_pk_fma_f16 v97, v98, v91, v89
	s_wait_dscnt 0x1
	v_and_b32_e32 v89, 0xffff, v93
	v_lshrrev_b32_e32 v91, 16, v93
	v_pk_fma_f16 v49, v98, v99, v49
	v_pk_fma_f16 v57, v98, v100, v57
	;; [unrolled: 1-line block ×3, first 2 shown]
	v_and_b32_e32 v98, 0xffff, v94
	v_mul_u32_u24_e32 v99, 0x10001, v89
	v_mul_u32_u24_e32 v100, 0x10001, v91
	ds_load_b128 v[89:92], v78 offset:896
	v_lshrrev_b32_e32 v94, 16, v94
	v_mul_u32_u24_e32 v98, 0x10001, v98
	s_wait_dscnt 0x1
	v_pk_fma_f16 v49, v47, v99, v49
	v_pk_fma_f16 v99, v47, v100, v97
	v_add_nc_u32_e32 v100, 0x3800, v46
	v_and_b32_e32 v101, 0xffff, v95
	v_pk_fma_f16 v57, v47, v98, v57
	v_lshrrev_b32_e32 v95, 16, v95
	v_mul_u32_u24_e32 v94, 0x10001, v94
	ds_load_2addr_b32 v[97:98], v100 offset1:32
	v_and_b32_e32 v102, 0xffff, v96
	v_lshrrev_b32_e32 v96, 16, v96
	v_mul_u32_u24_e32 v101, 0x10001, v101
	v_mul_u32_u24_e32 v95, 0x10001, v95
	v_pk_fma_f16 v47, v47, v94, v93
	v_mul_u32_u24_e32 v102, 0x10001, v102
	v_mul_u32_u24_e32 v103, 0x10001, v96
	v_pk_fma_f16 v49, v48, v101, v49
	v_pk_fma_f16 v99, v48, v95, v99
	ds_load_b128 v[93:96], v78 offset:912
	s_wait_dscnt 0x2
	v_and_b32_e32 v101, 0xffff, v89
	v_lshrrev_b32_e32 v89, 16, v89
	v_and_b32_e32 v104, 0xffff, v90
	v_lshrrev_b32_e32 v90, 16, v90
	v_pk_fma_f16 v57, v48, v102, v57
	v_mul_u32_u24_e32 v101, 0x10001, v101
	v_mul_u32_u24_e32 v89, 0x10001, v89
	;; [unrolled: 1-line block ×3, first 2 shown]
	v_pk_fma_f16 v103, v48, v103, v47
	v_mul_u32_u24_e32 v90, 0x10001, v90
	s_wait_dscnt 0x1
	v_pk_fma_f16 v49, v97, v101, v49
	v_pk_fma_f16 v89, v97, v89, v99
	v_and_b32_e32 v99, 0xffff, v91
	v_lshrrev_b32_e32 v91, 16, v91
	v_and_b32_e32 v101, 0xffff, v92
	ds_load_2addr_b32 v[47:48], v100 offset0:64 offset1:96
	v_pk_fma_f16 v57, v97, v102, v57
	v_mul_u32_u24_e32 v99, 0x10001, v99
	v_mul_u32_u24_e32 v91, 0x10001, v91
	v_lshrrev_b32_e32 v92, 16, v92
	v_pk_fma_f16 v97, v97, v90, v103
	v_mul_u32_u24_e32 v90, 0x10001, v101
	v_pk_fma_f16 v49, v98, v99, v49
	v_pk_fma_f16 v99, v98, v91, v89
	s_wait_dscnt 0x1
	v_and_b32_e32 v89, 0xffff, v93
	v_lshrrev_b32_e32 v91, 16, v93
	v_mul_u32_u24_e32 v101, 0x10001, v92
	v_pk_fma_f16 v57, v98, v90, v57
	v_and_b32_e32 v93, 0xffff, v94
	v_mul_u32_u24_e32 v102, 0x10001, v89
	v_mul_u32_u24_e32 v103, 0x10001, v91
	ds_load_b128 v[89:92], v78 offset:928
	v_lshrrev_b32_e32 v94, 16, v94
	v_mul_u32_u24_e32 v93, 0x10001, v93
	v_pk_fma_f16 v101, v98, v101, v97
	ds_load_2addr_b32 v[97:98], v100 offset0:128 offset1:160
	s_wait_dscnt 0x2
	v_pk_fma_f16 v49, v47, v102, v49
	v_mul_u32_u24_e32 v94, 0x10001, v94
	v_pk_fma_f16 v57, v47, v93, v57
	v_and_b32_e32 v93, 0xffff, v95
	v_lshrrev_b32_e32 v95, 16, v95
	v_pk_fma_f16 v99, v47, v103, v99
	v_and_b32_e32 v102, 0xffff, v96
	v_lshrrev_b32_e32 v96, 16, v96
	v_mul_u32_u24_e32 v93, 0x10001, v93
	v_mul_u32_u24_e32 v95, 0x10001, v95
	v_pk_fma_f16 v47, v47, v94, v101
	v_mul_u32_u24_e32 v101, 0x10001, v102
	v_mul_u32_u24_e32 v102, 0x10001, v96
	v_pk_fma_f16 v49, v48, v93, v49
	v_pk_fma_f16 v99, v48, v95, v99
	ds_load_b128 v[93:96], v78 offset:944
	s_wait_dscnt 0x2
	v_and_b32_e32 v103, 0xffff, v89
	v_lshrrev_b32_e32 v89, 16, v89
	v_and_b32_e32 v104, 0xffff, v90
	v_pk_fma_f16 v57, v48, v101, v57
	v_lshrrev_b32_e32 v90, 16, v90
	v_mul_u32_u24_e32 v101, 0x10001, v103
	v_mul_u32_u24_e32 v89, 0x10001, v89
	v_pk_fma_f16 v102, v48, v102, v47
	ds_load_2addr_b32 v[47:48], v100 offset0:192 offset1:224
	v_mul_u32_u24_e32 v103, 0x10001, v104
	v_mul_u32_u24_e32 v90, 0x10001, v90
	s_wait_dscnt 0x2
	v_pk_fma_f16 v89, v97, v89, v99
	v_and_b32_e32 v99, 0xffff, v91
	v_lshrrev_b32_e32 v91, 16, v91
	v_pk_fma_f16 v49, v97, v101, v49
	v_and_b32_e32 v101, 0xffff, v92
	v_lshrrev_b32_e32 v92, 16, v92
	v_pk_fma_f16 v57, v97, v103, v57
	v_mul_u32_u24_e32 v91, 0x10001, v91
	v_mul_u32_u24_e32 v99, 0x10001, v99
	;; [unrolled: 1-line block ×3, first 2 shown]
	v_pk_fma_f16 v90, v97, v90, v102
	v_mul_u32_u24_e32 v92, 0x10001, v92
	v_pk_fma_f16 v97, v98, v91, v89
	s_wait_dscnt 0x1
	v_and_b32_e32 v89, 0xffff, v93
	v_lshrrev_b32_e32 v91, 16, v93
	v_pk_fma_f16 v49, v98, v99, v49
	v_pk_fma_f16 v57, v98, v100, v57
	;; [unrolled: 1-line block ×3, first 2 shown]
	v_and_b32_e32 v98, 0xffff, v94
	v_mul_u32_u24_e32 v99, 0x10001, v89
	v_mul_u32_u24_e32 v100, 0x10001, v91
	ds_load_b128 v[89:92], v78 offset:960
	v_lshrrev_b32_e32 v94, 16, v94
	v_mul_u32_u24_e32 v98, 0x10001, v98
	s_wait_dscnt 0x1
	v_pk_fma_f16 v49, v47, v99, v49
	v_pk_fma_f16 v99, v47, v100, v97
	v_add_nc_u32_e32 v100, 0x3c00, v46
	v_and_b32_e32 v101, 0xffff, v95
	v_pk_fma_f16 v57, v47, v98, v57
	v_lshrrev_b32_e32 v95, 16, v95
	v_mul_u32_u24_e32 v94, 0x10001, v94
	ds_load_2addr_b32 v[97:98], v100 offset1:32
	v_and_b32_e32 v102, 0xffff, v96
	v_lshrrev_b32_e32 v96, 16, v96
	v_mul_u32_u24_e32 v101, 0x10001, v101
	v_mul_u32_u24_e32 v95, 0x10001, v95
	v_pk_fma_f16 v47, v47, v94, v93
	v_mul_u32_u24_e32 v102, 0x10001, v102
	v_mul_u32_u24_e32 v103, 0x10001, v96
	v_pk_fma_f16 v49, v48, v101, v49
	v_pk_fma_f16 v99, v48, v95, v99
	ds_load_b128 v[93:96], v78 offset:976
	s_wait_dscnt 0x2
	v_and_b32_e32 v101, 0xffff, v89
	v_lshrrev_b32_e32 v89, 16, v89
	v_and_b32_e32 v104, 0xffff, v90
	v_lshrrev_b32_e32 v90, 16, v90
	v_pk_fma_f16 v57, v48, v102, v57
	v_mul_u32_u24_e32 v101, 0x10001, v101
	v_mul_u32_u24_e32 v89, 0x10001, v89
	v_mul_u32_u24_e32 v102, 0x10001, v104
	v_pk_fma_f16 v103, v48, v103, v47
	v_mul_u32_u24_e32 v90, 0x10001, v90
	s_wait_dscnt 0x1
	v_pk_fma_f16 v49, v97, v101, v49
	v_pk_fma_f16 v89, v97, v89, v99
	v_and_b32_e32 v99, 0xffff, v91
	v_lshrrev_b32_e32 v91, 16, v91
	v_and_b32_e32 v101, 0xffff, v92
	ds_load_2addr_b32 v[47:48], v100 offset0:64 offset1:96
	v_pk_fma_f16 v57, v97, v102, v57
	v_mul_u32_u24_e32 v99, 0x10001, v99
	v_mul_u32_u24_e32 v91, 0x10001, v91
	v_lshrrev_b32_e32 v92, 16, v92
	v_pk_fma_f16 v97, v97, v90, v103
	v_mul_u32_u24_e32 v90, 0x10001, v101
	v_pk_fma_f16 v49, v98, v99, v49
	v_pk_fma_f16 v99, v98, v91, v89
	s_wait_dscnt 0x1
	v_and_b32_e32 v89, 0xffff, v93
	v_lshrrev_b32_e32 v91, 16, v93
	v_mul_u32_u24_e32 v101, 0x10001, v92
	v_pk_fma_f16 v57, v98, v90, v57
	v_and_b32_e32 v93, 0xffff, v94
	v_mul_u32_u24_e32 v102, 0x10001, v89
	v_mul_u32_u24_e32 v103, 0x10001, v91
	ds_load_b128 v[89:92], v78 offset:992
	v_lshrrev_b32_e32 v94, 16, v94
	v_mul_u32_u24_e32 v93, 0x10001, v93
	v_pk_fma_f16 v101, v98, v101, v97
	ds_load_2addr_b32 v[97:98], v100 offset0:128 offset1:160
	s_wait_dscnt 0x2
	v_pk_fma_f16 v49, v47, v102, v49
	v_mul_u32_u24_e32 v94, 0x10001, v94
	v_pk_fma_f16 v57, v47, v93, v57
	v_and_b32_e32 v93, 0xffff, v95
	v_lshrrev_b32_e32 v95, 16, v95
	v_pk_fma_f16 v99, v47, v103, v99
	v_and_b32_e32 v102, 0xffff, v96
	v_lshrrev_b32_e32 v96, 16, v96
	v_mul_u32_u24_e32 v93, 0x10001, v93
	v_mul_u32_u24_e32 v95, 0x10001, v95
	v_pk_fma_f16 v47, v47, v94, v101
	v_mul_u32_u24_e32 v101, 0x10001, v102
	v_mul_u32_u24_e32 v102, 0x10001, v96
	v_pk_fma_f16 v49, v48, v93, v49
	v_pk_fma_f16 v99, v48, v95, v99
	ds_load_b128 v[93:96], v78 offset:1008
	s_wait_dscnt 0x2
	v_and_b32_e32 v103, 0xffff, v89
	v_lshrrev_b32_e32 v89, 16, v89
	v_and_b32_e32 v104, 0xffff, v90
	v_lshrrev_b32_e32 v90, 16, v90
	v_pk_fma_f16 v57, v48, v101, v57
	v_mul_u32_u24_e32 v101, 0x10001, v103
	v_mul_u32_u24_e32 v89, 0x10001, v89
	;; [unrolled: 1-line block ×3, first 2 shown]
	v_pk_fma_f16 v47, v48, v102, v47
	v_mul_u32_u24_e32 v48, 0x10001, v90
	v_lshrrev_b32_e32 v90, 16, v91
	s_wait_dscnt 0x1
	v_pk_fma_f16 v99, v97, v89, v99
	v_and_b32_e32 v89, 0xffff, v91
	v_pk_fma_f16 v49, v97, v101, v49
	v_pk_fma_f16 v57, v97, v103, v57
	;; [unrolled: 1-line block ×3, first 2 shown]
	v_and_b32_e32 v48, 0xffff, v92
	v_lshrrev_b32_e32 v91, 16, v92
	v_mul_u32_u24_e32 v92, 0x10001, v89
	v_mul_u32_u24_e32 v97, 0x10001, v90
	ds_load_2addr_b32 v[89:90], v100 offset0:192 offset1:224
	v_mul_u32_u24_e32 v48, 0x10001, v48
	s_wait_loadcnt_dscnt 0x0
	s_barrier_signal -1
	s_barrier_wait -1
	global_inv scope:SCOPE_SE
	s_load_b32 s11, s[6:7], 0x4
	v_mul_u32_u24_e32 v91, 0x10001, v91
	v_pk_fma_f16 v49, v98, v92, v49
	v_and_b32_e32 v92, 0xffff, v93
	v_pk_fma_f16 v48, v98, v48, v57
	v_lshrrev_b32_e32 v57, 16, v93
	v_lshrrev_b32_e32 v93, 16, v94
	v_and_b32_e32 v94, 0xffff, v94
	v_mul_u32_u24_e32 v92, 0x10001, v92
	v_pk_fma_f16 v47, v98, v91, v47
	v_pk_fma_f16 v97, v98, v97, v99
	v_mul_u32_u24_e32 v57, 0x10001, v57
	v_mul_u32_u24_e32 v91, 0x10001, v94
	;; [unrolled: 1-line block ×3, first 2 shown]
	v_pk_fma_f16 v49, v89, v92, v49
	v_and_b32_e32 v92, 0xffff, v95
	v_lshrrev_b32_e32 v94, 16, v95
	v_and_b32_e32 v95, 0xffff, v96
	v_pk_fma_f16 v91, v89, v91, v48
	v_lshrrev_b32_e32 v48, 16, v96
	v_pk_fma_f16 v57, v89, v57, v97
	v_mul_u32_u24_e32 v92, 0x10001, v92
	v_mul_u32_u24_e32 v94, 0x10001, v94
	;; [unrolled: 1-line block ×3, first 2 shown]
	v_pk_fma_f16 v89, v89, v93, v47
	v_mul_u32_u24_e32 v93, 0x10001, v48
	s_wait_kmcnt 0x0
	s_lshl_b32 s11, s11, 7
	v_pk_fma_f16 v49, v90, v92, v49
	v_pk_fma_f16 v48, v90, v94, v57
	;; [unrolled: 1-line block ×4, first 2 shown]
	s_add_co_i32 s28, s11, s28
	s_wait_alu 0xfffe
	s_cmp_lt_i32 s28, s3
	s_cbranch_scc0 .LBB59_44
; %bb.42:                               ;   in Loop: Header=BB59_8 Depth=1
	v_dual_mov_b32 v96, v4 :: v_dual_mov_b32 v91, v7
	v_dual_mov_b32 v94, v5 :: v_dual_mov_b32 v95, v61
	;; [unrolled: 1-line block ×4, first 2 shown]
	s_branch .LBB59_8
.LBB59_43:
	v_dual_mov_b32 v4, 0xfeffffff :: v_dual_mov_b32 v49, 0
	v_mov_b32_e32 v62, 0
	v_dual_mov_b32 v60, 0 :: v_dual_mov_b32 v61, 0
	s_delay_alu instid0(VALU_DEP_3)
	v_dual_mov_b32 v5, v4 :: v_dual_mov_b32 v6, v4
	v_dual_mov_b32 v7, v4 :: v_dual_mov_b32 v48, 0
	v_mov_b32_e32 v47, 0
	v_mov_b32_e32 v57, 0
.LBB59_44:
	v_lshlrev_b32_e32 v14, 1, v44
	s_cmp_gt_i32 s2, s28
	s_cbranch_scc1 .LBB59_47
; %bb.45:
	v_mbcnt_lo_u32_b32 v0, -1, 0
	v_mov_b32_e32 v15, 32
	s_delay_alu instid0(VALU_DEP_2)
	v_xor_b32_e32 v16, 16, v0
	v_xor_b32_e32 v13, 8, v0
	;; [unrolled: 1-line block ×5, first 2 shown]
	s_cbranch_execz .LBB59_48
; %bb.46:
	v_mov_b32_e32 v45, v0
	s_branch .LBB59_128
.LBB59_47:
                                        ; implicit-def: $vgpr0
                                        ; implicit-def: $vgpr15
                                        ; implicit-def: $vgpr16
                                        ; implicit-def: $vgpr13
                                        ; implicit-def: $vgpr12
                                        ; implicit-def: $vgpr11
                                        ; implicit-def: $vgpr10
.LBB59_48:
	s_ashr_i32 s29, s28, 31
	s_ashr_i32 s9, s8, 31
	s_mov_b32 s40, 0
	s_wait_alu 0xfffe
	s_mul_u64 s[6:7], s[28:29], s[8:9]
	s_mov_b32 s41, s40
	s_mov_b32 s42, s40
	v_add_nc_u32_e32 v18, v63, v41
	s_sub_co_i32 s19, s2, s28
	s_wait_alu 0xfffe
	s_lshl_b64 s[2:3], s[6:7], 2
	v_dual_mov_b32 v63, 0 :: v_dual_and_b32 v2, 28, v46
	s_add_nc_u64 s[12:13], s[4:5], s[2:3]
	s_lshl_b32 s2, s8, 4
	v_dual_mov_b32 v8, s40 :: v_dual_mov_b32 v9, s41
	v_mul_lo_u32 v11, s8, v18
	v_dual_mov_b32 v26, 0 :: v_dual_lshlrev_b32 v17, 2, v2
	v_cmp_gt_i32_e64 s9, s19, v18
	s_mov_b64 s[10:11], src_private_base
	v_dual_mov_b32 v10, s42 :: v_dual_add_nc_u32 v19, 16, v18
	v_mad_u32_u24 v15, 0x90, v18, v17
	v_ashrrev_i32_e32 v12, 31, v11
	v_dual_mov_b32 v29, 0 :: v_dual_add_nc_u32 v20, 32, v18
	s_delay_alu instid0(VALU_DEP_4) | instskip(SKIP_1) | instid1(VALU_DEP_4)
	v_cmp_gt_i32_e64 s8, s19, v19
	v_dual_mov_b32 v28, 0 :: v_dual_add_nc_u32 v21, 48, v18
	v_lshlrev_b64_e32 v[0:1], 2, v[11:12]
	v_add_nc_u32_e32 v11, s2, v11
	s_clause 0x1
	scratch_store_b32 off, v26, off
	scratch_store_b96 off, v[8:10], off offset:4
	v_mov_b32_e32 v32, 0
	v_cmp_gt_i32_e64 s7, s19, v20
	v_cmp_gt_i32_e64 s6, s19, v21
	s_wait_alu 0xfffe
	v_add_co_u32 v0, vcc_lo, s12, v0
	s_wait_alu 0xfffd
	v_add_co_ci_u32_e64 v1, null, s13, v1, vcc_lo
	v_ashrrev_i32_e32 v12, 31, v11
	s_delay_alu instid0(VALU_DEP_3) | instskip(SKIP_1) | instid1(VALU_DEP_3)
	v_add_co_u32 v0, vcc_lo, v0, v17
	s_wait_alu 0xfffd
	v_add_co_ci_u32_e64 v1, null, 0, v1, vcc_lo
	s_delay_alu instid0(VALU_DEP_3)
	v_lshlrev_b64_e32 v[12:13], 2, v[11:12]
	s_wait_alu 0xf1ff
	v_cndmask_b32_e64 v0, 0, v0, s9
	v_add_nc_u32_e32 v11, s2, v11
	v_cndmask_b32_e64 v1, s11, v1, s9
	v_dual_mov_b32 v27, 0 :: v_dual_add_nc_u32 v22, 64, v18
	v_add_co_u32 v12, vcc_lo, s12, v12
	flat_load_b128 v[0:3], v[0:1]
	s_wait_alu 0xfffd
	v_add_co_ci_u32_e64 v13, null, s13, v13, vcc_lo
	v_add_co_u32 v12, vcc_lo, v12, v17
	s_clause 0x1
	scratch_store_b32 off, v26, off
	scratch_store_b96 off, v[8:10], off offset:4
	s_wait_alu 0xfffd
	v_add_co_ci_u32_e64 v13, null, 0, v13, vcc_lo
	v_cndmask_b32_e64 v12, 0, v12, s8
	v_cmp_gt_i32_e64 s5, s19, v22
	v_dual_mov_b32 v68, 0 :: v_dual_add_nc_u32 v23, 0x50, v18
	s_delay_alu instid0(VALU_DEP_4) | instskip(SKIP_1) | instid1(VALU_DEP_3)
	v_cndmask_b32_e64 v13, s11, v13, s8
	v_dual_mov_b32 v65, 0 :: v_dual_add_nc_u32 v24, 0x60, v18
	v_cmp_gt_i32_e64 s4, s19, v23
	v_add_nc_u32_e32 v25, 0x70, v18
	v_mov_b32_e32 v31, 0
	s_delay_alu instid0(VALU_DEP_4)
	v_cmp_gt_i32_e64 s3, s19, v24
	v_mov_b32_e32 v67, 0
	v_mov_b32_e32 v33, 0
	;; [unrolled: 1-line block ×3, first 2 shown]
	s_cmp_lg_u64 s[38:39], 0
	v_cmp_gt_i32_e64 s10, s19, v44
	v_mov_b32_e32 v34, 0
	v_mov_b32_e32 v64, 0
	;; [unrolled: 1-line block ×4, first 2 shown]
	s_wait_loadcnt_dscnt 0x0
	ds_store_b128 v15, v[0:3]
	flat_load_b128 v[0:3], v[12:13]
	v_ashrrev_i32_e32 v12, 31, v11
	s_clause 0x1
	scratch_store_b32 off, v26, off
	scratch_store_b96 off, v[8:10], off offset:4
	v_lshlrev_b64_e32 v[12:13], 2, v[11:12]
	v_add_nc_u32_e32 v11, s2, v11
	s_delay_alu instid0(VALU_DEP_2) | instskip(SKIP_1) | instid1(VALU_DEP_3)
	v_add_co_u32 v12, vcc_lo, s12, v12
	s_wait_alu 0xfffd
	v_add_co_ci_u32_e64 v13, null, s13, v13, vcc_lo
	s_delay_alu instid0(VALU_DEP_2) | instskip(SKIP_1) | instid1(VALU_DEP_2)
	v_add_co_u32 v12, vcc_lo, v12, v17
	s_wait_alu 0xfffd
	v_add_co_ci_u32_e64 v13, null, 0, v13, vcc_lo
	s_delay_alu instid0(VALU_DEP_2) | instskip(NEXT) | instid1(VALU_DEP_2)
	v_cndmask_b32_e64 v12, 0, v12, s7
	v_cndmask_b32_e64 v13, s11, v13, s7
	s_wait_loadcnt_dscnt 0x0
	ds_store_b128 v15, v[0:3] offset:2304
	flat_load_b128 v[0:3], v[12:13]
	v_ashrrev_i32_e32 v12, 31, v11
	s_clause 0x1
	scratch_store_b32 off, v26, off
	scratch_store_b96 off, v[8:10], off offset:4
	v_lshlrev_b64_e32 v[12:13], 2, v[11:12]
	v_add_nc_u32_e32 v11, s2, v11
	s_delay_alu instid0(VALU_DEP_2) | instskip(SKIP_1) | instid1(VALU_DEP_3)
	v_add_co_u32 v12, vcc_lo, s12, v12
	s_wait_alu 0xfffd
	v_add_co_ci_u32_e64 v13, null, s13, v13, vcc_lo
	s_delay_alu instid0(VALU_DEP_2) | instskip(SKIP_1) | instid1(VALU_DEP_2)
	v_add_co_u32 v12, vcc_lo, v12, v17
	s_wait_alu 0xfffd
	v_add_co_ci_u32_e64 v13, null, 0, v13, vcc_lo
	s_delay_alu instid0(VALU_DEP_2) | instskip(NEXT) | instid1(VALU_DEP_2)
	v_cndmask_b32_e64 v12, 0, v12, s6
	v_cndmask_b32_e64 v13, s11, v13, s6
	s_wait_loadcnt_dscnt 0x0
	ds_store_b128 v15, v[0:3] offset:4608
	;; [unrolled: 20-line block ×4, first 2 shown]
	flat_load_b128 v[0:3], v[12:13]
	v_ashrrev_i32_e32 v12, 31, v11
	s_clause 0x1
	scratch_store_b32 off, v26, off
	scratch_store_b96 off, v[8:10], off offset:4
	v_lshlrev_b64_e32 v[12:13], 2, v[11:12]
	v_add_nc_u32_e32 v11, s2, v11
	v_cmp_gt_i32_e64 s2, s19, v25
	s_delay_alu instid0(VALU_DEP_3) | instskip(SKIP_1) | instid1(VALU_DEP_4)
	v_add_co_u32 v12, vcc_lo, s12, v12
	s_wait_alu 0xfffd
	v_add_co_ci_u32_e64 v13, null, s13, v13, vcc_lo
	s_delay_alu instid0(VALU_DEP_2) | instskip(SKIP_1) | instid1(VALU_DEP_2)
	v_add_co_u32 v12, vcc_lo, v12, v17
	s_wait_alu 0xfffd
	v_add_co_ci_u32_e64 v13, null, 0, v13, vcc_lo
	s_delay_alu instid0(VALU_DEP_2) | instskip(NEXT) | instid1(VALU_DEP_2)
	v_cndmask_b32_e64 v12, 0, v12, s3
	v_cndmask_b32_e64 v13, s11, v13, s3
	s_wait_loadcnt_dscnt 0x0
	ds_store_b128 v15, v[0:3] offset:11520
	flat_load_b128 v[0:3], v[12:13]
	v_ashrrev_i32_e32 v12, 31, v11
	s_clause 0x1
	scratch_store_b32 off, v26, off
	scratch_store_b96 off, v[8:10], off offset:4
	v_lshlrev_b64_e32 v[11:12], 2, v[11:12]
	s_delay_alu instid0(VALU_DEP_1) | instskip(SKIP_1) | instid1(VALU_DEP_2)
	v_add_co_u32 v11, vcc_lo, s12, v11
	s_wait_alu 0xfffd
	v_add_co_ci_u32_e64 v12, null, s13, v12, vcc_lo
	s_delay_alu instid0(VALU_DEP_2) | instskip(SKIP_1) | instid1(VALU_DEP_2)
	v_add_co_u32 v11, vcc_lo, v11, v17
	s_wait_alu 0xfffd
	v_add_co_ci_u32_e64 v12, null, 0, v12, vcc_lo
	s_wait_alu 0xf1ff
	s_delay_alu instid0(VALU_DEP_2) | instskip(NEXT) | instid1(VALU_DEP_2)
	v_cndmask_b32_e64 v11, 0, v11, s2
	v_cndmask_b32_e64 v12, s11, v12, s2
	s_cselect_b32 s11, -1, 0
	s_wait_loadcnt_dscnt 0x0
	ds_store_b128 v15, v[0:3] offset:13824
	flat_load_b128 v[0:3], v[11:12]
	s_wait_loadcnt_dscnt 0x0
	ds_store_b128 v15, v[0:3] offset:16128
	s_wait_storecnt_dscnt 0x0
	s_barrier_signal -1
	s_barrier_wait -1
	global_inv scope:SCOPE_SE
	ds_load_b128 v[0:3], v58
	ds_load_b128 v[8:11], v56 offset:22528
	ds_load_b128 v[69:72], v56 offset:22656
	;; [unrolled: 1-line block ×7, first 2 shown]
	s_wait_dscnt 0x6
	;;#ASMSTART
	v_dot2_f32_f16 v63, v0, v8, v63
	;;#ASMEND
	;;#ASMSTART
	v_dot2_f32_f16 v63, v1, v9, v63
	;;#ASMEND
	;;#ASMSTART
	v_dot2_f32_f16 v63, v2, v10, v63
	;;#ASMEND
	;;#ASMSTART
	v_dot2_f32_f16 v63, v3, v11, v63
	;;#ASMEND
	s_wait_dscnt 0x5
	;;#ASMSTART
	v_dot2_f32_f16 v32, v0, v69, v32
	;;#ASMEND
	;;#ASMSTART
	v_dot2_f32_f16 v32, v1, v70, v32
	;;#ASMEND
	;;#ASMSTART
	v_dot2_f32_f16 v32, v2, v71, v32
	;;#ASMEND
	;;#ASMSTART
	v_dot2_f32_f16 v32, v3, v72, v32
	;;#ASMEND
	;; [unrolled: 13-line block ×5, first 2 shown]
	;;#ASMSTART
	v_dot2_f32_f16 v34, v81, v69, v34
	;;#ASMEND
	;;#ASMSTART
	v_dot2_f32_f16 v34, v82, v70, v34
	;;#ASMEND
	;; [unrolled: 3-line block ×12, first 2 shown]
	s_wait_dscnt 0x1
	;;#ASMSTART
	v_dot2_f32_f16 v67, v85, v8, v67
	;;#ASMEND
	;;#ASMSTART
	v_dot2_f32_f16 v67, v86, v9, v67
	;;#ASMEND
	;; [unrolled: 3-line block ×16, first 2 shown]
	s_wait_dscnt 0x0
	;;#ASMSTART
	v_dot2_f32_f16 v68, v89, v8, v68
	;;#ASMEND
	;;#ASMSTART
	v_dot2_f32_f16 v68, v90, v9, v68
	;;#ASMEND
	;; [unrolled: 3-line block ×16, first 2 shown]
	ds_load_b128 v[0:3], v58 offset:16
	ds_load_b128 v[8:11], v56 offset:22544
	;; [unrolled: 1-line block ×8, first 2 shown]
	s_wait_dscnt 0x6
	;;#ASMSTART
	v_dot2_f32_f16 v63, v0, v8, v63
	;;#ASMEND
	;;#ASMSTART
	v_dot2_f32_f16 v63, v1, v9, v63
	;;#ASMEND
	;;#ASMSTART
	v_dot2_f32_f16 v63, v2, v10, v63
	;;#ASMEND
	;;#ASMSTART
	v_dot2_f32_f16 v63, v3, v11, v63
	;;#ASMEND
	s_wait_dscnt 0x5
	;;#ASMSTART
	v_dot2_f32_f16 v32, v0, v69, v32
	;;#ASMEND
	;;#ASMSTART
	v_dot2_f32_f16 v32, v1, v70, v32
	;;#ASMEND
	;;#ASMSTART
	v_dot2_f32_f16 v32, v2, v71, v32
	;;#ASMEND
	;;#ASMSTART
	v_dot2_f32_f16 v32, v3, v72, v32
	;;#ASMEND
	;; [unrolled: 13-line block ×5, first 2 shown]
	;;#ASMSTART
	v_dot2_f32_f16 v34, v81, v69, v34
	;;#ASMEND
	;;#ASMSTART
	v_dot2_f32_f16 v34, v82, v70, v34
	;;#ASMEND
	;; [unrolled: 3-line block ×12, first 2 shown]
	s_wait_dscnt 0x1
	;;#ASMSTART
	v_dot2_f32_f16 v67, v85, v8, v67
	;;#ASMEND
	;;#ASMSTART
	v_dot2_f32_f16 v67, v86, v9, v67
	;;#ASMEND
	;; [unrolled: 3-line block ×16, first 2 shown]
	s_wait_dscnt 0x0
	;;#ASMSTART
	v_dot2_f32_f16 v68, v89, v8, v68
	;;#ASMEND
	;;#ASMSTART
	v_dot2_f32_f16 v68, v90, v9, v68
	;;#ASMEND
	;; [unrolled: 3-line block ×16, first 2 shown]
	ds_load_b128 v[0:3], v58 offset:32
	ds_load_b128 v[8:11], v56 offset:22560
	;; [unrolled: 1-line block ×8, first 2 shown]
	s_wait_dscnt 0x6
	;;#ASMSTART
	v_dot2_f32_f16 v63, v0, v8, v63
	;;#ASMEND
	;;#ASMSTART
	v_dot2_f32_f16 v63, v1, v9, v63
	;;#ASMEND
	;;#ASMSTART
	v_dot2_f32_f16 v63, v2, v10, v63
	;;#ASMEND
	;;#ASMSTART
	v_dot2_f32_f16 v63, v3, v11, v63
	;;#ASMEND
	s_wait_dscnt 0x5
	;;#ASMSTART
	v_dot2_f32_f16 v32, v0, v69, v32
	;;#ASMEND
	;;#ASMSTART
	v_dot2_f32_f16 v32, v1, v70, v32
	;;#ASMEND
	;;#ASMSTART
	v_dot2_f32_f16 v32, v2, v71, v32
	;;#ASMEND
	;;#ASMSTART
	v_dot2_f32_f16 v32, v3, v72, v32
	;;#ASMEND
	;; [unrolled: 13-line block ×5, first 2 shown]
	;;#ASMSTART
	v_dot2_f32_f16 v34, v81, v69, v34
	;;#ASMEND
	;;#ASMSTART
	v_dot2_f32_f16 v34, v82, v70, v34
	;;#ASMEND
	;; [unrolled: 3-line block ×12, first 2 shown]
	s_wait_dscnt 0x1
	;;#ASMSTART
	v_dot2_f32_f16 v67, v85, v8, v67
	;;#ASMEND
	;;#ASMSTART
	v_dot2_f32_f16 v67, v86, v9, v67
	;;#ASMEND
	;; [unrolled: 3-line block ×16, first 2 shown]
	s_wait_dscnt 0x0
	;;#ASMSTART
	v_dot2_f32_f16 v68, v89, v8, v68
	;;#ASMEND
	;;#ASMSTART
	v_dot2_f32_f16 v68, v90, v9, v68
	;;#ASMEND
	;; [unrolled: 3-line block ×16, first 2 shown]
	ds_load_b128 v[0:3], v58 offset:48
	ds_load_b128 v[8:11], v56 offset:22576
	ds_load_b128 v[69:72], v56 offset:22704
	ds_load_b128 v[73:76], v56 offset:22832
	ds_load_b128 v[77:80], v56 offset:22960
	ds_load_b128 v[81:84], v58 offset:4656
	ds_load_b128 v[85:88], v58 offset:9264
	ds_load_b128 v[89:92], v58 offset:13872
	s_wait_dscnt 0x6
	;;#ASMSTART
	v_dot2_f32_f16 v63, v0, v8, v63
	;;#ASMEND
	;;#ASMSTART
	v_dot2_f32_f16 v63, v1, v9, v63
	;;#ASMEND
	;;#ASMSTART
	v_dot2_f32_f16 v63, v2, v10, v63
	;;#ASMEND
	;;#ASMSTART
	v_dot2_f32_f16 v63, v3, v11, v63
	;;#ASMEND
	s_wait_dscnt 0x5
	;;#ASMSTART
	v_dot2_f32_f16 v32, v0, v69, v32
	;;#ASMEND
	;;#ASMSTART
	v_dot2_f32_f16 v32, v1, v70, v32
	;;#ASMEND
	;;#ASMSTART
	v_dot2_f32_f16 v32, v2, v71, v32
	;;#ASMEND
	;;#ASMSTART
	v_dot2_f32_f16 v32, v3, v72, v32
	;;#ASMEND
	;; [unrolled: 13-line block ×5, first 2 shown]
	;;#ASMSTART
	v_dot2_f32_f16 v34, v81, v69, v34
	;;#ASMEND
	;;#ASMSTART
	v_dot2_f32_f16 v34, v82, v70, v34
	;;#ASMEND
	;; [unrolled: 3-line block ×12, first 2 shown]
	s_wait_dscnt 0x1
	;;#ASMSTART
	v_dot2_f32_f16 v67, v85, v8, v67
	;;#ASMEND
	;;#ASMSTART
	v_dot2_f32_f16 v67, v86, v9, v67
	;;#ASMEND
	;; [unrolled: 3-line block ×16, first 2 shown]
	s_wait_dscnt 0x0
	;;#ASMSTART
	v_dot2_f32_f16 v68, v89, v8, v68
	;;#ASMEND
	;;#ASMSTART
	v_dot2_f32_f16 v68, v90, v9, v68
	;;#ASMEND
	;; [unrolled: 3-line block ×16, first 2 shown]
	ds_load_b128 v[0:3], v58 offset:64
	ds_load_b128 v[8:11], v56 offset:22592
	;; [unrolled: 1-line block ×8, first 2 shown]
	s_wait_dscnt 0x6
	;;#ASMSTART
	v_dot2_f32_f16 v63, v0, v8, v63
	;;#ASMEND
	;;#ASMSTART
	v_dot2_f32_f16 v63, v1, v9, v63
	;;#ASMEND
	;;#ASMSTART
	v_dot2_f32_f16 v63, v2, v10, v63
	;;#ASMEND
	;;#ASMSTART
	v_dot2_f32_f16 v63, v3, v11, v63
	;;#ASMEND
	s_wait_dscnt 0x5
	;;#ASMSTART
	v_dot2_f32_f16 v32, v0, v69, v32
	;;#ASMEND
	;;#ASMSTART
	v_dot2_f32_f16 v32, v1, v70, v32
	;;#ASMEND
	;;#ASMSTART
	v_dot2_f32_f16 v32, v2, v71, v32
	;;#ASMEND
	;;#ASMSTART
	v_dot2_f32_f16 v32, v3, v72, v32
	;;#ASMEND
	;; [unrolled: 13-line block ×5, first 2 shown]
	;;#ASMSTART
	v_dot2_f32_f16 v34, v81, v69, v34
	;;#ASMEND
	;;#ASMSTART
	v_dot2_f32_f16 v34, v82, v70, v34
	;;#ASMEND
	;; [unrolled: 3-line block ×12, first 2 shown]
	s_wait_dscnt 0x1
	;;#ASMSTART
	v_dot2_f32_f16 v67, v85, v8, v67
	;;#ASMEND
	;;#ASMSTART
	v_dot2_f32_f16 v67, v86, v9, v67
	;;#ASMEND
	;; [unrolled: 3-line block ×16, first 2 shown]
	s_wait_dscnt 0x0
	;;#ASMSTART
	v_dot2_f32_f16 v68, v89, v8, v68
	;;#ASMEND
	;;#ASMSTART
	v_dot2_f32_f16 v68, v90, v9, v68
	;;#ASMEND
	;; [unrolled: 3-line block ×16, first 2 shown]
	ds_load_b128 v[0:3], v58 offset:80
	ds_load_b128 v[8:11], v56 offset:22608
	;; [unrolled: 1-line block ×8, first 2 shown]
	s_wait_dscnt 0x6
	;;#ASMSTART
	v_dot2_f32_f16 v63, v0, v8, v63
	;;#ASMEND
	;;#ASMSTART
	v_dot2_f32_f16 v63, v1, v9, v63
	;;#ASMEND
	;;#ASMSTART
	v_dot2_f32_f16 v63, v2, v10, v63
	;;#ASMEND
	;;#ASMSTART
	v_dot2_f32_f16 v63, v3, v11, v63
	;;#ASMEND
	s_wait_dscnt 0x5
	;;#ASMSTART
	v_dot2_f32_f16 v32, v0, v69, v32
	;;#ASMEND
	;;#ASMSTART
	v_dot2_f32_f16 v32, v1, v70, v32
	;;#ASMEND
	;;#ASMSTART
	v_dot2_f32_f16 v32, v2, v71, v32
	;;#ASMEND
	;;#ASMSTART
	v_dot2_f32_f16 v32, v3, v72, v32
	;;#ASMEND
	;; [unrolled: 13-line block ×5, first 2 shown]
	;;#ASMSTART
	v_dot2_f32_f16 v34, v81, v69, v34
	;;#ASMEND
	;;#ASMSTART
	v_dot2_f32_f16 v34, v82, v70, v34
	;;#ASMEND
	;; [unrolled: 3-line block ×12, first 2 shown]
	s_wait_dscnt 0x1
	;;#ASMSTART
	v_dot2_f32_f16 v67, v85, v8, v67
	;;#ASMEND
	;;#ASMSTART
	v_dot2_f32_f16 v67, v86, v9, v67
	;;#ASMEND
	;; [unrolled: 3-line block ×16, first 2 shown]
	s_wait_dscnt 0x0
	;;#ASMSTART
	v_dot2_f32_f16 v68, v89, v8, v68
	;;#ASMEND
	;;#ASMSTART
	v_dot2_f32_f16 v68, v90, v9, v68
	;;#ASMEND
	;; [unrolled: 3-line block ×16, first 2 shown]
	ds_load_b128 v[0:3], v58 offset:96
	ds_load_b128 v[8:11], v56 offset:22624
	;; [unrolled: 1-line block ×8, first 2 shown]
	s_wait_dscnt 0x6
	;;#ASMSTART
	v_dot2_f32_f16 v63, v0, v8, v63
	;;#ASMEND
	;;#ASMSTART
	v_dot2_f32_f16 v63, v1, v9, v63
	;;#ASMEND
	;;#ASMSTART
	v_dot2_f32_f16 v63, v2, v10, v63
	;;#ASMEND
	;;#ASMSTART
	v_dot2_f32_f16 v63, v3, v11, v63
	;;#ASMEND
	s_wait_dscnt 0x5
	;;#ASMSTART
	v_dot2_f32_f16 v32, v0, v69, v32
	;;#ASMEND
	;;#ASMSTART
	v_dot2_f32_f16 v32, v1, v70, v32
	;;#ASMEND
	;;#ASMSTART
	v_dot2_f32_f16 v32, v2, v71, v32
	;;#ASMEND
	;;#ASMSTART
	v_dot2_f32_f16 v32, v3, v72, v32
	;;#ASMEND
	;; [unrolled: 13-line block ×5, first 2 shown]
	;;#ASMSTART
	v_dot2_f32_f16 v34, v81, v69, v34
	;;#ASMEND
	;;#ASMSTART
	v_dot2_f32_f16 v34, v82, v70, v34
	;;#ASMEND
	;;#ASMSTART
	v_dot2_f32_f16 v34, v83, v71, v34
	;;#ASMEND
	;;#ASMSTART
	v_dot2_f32_f16 v34, v84, v72, v34
	;;#ASMEND
	;;#ASMSTART
	v_dot2_f32_f16 v31, v81, v73, v31
	;;#ASMEND
	;;#ASMSTART
	v_dot2_f32_f16 v31, v82, v74, v31
	;;#ASMEND
	;;#ASMSTART
	v_dot2_f32_f16 v31, v83, v75, v31
	;;#ASMEND
	;;#ASMSTART
	v_dot2_f32_f16 v31, v84, v76, v31
	;;#ASMEND
	;;#ASMSTART
	v_dot2_f32_f16 v28, v81, v77, v28
	;;#ASMEND
	;;#ASMSTART
	v_dot2_f32_f16 v28, v82, v78, v28
	;;#ASMEND
	;;#ASMSTART
	v_dot2_f32_f16 v28, v83, v79, v28
	;;#ASMEND
	;;#ASMSTART
	v_dot2_f32_f16 v28, v84, v80, v28
	;;#ASMEND
	s_wait_dscnt 0x1
	;;#ASMSTART
	v_dot2_f32_f16 v67, v85, v8, v67
	;;#ASMEND
	;;#ASMSTART
	v_dot2_f32_f16 v67, v86, v9, v67
	;;#ASMEND
	;; [unrolled: 3-line block ×16, first 2 shown]
	s_wait_dscnt 0x0
	;;#ASMSTART
	v_dot2_f32_f16 v68, v89, v8, v68
	;;#ASMEND
	;;#ASMSTART
	v_dot2_f32_f16 v68, v90, v9, v68
	;;#ASMEND
	;; [unrolled: 3-line block ×16, first 2 shown]
	ds_load_b128 v[70:73], v58 offset:112
	ds_load_b128 v[74:77], v56 offset:22640
	;; [unrolled: 1-line block ×8, first 2 shown]
	s_wait_dscnt 0x6
	;;#ASMSTART
	v_dot2_f32_f16 v63, v70, v74, v63
	;;#ASMEND
	;;#ASMSTART
	v_dot2_f32_f16 v63, v71, v75, v63
	;;#ASMEND
	;;#ASMSTART
	v_dot2_f32_f16 v63, v72, v76, v63
	;;#ASMEND
	;;#ASMSTART
	v_dot2_f32_f16 v63, v73, v77, v63
	;;#ASMEND
	s_wait_dscnt 0x5
	;;#ASMSTART
	v_dot2_f32_f16 v32, v70, v78, v32
	;;#ASMEND
	;;#ASMSTART
	v_dot2_f32_f16 v32, v71, v79, v32
	;;#ASMEND
	;;#ASMSTART
	v_dot2_f32_f16 v32, v72, v80, v32
	;;#ASMEND
	;;#ASMSTART
	v_dot2_f32_f16 v32, v73, v81, v32
	;;#ASMEND
	;; [unrolled: 13-line block ×5, first 2 shown]
	;;#ASMSTART
	v_dot2_f32_f16 v34, v90, v78, v34
	;;#ASMEND
	;;#ASMSTART
	v_dot2_f32_f16 v34, v91, v79, v34
	;;#ASMEND
	;; [unrolled: 3-line block ×12, first 2 shown]
	s_wait_dscnt 0x1
	;;#ASMSTART
	v_dot2_f32_f16 v67, v94, v74, v67
	;;#ASMEND
	;;#ASMSTART
	v_dot2_f32_f16 v67, v95, v75, v67
	;;#ASMEND
	;; [unrolled: 3-line block ×16, first 2 shown]
	s_wait_dscnt 0x0
	;;#ASMSTART
	v_dot2_f32_f16 v68, v98, v74, v68
	;;#ASMEND
	;;#ASMSTART
	v_dot2_f32_f16 v68, v99, v75, v68
	;;#ASMEND
	;; [unrolled: 3-line block ×5, first 2 shown]
	v_mad_co_u64_u32 v[8:9], null, v55, s33, s[28:29]
	;;#ASMSTART
	v_dot2_f32_f16 v66, v99, v79, v66
	;;#ASMEND
	;;#ASMSTART
	v_dot2_f32_f16 v66, v100, v80, v66
	;;#ASMEND
	v_mov_b32_e32 v0, v4
	;;#ASMSTART
	v_dot2_f32_f16 v66, v101, v81, v66
	;;#ASMEND
	;;#ASMSTART
	v_dot2_f32_f16 v35, v98, v82, v35
	;;#ASMEND
	v_dual_mov_b32 v10, 0 :: v_dual_mov_b32 v1, v5
	v_dual_mov_b32 v2, v6 :: v_dual_mov_b32 v3, v7
	s_wait_alu 0xfffe
	v_cndmask_b32_e64 v69, 0, 1, s11
	;;#ASMSTART
	v_dot2_f32_f16 v35, v99, v83, v35
	;;#ASMEND
	;;#ASMSTART
	v_dot2_f32_f16 v35, v100, v84, v35
	;;#ASMEND
	;; [unrolled: 3-line block ×7, first 2 shown]
	s_and_saveexec_b32 s12, s10
	s_cbranch_execz .LBB59_52
; %bb.49:
	s_and_not1_b32 vcc_lo, exec_lo, s11
	s_wait_alu 0xfffe
	s_cbranch_vccnz .LBB59_51
; %bb.50:
	v_add_nc_u32_e32 v0, v8, v44
	s_delay_alu instid0(VALU_DEP_1) | instskip(NEXT) | instid1(VALU_DEP_1)
	v_ashrrev_i32_e32 v1, 31, v0
	v_lshlrev_b64_e32 v[0:1], 1, v[0:1]
	s_delay_alu instid0(VALU_DEP_1) | instskip(SKIP_1) | instid1(VALU_DEP_2)
	v_add_co_u32 v0, vcc_lo, s38, v0
	s_wait_alu 0xfffd
	v_add_co_ci_u32_e64 v1, null, s39, v1, vcc_lo
	global_load_u16 v0, v[0:1], off
	s_wait_loadcnt 0x0
	v_cvt_f32_f16_e32 v0, v0
	s_delay_alu instid0(VALU_DEP_1)
	v_mul_f32_e32 v10, v51, v0
.LBB59_51:
	s_delay_alu instid0(VALU_DEP_1) | instskip(NEXT) | instid1(VALU_DEP_1)
	v_add_f32_e32 v63, v63, v10
	v_dual_max_num_f32 v1, v4, v4 :: v_dual_add_f32 v0, 0x40051340, v63
	s_delay_alu instid0(VALU_DEP_1) | instskip(SKIP_1) | instid1(VALU_DEP_2)
	v_dual_max_num_f32 v9, v1, v0 :: v_dual_mov_b32 v0, v4
	v_dual_mov_b32 v2, v6 :: v_dual_mov_b32 v1, v5
	v_dual_mov_b32 v3, v7 :: v_dual_mov_b32 v0, v9
.LBB59_52:
	s_wait_alu 0xfffe
	s_or_b32 exec_lo, exec_lo, s12
	v_add_nc_u32_e32 v55, 32, v44
	s_delay_alu instid0(VALU_DEP_1)
	v_cmp_gt_i32_e64 s11, s19, v55
	s_and_saveexec_b32 s12, s11
	s_cbranch_execz .LBB59_57
; %bb.53:
	v_cmp_ne_u32_e32 vcc_lo, 1, v69
	s_cbranch_vccnz .LBB59_55
; %bb.54:
	v_ashrrev_i32_e32 v10, 31, v8
	v_add_co_u32 v9, vcc_lo, v8, v44
	s_wait_alu 0xfffd
	s_delay_alu instid0(VALU_DEP_2) | instskip(NEXT) | instid1(VALU_DEP_1)
	v_add_co_ci_u32_e64 v10, null, 0, v10, vcc_lo
	v_lshlrev_b64_e32 v[9:10], 1, v[9:10]
	s_delay_alu instid0(VALU_DEP_1) | instskip(SKIP_1) | instid1(VALU_DEP_2)
	v_add_co_u32 v9, vcc_lo, s38, v9
	s_wait_alu 0xfffd
	v_add_co_ci_u32_e64 v10, null, s39, v10, vcc_lo
	global_load_u16 v9, v[9:10], off offset:64
	s_wait_loadcnt 0x0
	v_cvt_f32_f16_e32 v9, v9
	s_delay_alu instid0(VALU_DEP_1)
	v_mul_f32_e32 v9, v51, v9
	s_branch .LBB59_56
.LBB59_55:
	v_mov_b32_e32 v9, 0
.LBB59_56:
	s_delay_alu instid0(VALU_DEP_1) | instskip(NEXT) | instid1(VALU_DEP_1)
	v_dual_add_f32 v65, v65, v9 :: v_dual_max_num_f32 v0, v0, v0
	v_add_f32_e32 v9, 0x40051340, v65
	s_delay_alu instid0(VALU_DEP_1)
	v_max_num_f32_e32 v0, v0, v9
.LBB59_57:
	s_wait_alu 0xfffe
	s_or_b32 exec_lo, exec_lo, s12
	v_add_nc_u32_e32 v56, 64, v44
	s_delay_alu instid0(VALU_DEP_1)
	v_cmp_gt_i32_e64 s12, s19, v56
	s_and_saveexec_b32 s13, s12
	s_cbranch_execz .LBB59_62
; %bb.58:
	v_cmp_ne_u32_e32 vcc_lo, 1, v69
	s_cbranch_vccnz .LBB59_60
; %bb.59:
	v_ashrrev_i32_e32 v10, 31, v8
	v_add_co_u32 v9, vcc_lo, v8, v44
	s_wait_alu 0xfffd
	s_delay_alu instid0(VALU_DEP_2) | instskip(NEXT) | instid1(VALU_DEP_1)
	v_add_co_ci_u32_e64 v10, null, 0, v10, vcc_lo
	v_lshlrev_b64_e32 v[9:10], 1, v[9:10]
	s_delay_alu instid0(VALU_DEP_1) | instskip(SKIP_1) | instid1(VALU_DEP_2)
	v_add_co_u32 v9, vcc_lo, s38, v9
	s_wait_alu 0xfffd
	v_add_co_ci_u32_e64 v10, null, s39, v10, vcc_lo
	global_load_u16 v9, v[9:10], off offset:128
	s_wait_loadcnt 0x0
	v_cvt_f32_f16_e32 v9, v9
	s_delay_alu instid0(VALU_DEP_1)
	v_mul_f32_e32 v9, v51, v9
	s_branch .LBB59_61
.LBB59_60:
	v_mov_b32_e32 v9, 0
.LBB59_61:
	s_delay_alu instid0(VALU_DEP_1) | instskip(NEXT) | instid1(VALU_DEP_1)
	v_dual_add_f32 v67, v67, v9 :: v_dual_max_num_f32 v0, v0, v0
	v_add_f32_e32 v9, 0x40051340, v67
	s_delay_alu instid0(VALU_DEP_1)
	v_max_num_f32_e32 v0, v0, v9
.LBB59_62:
	s_wait_alu 0xfffe
	s_or_b32 exec_lo, exec_lo, s13
	v_add_nc_u32_e32 v58, 0x60, v44
	s_delay_alu instid0(VALU_DEP_1)
	v_cmp_gt_i32_e64 s13, s19, v58
	s_and_saveexec_b32 s37, s13
	s_cbranch_execz .LBB59_67
; %bb.63:
	v_cmp_ne_u32_e32 vcc_lo, 1, v69
	s_cbranch_vccnz .LBB59_65
; %bb.64:
	v_ashrrev_i32_e32 v9, 31, v8
	v_add_co_u32 v8, vcc_lo, v8, v44
	s_wait_alu 0xfffd
	s_delay_alu instid0(VALU_DEP_2) | instskip(NEXT) | instid1(VALU_DEP_1)
	v_add_co_ci_u32_e64 v9, null, 0, v9, vcc_lo
	v_lshlrev_b64_e32 v[8:9], 1, v[8:9]
	s_delay_alu instid0(VALU_DEP_1) | instskip(SKIP_1) | instid1(VALU_DEP_2)
	v_add_co_u32 v8, vcc_lo, s38, v8
	s_wait_alu 0xfffd
	v_add_co_ci_u32_e64 v9, null, s39, v9, vcc_lo
	global_load_u16 v8, v[8:9], off offset:192
	s_wait_loadcnt 0x0
	v_cvt_f32_f16_e32 v8, v8
	s_delay_alu instid0(VALU_DEP_1)
	v_mul_f32_e32 v8, v51, v8
	s_branch .LBB59_66
.LBB59_65:
	v_mov_b32_e32 v8, 0
.LBB59_66:
	s_delay_alu instid0(VALU_DEP_1) | instskip(SKIP_1) | instid1(VALU_DEP_2)
	v_add_f32_e32 v68, v68, v8
	v_max_num_f32_e32 v0, v0, v0
	v_add_f32_e32 v8, 0x40051340, v68
	s_delay_alu instid0(VALU_DEP_1)
	v_max_num_f32_e32 v0, v0, v8
.LBB59_67:
	s_or_b32 exec_lo, exec_lo, s37
	v_xor_b32_e32 v16, 16, v45
	v_xor_b32_e32 v13, 8, v45
	;; [unrolled: 1-line block ×4, first 2 shown]
	v_mul_hi_u32 v15, s24, v54
	v_cmp_gt_i32_e32 vcc_lo, 32, v16
	v_xor_b32_e32 v10, 1, v45
	s_wait_alu 0xfffd
	v_cndmask_b32_e32 v8, v45, v16, vcc_lo
	v_cmp_gt_i32_e32 vcc_lo, 32, v13
	s_wait_alu 0xfffd
	v_cndmask_b32_e32 v9, v45, v13, vcc_lo
	v_cmp_gt_i32_e32 vcc_lo, 32, v12
	s_delay_alu instid0(VALU_DEP_2)
	v_lshlrev_b32_e32 v71, 2, v9
	s_wait_alu 0xfffd
	v_cndmask_b32_e32 v9, v45, v12, vcc_lo
	v_cmp_gt_i32_e32 vcc_lo, 32, v11
	v_lshlrev_b32_e32 v70, 2, v8
	s_wait_alu 0xfffd
	s_delay_alu instid0(VALU_DEP_3)
	v_dual_cndmask_b32 v9, v45, v11 :: v_dual_lshlrev_b32 v72, 2, v9
	ds_bpermute_b32 v8, v70, v0
	v_max_num_f32_e32 v0, v0, v0
	v_cmp_gt_i32_e32 vcc_lo, 32, v10
	v_lshlrev_b32_e32 v73, 2, v9
	s_wait_alu 0xfffd
	v_cndmask_b32_e32 v9, v45, v10, vcc_lo
	s_delay_alu instid0(VALU_DEP_1) | instskip(SKIP_2) | instid1(VALU_DEP_1)
	v_lshlrev_b32_e32 v74, 2, v9
	s_wait_dscnt 0x0
	v_max_num_f32_e32 v8, v8, v8
	v_max_num_f32_e32 v0, v0, v8
	ds_bpermute_b32 v8, v71, v0
	s_wait_dscnt 0x0
	v_max_num_f32_e32 v8, v8, v8
	s_delay_alu instid0(VALU_DEP_1) | instskip(SKIP_3) | instid1(VALU_DEP_1)
	v_max_num_f32_e32 v0, v0, v8
	ds_bpermute_b32 v8, v72, v0
	s_wait_dscnt 0x0
	v_max_num_f32_e32 v8, v8, v8
	v_max_num_f32_e32 v0, v0, v8
	ds_bpermute_b32 v8, v73, v0
	s_wait_dscnt 0x0
	v_max_num_f32_e32 v8, v8, v8
	s_delay_alu instid0(VALU_DEP_1) | instskip(SKIP_3) | instid1(VALU_DEP_1)
	v_max_num_f32_e32 v0, v0, v8
	v_dual_mov_b32 v15, 32 :: v_dual_add_nc_u32 v8, v54, v15
	ds_bpermute_b32 v9, v74, v0
	v_lshrrev_b32_e32 v8, s25, v8
	v_mul_lo_u32 v8, v8, s26
	s_delay_alu instid0(VALU_DEP_1) | instskip(SKIP_2) | instid1(VALU_DEP_2)
	v_sub_nc_u32_e32 v8, v54, v8
	s_wait_dscnt 0x0
	v_max_num_f32_e32 v54, v9, v9
	v_mad_co_u64_u32 v[8:9], null, v8, s33, s[28:29]
	s_delay_alu instid0(VALU_DEP_2)
	v_max_num_f32_e32 v0, v0, v54
	s_and_saveexec_b32 s37, s10
	s_cbranch_execnz .LBB59_71
; %bb.68:
	s_or_b32 exec_lo, exec_lo, s37
	s_and_saveexec_b32 s37, s11
	s_cbranch_execnz .LBB59_75
.LBB59_69:
	s_or_b32 exec_lo, exec_lo, s37
	s_and_saveexec_b32 s37, s12
	s_cbranch_execnz .LBB59_79
.LBB59_70:
	s_or_b32 exec_lo, exec_lo, s37
	s_and_saveexec_b32 s37, s13
	s_cbranch_execnz .LBB59_83
	s_branch .LBB59_87
.LBB59_71:
	v_cmp_ne_u32_e32 vcc_lo, 1, v69
	s_cbranch_vccnz .LBB59_73
; %bb.72:
	s_delay_alu instid0(VALU_DEP_3) | instskip(NEXT) | instid1(VALU_DEP_1)
	v_add_nc_u32_e32 v75, v8, v44
	v_ashrrev_i32_e32 v76, 31, v75
	s_delay_alu instid0(VALU_DEP_1) | instskip(NEXT) | instid1(VALU_DEP_1)
	v_lshlrev_b64_e32 v[75:76], 1, v[75:76]
	v_add_co_u32 v75, vcc_lo, s38, v75
	s_wait_alu 0xfffd
	s_delay_alu instid0(VALU_DEP_2) | instskip(SKIP_3) | instid1(VALU_DEP_1)
	v_add_co_ci_u32_e64 v76, null, s39, v76, vcc_lo
	global_load_u16 v9, v[75:76], off
	s_wait_loadcnt 0x0
	v_cvt_f32_f16_e32 v9, v9
	v_mul_f32_e32 v9, v51, v9
	s_branch .LBB59_74
.LBB59_73:
	v_mov_b32_e32 v9, 0
.LBB59_74:
	s_delay_alu instid0(VALU_DEP_1) | instskip(SKIP_1) | instid1(VALU_DEP_2)
	v_add_f32_e32 v32, v32, v9
	v_max_num_f32_e32 v1, v1, v1
	v_add_f32_e32 v9, 0x40051340, v32
	s_delay_alu instid0(VALU_DEP_1)
	v_max_num_f32_e32 v1, v1, v9
	s_or_b32 exec_lo, exec_lo, s37
	s_and_saveexec_b32 s37, s11
	s_cbranch_execz .LBB59_69
.LBB59_75:
	v_cmp_ne_u32_e32 vcc_lo, 1, v69
	s_cbranch_vccnz .LBB59_77
; %bb.76:
	v_ashrrev_i32_e32 v9, 31, v8
	v_add_co_u32 v75, vcc_lo, v8, v44
	s_wait_alu 0xfffd
	s_delay_alu instid0(VALU_DEP_2) | instskip(NEXT) | instid1(VALU_DEP_1)
	v_add_co_ci_u32_e64 v76, null, 0, v9, vcc_lo
	v_lshlrev_b64_e32 v[75:76], 1, v[75:76]
	s_delay_alu instid0(VALU_DEP_1) | instskip(SKIP_1) | instid1(VALU_DEP_2)
	v_add_co_u32 v75, vcc_lo, s38, v75
	s_wait_alu 0xfffd
	v_add_co_ci_u32_e64 v76, null, s39, v76, vcc_lo
	global_load_u16 v9, v[75:76], off offset:64
	s_wait_loadcnt 0x0
	v_cvt_f32_f16_e32 v9, v9
	s_delay_alu instid0(VALU_DEP_1)
	v_mul_f32_e32 v9, v51, v9
	s_branch .LBB59_78
.LBB59_77:
	v_mov_b32_e32 v9, 0
.LBB59_78:
	s_delay_alu instid0(VALU_DEP_1) | instskip(SKIP_1) | instid1(VALU_DEP_2)
	v_add_f32_e32 v34, v34, v9
	v_max_num_f32_e32 v1, v1, v1
	v_add_f32_e32 v9, 0x40051340, v34
	s_delay_alu instid0(VALU_DEP_1)
	v_max_num_f32_e32 v1, v1, v9
	s_or_b32 exec_lo, exec_lo, s37
	s_and_saveexec_b32 s37, s12
	s_cbranch_execz .LBB59_70
.LBB59_79:
	v_cmp_ne_u32_e32 vcc_lo, 1, v69
	s_cbranch_vccnz .LBB59_81
; %bb.80:
	v_ashrrev_i32_e32 v9, 31, v8
	v_add_co_u32 v75, vcc_lo, v8, v44
	s_wait_alu 0xfffd
	s_delay_alu instid0(VALU_DEP_2) | instskip(NEXT) | instid1(VALU_DEP_1)
	v_add_co_ci_u32_e64 v76, null, 0, v9, vcc_lo
	v_lshlrev_b64_e32 v[75:76], 1, v[75:76]
	s_delay_alu instid0(VALU_DEP_1) | instskip(SKIP_1) | instid1(VALU_DEP_2)
	v_add_co_u32 v75, vcc_lo, s38, v75
	s_wait_alu 0xfffd
	v_add_co_ci_u32_e64 v76, null, s39, v76, vcc_lo
	global_load_u16 v9, v[75:76], off offset:128
	s_wait_loadcnt 0x0
	v_cvt_f32_f16_e32 v9, v9
	s_delay_alu instid0(VALU_DEP_1)
	v_mul_f32_e32 v9, v51, v9
	s_branch .LBB59_82
.LBB59_81:
	v_mov_b32_e32 v9, 0
.LBB59_82:
	s_delay_alu instid0(VALU_DEP_1) | instskip(SKIP_1) | instid1(VALU_DEP_2)
	v_add_f32_e32 v64, v64, v9
	v_max_num_f32_e32 v1, v1, v1
	v_add_f32_e32 v9, 0x40051340, v64
	s_delay_alu instid0(VALU_DEP_1)
	v_max_num_f32_e32 v1, v1, v9
	s_or_b32 exec_lo, exec_lo, s37
	s_and_saveexec_b32 s37, s13
	s_cbranch_execz .LBB59_87
.LBB59_83:
	v_cmp_ne_u32_e32 vcc_lo, 1, v69
	s_cbranch_vccnz .LBB59_85
; %bb.84:
	v_ashrrev_i32_e32 v9, 31, v8
	v_add_co_u32 v8, vcc_lo, v8, v44
	s_wait_alu 0xfffd
	s_delay_alu instid0(VALU_DEP_2) | instskip(NEXT) | instid1(VALU_DEP_1)
	v_add_co_ci_u32_e64 v9, null, 0, v9, vcc_lo
	v_lshlrev_b64_e32 v[8:9], 1, v[8:9]
	s_delay_alu instid0(VALU_DEP_1) | instskip(SKIP_1) | instid1(VALU_DEP_2)
	v_add_co_u32 v8, vcc_lo, s38, v8
	s_wait_alu 0xfffd
	v_add_co_ci_u32_e64 v9, null, s39, v9, vcc_lo
	global_load_u16 v8, v[8:9], off offset:192
	s_wait_loadcnt 0x0
	v_cvt_f32_f16_e32 v8, v8
	s_delay_alu instid0(VALU_DEP_1)
	v_mul_f32_e32 v8, v51, v8
	s_branch .LBB59_86
.LBB59_85:
	v_mov_b32_e32 v8, 0
.LBB59_86:
	s_delay_alu instid0(VALU_DEP_1) | instskip(NEXT) | instid1(VALU_DEP_1)
	v_dual_add_f32 v66, v66, v8 :: v_dual_max_num_f32 v1, v1, v1
	v_add_f32_e32 v8, 0x40051340, v66
	s_delay_alu instid0(VALU_DEP_1)
	v_max_num_f32_e32 v1, v1, v8
.LBB59_87:
	s_or_b32 exec_lo, exec_lo, s37
	ds_bpermute_b32 v8, v70, v1
	v_mul_hi_u32 v9, s24, v53
	s_wait_dscnt 0x0
	v_dual_max_num_f32 v1, v1, v1 :: v_dual_max_num_f32 v8, v8, v8
	s_delay_alu instid0(VALU_DEP_1) | instskip(SKIP_3) | instid1(VALU_DEP_1)
	v_max_num_f32_e32 v1, v1, v8
	ds_bpermute_b32 v8, v71, v1
	s_wait_dscnt 0x0
	v_max_num_f32_e32 v8, v8, v8
	v_max_num_f32_e32 v1, v1, v8
	ds_bpermute_b32 v8, v72, v1
	s_wait_dscnt 0x0
	v_max_num_f32_e32 v8, v8, v8
	s_delay_alu instid0(VALU_DEP_1) | instskip(SKIP_3) | instid1(VALU_DEP_1)
	v_max_num_f32_e32 v1, v1, v8
	ds_bpermute_b32 v8, v73, v1
	s_wait_dscnt 0x0
	v_max_num_f32_e32 v8, v8, v8
	v_max_num_f32_e32 v1, v1, v8
	v_add_nc_u32_e32 v8, v53, v9
	ds_bpermute_b32 v9, v74, v1
	v_lshrrev_b32_e32 v8, s25, v8
	s_delay_alu instid0(VALU_DEP_1) | instskip(NEXT) | instid1(VALU_DEP_1)
	v_mul_lo_u32 v8, v8, s26
	v_sub_nc_u32_e32 v8, v53, v8
	s_wait_dscnt 0x0
	v_max_num_f32_e32 v53, v9, v9
	s_delay_alu instid0(VALU_DEP_2) | instskip(NEXT) | instid1(VALU_DEP_2)
	v_mad_co_u64_u32 v[8:9], null, v8, s33, s[28:29]
	v_max_num_f32_e32 v1, v1, v53
	s_and_saveexec_b32 s37, s10
	s_cbranch_execnz .LBB59_91
; %bb.88:
	s_or_b32 exec_lo, exec_lo, s37
	s_and_saveexec_b32 s37, s11
	s_cbranch_execnz .LBB59_95
.LBB59_89:
	s_or_b32 exec_lo, exec_lo, s37
	s_and_saveexec_b32 s37, s12
	s_cbranch_execnz .LBB59_99
.LBB59_90:
	s_or_b32 exec_lo, exec_lo, s37
	s_and_saveexec_b32 s37, s13
	s_cbranch_execnz .LBB59_103
	s_branch .LBB59_107
.LBB59_91:
	v_cmp_ne_u32_e32 vcc_lo, 1, v69
	s_cbranch_vccnz .LBB59_93
; %bb.92:
	s_delay_alu instid0(VALU_DEP_3) | instskip(NEXT) | instid1(VALU_DEP_1)
	v_add_nc_u32_e32 v53, v8, v44
	v_ashrrev_i32_e32 v54, 31, v53
	s_delay_alu instid0(VALU_DEP_1) | instskip(NEXT) | instid1(VALU_DEP_1)
	v_lshlrev_b64_e32 v[53:54], 1, v[53:54]
	v_add_co_u32 v53, vcc_lo, s38, v53
	s_wait_alu 0xfffd
	s_delay_alu instid0(VALU_DEP_2) | instskip(SKIP_3) | instid1(VALU_DEP_1)
	v_add_co_ci_u32_e64 v54, null, s39, v54, vcc_lo
	global_load_u16 v9, v[53:54], off
	s_wait_loadcnt 0x0
	v_cvt_f32_f16_e32 v9, v9
	v_mul_f32_e32 v9, v51, v9
	s_branch .LBB59_94
.LBB59_93:
	v_mov_b32_e32 v9, 0
.LBB59_94:
	s_delay_alu instid0(VALU_DEP_1) | instskip(NEXT) | instid1(VALU_DEP_1)
	v_dual_add_f32 v29, v29, v9 :: v_dual_max_num_f32 v2, v2, v2
	v_add_f32_e32 v9, 0x40051340, v29
	s_delay_alu instid0(VALU_DEP_1)
	v_max_num_f32_e32 v2, v2, v9
	s_or_b32 exec_lo, exec_lo, s37
	s_and_saveexec_b32 s37, s11
	s_cbranch_execz .LBB59_89
.LBB59_95:
	v_cmp_ne_u32_e32 vcc_lo, 1, v69
	s_cbranch_vccnz .LBB59_97
; %bb.96:
	v_ashrrev_i32_e32 v9, 31, v8
	v_add_co_u32 v53, vcc_lo, v8, v44
	s_wait_alu 0xfffd
	s_delay_alu instid0(VALU_DEP_2) | instskip(NEXT) | instid1(VALU_DEP_1)
	v_add_co_ci_u32_e64 v54, null, 0, v9, vcc_lo
	v_lshlrev_b64_e32 v[53:54], 1, v[53:54]
	s_delay_alu instid0(VALU_DEP_1) | instskip(SKIP_1) | instid1(VALU_DEP_2)
	v_add_co_u32 v53, vcc_lo, s38, v53
	s_wait_alu 0xfffd
	v_add_co_ci_u32_e64 v54, null, s39, v54, vcc_lo
	global_load_u16 v9, v[53:54], off offset:64
	s_wait_loadcnt 0x0
	v_cvt_f32_f16_e32 v9, v9
	s_delay_alu instid0(VALU_DEP_1)
	v_mul_f32_e32 v9, v51, v9
	s_branch .LBB59_98
.LBB59_97:
	v_mov_b32_e32 v9, 0
.LBB59_98:
	s_delay_alu instid0(VALU_DEP_1) | instskip(NEXT) | instid1(VALU_DEP_1)
	v_dual_add_f32 v31, v31, v9 :: v_dual_max_num_f32 v2, v2, v2
	v_add_f32_e32 v9, 0x40051340, v31
	s_delay_alu instid0(VALU_DEP_1)
	v_max_num_f32_e32 v2, v2, v9
	s_or_b32 exec_lo, exec_lo, s37
	s_and_saveexec_b32 s37, s12
	s_cbranch_execz .LBB59_90
.LBB59_99:
	v_cmp_ne_u32_e32 vcc_lo, 1, v69
	s_cbranch_vccnz .LBB59_101
; %bb.100:
	v_ashrrev_i32_e32 v9, 31, v8
	v_add_co_u32 v53, vcc_lo, v8, v44
	s_wait_alu 0xfffd
	s_delay_alu instid0(VALU_DEP_2) | instskip(NEXT) | instid1(VALU_DEP_1)
	v_add_co_ci_u32_e64 v54, null, 0, v9, vcc_lo
	v_lshlrev_b64_e32 v[53:54], 1, v[53:54]
	s_delay_alu instid0(VALU_DEP_1) | instskip(SKIP_1) | instid1(VALU_DEP_2)
	v_add_co_u32 v53, vcc_lo, s38, v53
	s_wait_alu 0xfffd
	v_add_co_ci_u32_e64 v54, null, s39, v54, vcc_lo
	global_load_u16 v9, v[53:54], off offset:128
	s_wait_loadcnt 0x0
	v_cvt_f32_f16_e32 v9, v9
	s_delay_alu instid0(VALU_DEP_1)
	v_mul_f32_e32 v9, v51, v9
	s_branch .LBB59_102
.LBB59_101:
	v_mov_b32_e32 v9, 0
.LBB59_102:
	s_delay_alu instid0(VALU_DEP_1) | instskip(NEXT) | instid1(VALU_DEP_1)
	v_dual_add_f32 v33, v33, v9 :: v_dual_max_num_f32 v2, v2, v2
	v_add_f32_e32 v9, 0x40051340, v33
	s_delay_alu instid0(VALU_DEP_1)
	v_max_num_f32_e32 v2, v2, v9
	s_or_b32 exec_lo, exec_lo, s37
	s_and_saveexec_b32 s37, s13
	s_cbranch_execz .LBB59_107
.LBB59_103:
	v_cmp_ne_u32_e32 vcc_lo, 1, v69
	s_cbranch_vccnz .LBB59_105
; %bb.104:
	v_ashrrev_i32_e32 v9, 31, v8
	v_add_co_u32 v8, vcc_lo, v8, v44
	s_wait_alu 0xfffd
	s_delay_alu instid0(VALU_DEP_2) | instskip(NEXT) | instid1(VALU_DEP_1)
	v_add_co_ci_u32_e64 v9, null, 0, v9, vcc_lo
	v_lshlrev_b64_e32 v[8:9], 1, v[8:9]
	s_delay_alu instid0(VALU_DEP_1) | instskip(SKIP_1) | instid1(VALU_DEP_2)
	v_add_co_u32 v8, vcc_lo, s38, v8
	s_wait_alu 0xfffd
	v_add_co_ci_u32_e64 v9, null, s39, v9, vcc_lo
	global_load_u16 v8, v[8:9], off offset:192
	s_wait_loadcnt 0x0
	v_cvt_f32_f16_e32 v8, v8
	s_delay_alu instid0(VALU_DEP_1)
	v_mul_f32_e32 v8, v51, v8
	s_branch .LBB59_106
.LBB59_105:
	v_mov_b32_e32 v8, 0
.LBB59_106:
	s_delay_alu instid0(VALU_DEP_1) | instskip(NEXT) | instid1(VALU_DEP_1)
	v_dual_add_f32 v35, v35, v8 :: v_dual_max_num_f32 v2, v2, v2
	v_add_f32_e32 v8, 0x40051340, v35
	s_delay_alu instid0(VALU_DEP_1)
	v_max_num_f32_e32 v2, v2, v8
.LBB59_107:
	s_or_b32 exec_lo, exec_lo, s37
	ds_bpermute_b32 v8, v70, v2
	v_max_num_f32_e32 v2, v2, v2
	v_mul_hi_u32 v9, s24, v52
	s_wait_dscnt 0x0
	v_max_num_f32_e32 v8, v8, v8
	s_delay_alu instid0(VALU_DEP_1) | instskip(SKIP_3) | instid1(VALU_DEP_1)
	v_max_num_f32_e32 v2, v2, v8
	ds_bpermute_b32 v8, v71, v2
	s_wait_dscnt 0x0
	v_max_num_f32_e32 v8, v8, v8
	v_max_num_f32_e32 v2, v2, v8
	ds_bpermute_b32 v8, v72, v2
	s_wait_dscnt 0x0
	v_max_num_f32_e32 v8, v8, v8
	s_delay_alu instid0(VALU_DEP_1) | instskip(SKIP_3) | instid1(VALU_DEP_1)
	v_max_num_f32_e32 v2, v2, v8
	ds_bpermute_b32 v8, v73, v2
	s_wait_dscnt 0x0
	v_max_num_f32_e32 v8, v8, v8
	v_max_num_f32_e32 v2, v2, v8
	v_add_nc_u32_e32 v8, v52, v9
	ds_bpermute_b32 v9, v74, v2
	v_lshrrev_b32_e32 v8, s25, v8
	s_delay_alu instid0(VALU_DEP_1) | instskip(NEXT) | instid1(VALU_DEP_1)
	v_mul_lo_u32 v8, v8, s26
	v_sub_nc_u32_e32 v8, v52, v8
	s_wait_dscnt 0x0
	v_max_num_f32_e32 v52, v9, v9
	s_delay_alu instid0(VALU_DEP_2) | instskip(NEXT) | instid1(VALU_DEP_2)
	v_mad_co_u64_u32 v[8:9], null, v8, s33, s[28:29]
	v_max_num_f32_e32 v2, v2, v52
	s_and_saveexec_b32 s24, s10
	s_cbranch_execnz .LBB59_111
; %bb.108:
	s_wait_alu 0xfffe
	s_or_b32 exec_lo, exec_lo, s24
	s_and_saveexec_b32 s10, s11
	s_cbranch_execnz .LBB59_115
.LBB59_109:
	s_wait_alu 0xfffe
	s_or_b32 exec_lo, exec_lo, s10
	s_and_saveexec_b32 s10, s12
	s_cbranch_execnz .LBB59_119
.LBB59_110:
	s_wait_alu 0xfffe
	s_or_b32 exec_lo, exec_lo, s10
	s_and_saveexec_b32 s10, s13
	s_cbranch_execnz .LBB59_123
	s_branch .LBB59_127
.LBB59_111:
	v_cmp_ne_u32_e32 vcc_lo, 1, v69
	s_cbranch_vccnz .LBB59_113
; %bb.112:
	s_delay_alu instid0(VALU_DEP_3) | instskip(NEXT) | instid1(VALU_DEP_1)
	v_add_nc_u32_e32 v52, v8, v44
	v_ashrrev_i32_e32 v53, 31, v52
	s_delay_alu instid0(VALU_DEP_1) | instskip(NEXT) | instid1(VALU_DEP_1)
	v_lshlrev_b64_e32 v[52:53], 1, v[52:53]
	v_add_co_u32 v52, vcc_lo, s38, v52
	s_wait_alu 0xfffd
	s_delay_alu instid0(VALU_DEP_2) | instskip(SKIP_3) | instid1(VALU_DEP_1)
	v_add_co_ci_u32_e64 v53, null, s39, v53, vcc_lo
	global_load_u16 v9, v[52:53], off
	s_wait_loadcnt 0x0
	v_cvt_f32_f16_e32 v9, v9
	v_mul_f32_e32 v9, v51, v9
	s_branch .LBB59_114
.LBB59_113:
	v_mov_b32_e32 v9, 0
.LBB59_114:
	s_delay_alu instid0(VALU_DEP_1) | instskip(SKIP_1) | instid1(VALU_DEP_2)
	v_add_f32_e32 v27, v27, v9
	v_max_num_f32_e32 v3, v3, v3
	v_add_f32_e32 v9, 0x40051340, v27
	s_delay_alu instid0(VALU_DEP_1)
	v_max_num_f32_e32 v3, v3, v9
	s_wait_alu 0xfffe
	s_or_b32 exec_lo, exec_lo, s24
	s_and_saveexec_b32 s10, s11
	s_cbranch_execz .LBB59_109
.LBB59_115:
	v_cmp_ne_u32_e32 vcc_lo, 1, v69
	s_cbranch_vccnz .LBB59_117
; %bb.116:
	v_ashrrev_i32_e32 v9, 31, v8
	v_add_co_u32 v52, vcc_lo, v8, v44
	s_wait_alu 0xfffd
	s_delay_alu instid0(VALU_DEP_2) | instskip(NEXT) | instid1(VALU_DEP_1)
	v_add_co_ci_u32_e64 v53, null, 0, v9, vcc_lo
	v_lshlrev_b64_e32 v[52:53], 1, v[52:53]
	s_delay_alu instid0(VALU_DEP_1) | instskip(SKIP_1) | instid1(VALU_DEP_2)
	v_add_co_u32 v52, vcc_lo, s38, v52
	s_wait_alu 0xfffd
	v_add_co_ci_u32_e64 v53, null, s39, v53, vcc_lo
	global_load_u16 v9, v[52:53], off offset:64
	s_wait_loadcnt 0x0
	v_cvt_f32_f16_e32 v9, v9
	s_delay_alu instid0(VALU_DEP_1)
	v_mul_f32_e32 v9, v51, v9
	s_branch .LBB59_118
.LBB59_117:
	v_mov_b32_e32 v9, 0
.LBB59_118:
	s_delay_alu instid0(VALU_DEP_1) | instskip(NEXT) | instid1(VALU_DEP_1)
	v_dual_add_f32 v28, v28, v9 :: v_dual_max_num_f32 v3, v3, v3
	v_add_f32_e32 v9, 0x40051340, v28
	s_delay_alu instid0(VALU_DEP_1)
	v_max_num_f32_e32 v3, v3, v9
	s_wait_alu 0xfffe
	s_or_b32 exec_lo, exec_lo, s10
	s_and_saveexec_b32 s10, s12
	s_cbranch_execz .LBB59_110
.LBB59_119:
	v_cmp_ne_u32_e32 vcc_lo, 1, v69
	s_cbranch_vccnz .LBB59_121
; %bb.120:
	v_ashrrev_i32_e32 v9, 31, v8
	v_add_co_u32 v52, vcc_lo, v8, v44
	s_wait_alu 0xfffd
	s_delay_alu instid0(VALU_DEP_2) | instskip(NEXT) | instid1(VALU_DEP_1)
	v_add_co_ci_u32_e64 v53, null, 0, v9, vcc_lo
	v_lshlrev_b64_e32 v[52:53], 1, v[52:53]
	s_delay_alu instid0(VALU_DEP_1) | instskip(SKIP_1) | instid1(VALU_DEP_2)
	v_add_co_u32 v52, vcc_lo, s38, v52
	s_wait_alu 0xfffd
	v_add_co_ci_u32_e64 v53, null, s39, v53, vcc_lo
	global_load_u16 v9, v[52:53], off offset:128
	s_wait_loadcnt 0x0
	v_cvt_f32_f16_e32 v9, v9
	s_delay_alu instid0(VALU_DEP_1)
	v_mul_f32_e32 v9, v51, v9
	s_branch .LBB59_122
.LBB59_121:
	v_mov_b32_e32 v9, 0
.LBB59_122:
	s_delay_alu instid0(VALU_DEP_1) | instskip(NEXT) | instid1(VALU_DEP_1)
	v_dual_add_f32 v30, v30, v9 :: v_dual_max_num_f32 v3, v3, v3
	v_add_f32_e32 v9, 0x40051340, v30
	s_delay_alu instid0(VALU_DEP_1)
	v_max_num_f32_e32 v3, v3, v9
	s_wait_alu 0xfffe
	s_or_b32 exec_lo, exec_lo, s10
	s_and_saveexec_b32 s10, s13
	s_cbranch_execz .LBB59_127
.LBB59_123:
	v_cmp_ne_u32_e32 vcc_lo, 1, v69
	s_cbranch_vccnz .LBB59_125
; %bb.124:
	v_ashrrev_i32_e32 v9, 31, v8
	v_add_co_u32 v8, vcc_lo, v8, v44
	s_wait_alu 0xfffd
	s_delay_alu instid0(VALU_DEP_2) | instskip(NEXT) | instid1(VALU_DEP_1)
	v_add_co_ci_u32_e64 v9, null, 0, v9, vcc_lo
	v_lshlrev_b64_e32 v[8:9], 1, v[8:9]
	s_delay_alu instid0(VALU_DEP_1) | instskip(SKIP_1) | instid1(VALU_DEP_2)
	v_add_co_u32 v8, vcc_lo, s38, v8
	s_wait_alu 0xfffd
	v_add_co_ci_u32_e64 v9, null, s39, v9, vcc_lo
	global_load_u16 v8, v[8:9], off offset:192
	s_wait_loadcnt 0x0
	v_cvt_f32_f16_e32 v8, v8
	s_delay_alu instid0(VALU_DEP_1)
	v_mul_f32_e32 v8, v51, v8
	s_branch .LBB59_126
.LBB59_125:
	v_mov_b32_e32 v8, 0
.LBB59_126:
	s_delay_alu instid0(VALU_DEP_1) | instskip(NEXT) | instid1(VALU_DEP_1)
	v_dual_add_f32 v26, v26, v8 :: v_dual_max_num_f32 v3, v3, v3
	v_add_f32_e32 v8, 0x40051340, v26
	s_delay_alu instid0(VALU_DEP_1)
	v_max_num_f32_e32 v3, v3, v8
.LBB59_127:
	s_wait_alu 0xfffe
	s_or_b32 exec_lo, exec_lo, s10
	ds_bpermute_b32 v8, v70, v3
	v_sub_f32_e32 v9, v4, v0
	v_sub_f32_e32 v4, v63, v0
	v_cmp_gt_u32_e32 vcc_lo, s19, v44
	s_wait_loadcnt_dscnt 0x0
	s_barrier_signal -1
	s_barrier_wait -1
	global_inv scope:SCOPE_SE
	v_lshl_or_b32 v24, v24, 7, v17
	v_lshl_or_b32 v25, v25, 7, v17
	v_dual_max_num_f32 v3, v3, v3 :: v_dual_max_num_f32 v8, v8, v8
	s_delay_alu instid0(VALU_DEP_1) | instskip(SKIP_3) | instid1(VALU_DEP_1)
	v_max_num_f32_e32 v3, v3, v8
	ds_bpermute_b32 v8, v71, v3
	s_wait_dscnt 0x0
	v_max_num_f32_e32 v8, v8, v8
	v_max_num_f32_e32 v3, v3, v8
	ds_bpermute_b32 v8, v72, v3
	s_wait_dscnt 0x0
	v_max_num_f32_e32 v8, v8, v8
	s_delay_alu instid0(VALU_DEP_1) | instskip(SKIP_3) | instid1(VALU_DEP_1)
	v_max_num_f32_e32 v3, v3, v8
	ds_bpermute_b32 v8, v73, v3
	s_wait_dscnt 0x0
	v_max_num_f32_e32 v8, v8, v8
	v_max_num_f32_e32 v3, v3, v8
	ds_bpermute_b32 v8, v74, v3
	s_wait_dscnt 0x0
	v_max_num_f32_e32 v8, v8, v8
	s_delay_alu instid0(VALU_DEP_1) | instskip(SKIP_1) | instid1(VALU_DEP_1)
	v_dual_max_num_f32 v3, v3, v8 :: v_dual_lshlrev_b32 v8, 10, v50
	v_mul_f32_e32 v50, 0x3fb8aa3b, v4
	v_fma_f32 v51, 0x3fb8aa3b, v4, -v50
	v_rndne_f32_e32 v52, v50
	s_delay_alu instid0(VALU_DEP_2) | instskip(NEXT) | instid1(VALU_DEP_2)
	v_fmac_f32_e32 v51, 0x32a5705f, v4
	v_sub_f32_e32 v50, v50, v52
	s_delay_alu instid0(VALU_DEP_1) | instskip(SKIP_1) | instid1(VALU_DEP_2)
	v_add_f32_e32 v50, v50, v51
	v_cvt_i32_f32_e32 v51, v52
	v_exp_f32_e32 v50, v50
	s_delay_alu instid0(TRANS32_DEP_1) | instskip(SKIP_1) | instid1(VALU_DEP_1)
	v_ldexp_f32 v50, v50, v51
	v_sub_f32_e32 v51, v65, v0
	v_mul_f32_e32 v52, 0x3fb8aa3b, v51
	v_cmp_ngt_f32_e64 s11, 0xc2ce8ed0, v51
	s_delay_alu instid0(VALU_DEP_2) | instskip(SKIP_1) | instid1(VALU_DEP_1)
	v_fma_f32 v53, 0x3fb8aa3b, v51, -v52
	v_rndne_f32_e32 v54, v52
	v_dual_fmac_f32 v53, 0x32a5705f, v51 :: v_dual_sub_f32 v52, v52, v54
	s_delay_alu instid0(VALU_DEP_1) | instskip(SKIP_3) | instid1(VALU_DEP_4)
	v_add_f32_e32 v52, v52, v53
	v_cvt_i32_f32_e32 v53, v54
	v_sub_f32_e32 v26, v26, v3
	v_sub_f32_e32 v28, v28, v3
	v_exp_f32_e32 v52, v52
	s_delay_alu instid0(TRANS32_DEP_1) | instskip(SKIP_1) | instid1(VALU_DEP_1)
	v_ldexp_f32 v52, v52, v53
	s_wait_alu 0xf1ff
	v_cndmask_b32_e64 v52, 0, v52, s11
	v_cmp_nlt_f32_e64 s11, 0x42b17218, v51
	s_wait_alu 0xf1ff
	s_delay_alu instid0(VALU_DEP_1) | instskip(SKIP_2) | instid1(VALU_DEP_2)
	v_cndmask_b32_e64 v51, 0x7f800000, v52, s11
	v_sub_f32_e32 v52, v67, v0
	v_cmp_gt_u32_e64 s11, s19, v56
	v_mul_f32_e32 v53, 0x3fb8aa3b, v52
	v_cmp_ngt_f32_e64 s12, 0xc2ce8ed0, v52
	s_delay_alu instid0(VALU_DEP_2) | instskip(SKIP_1) | instid1(VALU_DEP_1)
	v_fma_f32 v54, 0x3fb8aa3b, v52, -v53
	v_rndne_f32_e32 v63, v53
	v_dual_fmac_f32 v54, 0x32a5705f, v52 :: v_dual_sub_f32 v53, v53, v63
	s_delay_alu instid0(VALU_DEP_1) | instskip(SKIP_1) | instid1(VALU_DEP_2)
	v_add_f32_e32 v53, v53, v54
	v_cvt_i32_f32_e32 v54, v63
	v_exp_f32_e32 v53, v53
	s_delay_alu instid0(TRANS32_DEP_1) | instskip(SKIP_1) | instid1(VALU_DEP_1)
	v_ldexp_f32 v53, v53, v54
	s_wait_alu 0xf1ff
	v_cndmask_b32_e64 v53, 0, v53, s12
	v_cmp_nlt_f32_e64 s12, 0x42b17218, v52
	s_wait_alu 0xf1ff
	s_delay_alu instid0(VALU_DEP_1) | instskip(SKIP_2) | instid1(VALU_DEP_3)
	v_cndmask_b32_e64 v52, 0x7f800000, v53, s12
	v_sub_f32_e32 v53, v68, v0
	v_cmp_gt_u32_e64 s12, s19, v58
	v_cndmask_b32_e64 v52, 0, v52, s11
	s_delay_alu instid0(VALU_DEP_3) | instskip(SKIP_1) | instid1(VALU_DEP_2)
	v_mul_f32_e32 v54, 0x3fb8aa3b, v53
	v_cmp_ngt_f32_e64 s13, 0xc2ce8ed0, v53
	v_fma_f32 v63, 0x3fb8aa3b, v53, -v54
	v_rndne_f32_e32 v65, v54
	s_delay_alu instid0(VALU_DEP_2) | instskip(NEXT) | instid1(VALU_DEP_2)
	v_fmac_f32_e32 v63, 0x32a5705f, v53
	v_sub_f32_e32 v54, v54, v65
	s_delay_alu instid0(VALU_DEP_1) | instskip(SKIP_1) | instid1(VALU_DEP_2)
	v_add_f32_e32 v54, v54, v63
	v_cvt_i32_f32_e32 v63, v65
	v_exp_f32_e32 v54, v54
	s_delay_alu instid0(TRANS32_DEP_1) | instskip(SKIP_1) | instid1(VALU_DEP_1)
	v_ldexp_f32 v54, v54, v63
	s_wait_alu 0xf1ff
	v_cndmask_b32_e64 v54, 0, v54, s13
	v_cmp_nlt_f32_e64 s13, 0x42b17218, v53
	s_wait_alu 0xf1ff
	s_delay_alu instid0(VALU_DEP_1) | instskip(SKIP_2) | instid1(VALU_DEP_3)
	v_cndmask_b32_e64 v53, 0x7f800000, v54, s13
	v_mul_f32_e32 v54, 0x3fb8aa3b, v9
	v_cmp_ngt_f32_e64 s13, 0xc2ce8ed0, v9
	v_cndmask_b32_e64 v53, 0, v53, s12
	s_delay_alu instid0(VALU_DEP_3) | instskip(SKIP_1) | instid1(VALU_DEP_2)
	v_fma_f32 v63, 0x3fb8aa3b, v9, -v54
	v_rndne_f32_e32 v65, v54
	v_fmac_f32_e32 v63, 0x32a5705f, v9
	s_delay_alu instid0(VALU_DEP_2) | instskip(SKIP_1) | instid1(VALU_DEP_2)
	v_sub_f32_e32 v54, v54, v65
	v_cmp_ngt_f32_e64 s10, 0xc2ce8ed0, v4
	v_add_f32_e32 v54, v54, v63
	v_cvt_i32_f32_e32 v63, v65
	s_wait_alu 0xf1ff
	s_delay_alu instid0(VALU_DEP_3) | instskip(SKIP_3) | instid1(VALU_DEP_1)
	v_cndmask_b32_e64 v50, 0, v50, s10
	v_cmp_nlt_f32_e64 s10, 0x42b17218, v4
	v_exp_f32_e32 v54, v54
	s_wait_alu 0xf1ff
	v_cndmask_b32_e64 v4, 0x7f800000, v50, s10
	v_cmp_gt_u32_e64 s10, s19, v55
	s_ashr_i32 s19, s18, 31
	v_cndmask_b32_e64 v51, 0, v51, s10
	s_delay_alu instid0(TRANS32_DEP_1) | instskip(NEXT) | instid1(VALU_DEP_1)
	v_ldexp_f32 v54, v54, v63
	v_cndmask_b32_e64 v54, 0, v54, s13
	v_cmp_nlt_f32_e64 s13, 0x42b17218, v9
	s_wait_alu 0xf1ff
	s_delay_alu instid0(VALU_DEP_1) | instskip(SKIP_3) | instid1(VALU_DEP_1)
	v_cndmask_b32_e64 v9, 0x7f800000, v54, s13
	v_sub_f32_e32 v54, v5, v1
	s_wait_alu 0xfffd
	v_dual_sub_f32 v5, v32, v1 :: v_dual_cndmask_b32 v4, 0, v4
	v_mul_f32_e32 v32, 0x3fb8aa3b, v5
	s_delay_alu instid0(VALU_DEP_2) | instskip(SKIP_4) | instid1(VALU_DEP_4)
	v_cvt_f16_f32_e32 v50, v4
	v_add_f32_e32 v4, v4, v51
	v_cmp_ngt_f32_e64 s13, 0xc2ce8ed0, v5
	v_cvt_f16_f32_e32 v51, v51
	v_rndne_f32_e32 v63, v32
	v_add_f32_e32 v4, v52, v4
	v_cvt_f16_f32_e32 v52, v52
	s_delay_alu instid0(VALU_DEP_2) | instskip(SKIP_1) | instid1(VALU_DEP_2)
	v_add_f32_e32 v4, v53, v4
	v_cvt_f16_f32_e32 v53, v53
	v_fmac_f32_e32 v4, v61, v9
	v_fma_f32 v61, 0x3fb8aa3b, v5, -v32
	v_sub_f32_e32 v32, v32, v63
	v_cvt_f16_f32_e32 v9, v9
	s_delay_alu instid0(VALU_DEP_3) | instskip(NEXT) | instid1(VALU_DEP_2)
	v_fmac_f32_e32 v61, 0x32a5705f, v5
	v_and_b32_e32 v9, 0xffff, v9
	s_delay_alu instid0(VALU_DEP_2) | instskip(SKIP_1) | instid1(VALU_DEP_3)
	v_add_f32_e32 v32, v32, v61
	v_cvt_i32_f32_e32 v61, v63
	v_mul_u32_u24_e32 v9, 0x10001, v9
	s_delay_alu instid0(VALU_DEP_3) | instskip(NEXT) | instid1(TRANS32_DEP_1)
	v_exp_f32_e32 v32, v32
	v_ldexp_f32 v32, v32, v61
	s_wait_alu 0xf1ff
	s_delay_alu instid0(VALU_DEP_1) | instskip(SKIP_2) | instid1(VALU_DEP_1)
	v_cndmask_b32_e64 v32, 0, v32, s13
	v_cmp_nlt_f32_e64 s13, 0x42b17218, v5
	s_wait_alu 0xf1ff
	v_cndmask_b32_e64 v5, 0x7f800000, v32, s13
	v_sub_f32_e32 v32, v34, v1
	s_delay_alu instid0(VALU_DEP_1) | instskip(SKIP_1) | instid1(VALU_DEP_2)
	v_dual_cndmask_b32 v5, 0, v5 :: v_dual_mul_f32 v34, 0x3fb8aa3b, v32
	v_cmp_ngt_f32_e64 s13, 0xc2ce8ed0, v32
	v_cvt_f16_f32_e32 v61, v5
	s_delay_alu instid0(VALU_DEP_3) | instskip(SKIP_1) | instid1(VALU_DEP_1)
	v_fma_f32 v63, 0x3fb8aa3b, v32, -v34
	v_rndne_f32_e32 v65, v34
	v_dual_fmac_f32 v63, 0x32a5705f, v32 :: v_dual_sub_f32 v34, v34, v65
	s_delay_alu instid0(VALU_DEP_1) | instskip(SKIP_1) | instid1(VALU_DEP_2)
	v_add_f32_e32 v34, v34, v63
	v_cvt_i32_f32_e32 v63, v65
	v_exp_f32_e32 v34, v34
	s_delay_alu instid0(TRANS32_DEP_1) | instskip(SKIP_1) | instid1(VALU_DEP_1)
	v_ldexp_f32 v34, v34, v63
	s_wait_alu 0xf1ff
	v_cndmask_b32_e64 v34, 0, v34, s13
	v_cmp_nlt_f32_e64 s13, 0x42b17218, v32
	s_wait_alu 0xf1ff
	s_delay_alu instid0(VALU_DEP_1) | instskip(NEXT) | instid1(VALU_DEP_1)
	v_cndmask_b32_e64 v32, 0x7f800000, v34, s13
	v_cndmask_b32_e64 v32, 0, v32, s10
	s_delay_alu instid0(VALU_DEP_1) | instskip(SKIP_2) | instid1(VALU_DEP_1)
	v_add_f32_e32 v5, v5, v32
	v_cvt_f16_f32_e32 v34, v32
	v_sub_f32_e32 v32, v64, v1
	v_mul_f32_e32 v63, 0x3fb8aa3b, v32
	v_cmp_ngt_f32_e64 s13, 0xc2ce8ed0, v32
	s_delay_alu instid0(VALU_DEP_2) | instskip(SKIP_1) | instid1(VALU_DEP_1)
	v_fma_f32 v64, 0x3fb8aa3b, v32, -v63
	v_rndne_f32_e32 v65, v63
	v_dual_fmac_f32 v64, 0x32a5705f, v32 :: v_dual_sub_f32 v63, v63, v65
	s_delay_alu instid0(VALU_DEP_1) | instskip(SKIP_1) | instid1(VALU_DEP_2)
	v_add_f32_e32 v63, v63, v64
	v_cvt_i32_f32_e32 v64, v65
	v_exp_f32_e32 v63, v63
	s_delay_alu instid0(TRANS32_DEP_1) | instskip(SKIP_1) | instid1(VALU_DEP_1)
	v_ldexp_f32 v63, v63, v64
	s_wait_alu 0xf1ff
	v_cndmask_b32_e64 v63, 0, v63, s13
	v_cmp_nlt_f32_e64 s13, 0x42b17218, v32
	s_wait_alu 0xf1ff
	s_delay_alu instid0(VALU_DEP_1) | instskip(NEXT) | instid1(VALU_DEP_1)
	v_cndmask_b32_e64 v32, 0x7f800000, v63, s13
	v_cndmask_b32_e64 v32, 0, v32, s11
	s_delay_alu instid0(VALU_DEP_1) | instskip(SKIP_2) | instid1(VALU_DEP_1)
	v_add_f32_e32 v5, v32, v5
	v_cvt_f16_f32_e32 v63, v32
	v_sub_f32_e32 v32, v66, v1
	v_mul_f32_e32 v64, 0x3fb8aa3b, v32
	v_cmp_ngt_f32_e64 s13, 0xc2ce8ed0, v32
	s_delay_alu instid0(VALU_DEP_2) | instskip(SKIP_1) | instid1(VALU_DEP_1)
	v_fma_f32 v65, 0x3fb8aa3b, v32, -v64
	v_rndne_f32_e32 v66, v64
	v_dual_fmac_f32 v65, 0x32a5705f, v32 :: v_dual_sub_f32 v64, v64, v66
	s_delay_alu instid0(VALU_DEP_1) | instskip(SKIP_1) | instid1(VALU_DEP_2)
	v_add_f32_e32 v64, v64, v65
	v_cvt_i32_f32_e32 v65, v66
	v_exp_f32_e32 v64, v64
	s_delay_alu instid0(TRANS32_DEP_1) | instskip(SKIP_1) | instid1(VALU_DEP_1)
	v_ldexp_f32 v64, v64, v65
	s_wait_alu 0xf1ff
	v_cndmask_b32_e64 v64, 0, v64, s13
	v_cmp_nlt_f32_e64 s13, 0x42b17218, v32
	s_wait_alu 0xf1ff
	s_delay_alu instid0(VALU_DEP_1) | instskip(SKIP_1) | instid1(VALU_DEP_2)
	v_cndmask_b32_e64 v32, 0x7f800000, v64, s13
	v_cmp_ngt_f32_e64 s13, 0xc2ce8ed0, v54
	v_cndmask_b32_e64 v32, 0, v32, s12
	s_delay_alu instid0(VALU_DEP_1) | instskip(SKIP_2) | instid1(VALU_DEP_1)
	v_add_f32_e32 v5, v32, v5
	v_cvt_f16_f32_e32 v64, v32
	v_mul_f32_e32 v32, 0x3fb8aa3b, v54
	v_fma_f32 v65, 0x3fb8aa3b, v54, -v32
	v_rndne_f32_e32 v66, v32
	s_delay_alu instid0(VALU_DEP_2) | instskip(NEXT) | instid1(VALU_DEP_2)
	v_fmac_f32_e32 v65, 0x32a5705f, v54
	v_sub_f32_e32 v32, v32, v66
	s_delay_alu instid0(VALU_DEP_1) | instskip(SKIP_1) | instid1(VALU_DEP_2)
	v_add_f32_e32 v32, v32, v65
	v_cvt_i32_f32_e32 v65, v66
	v_exp_f32_e32 v32, v32
	s_delay_alu instid0(TRANS32_DEP_1) | instskip(SKIP_1) | instid1(VALU_DEP_1)
	v_ldexp_f32 v32, v32, v65
	s_wait_alu 0xf1ff
	v_cndmask_b32_e64 v32, 0, v32, s13
	v_cmp_nlt_f32_e64 s13, 0x42b17218, v54
	v_sub_f32_e32 v54, v6, v2
	v_sub_f32_e32 v6, v29, v2
	s_wait_alu 0xf1ff
	s_delay_alu instid0(VALU_DEP_3) | instskip(NEXT) | instid1(VALU_DEP_2)
	v_cndmask_b32_e64 v32, 0x7f800000, v32, s13
	v_mul_f32_e32 v29, 0x3fb8aa3b, v6
	v_cmp_ngt_f32_e64 s13, 0xc2ce8ed0, v6
	s_delay_alu instid0(VALU_DEP_3) | instskip(SKIP_1) | instid1(VALU_DEP_4)
	v_fmac_f32_e32 v5, v60, v32
	v_cvt_f16_f32_e32 v32, v32
	v_fma_f32 v60, 0x3fb8aa3b, v6, -v29
	v_rndne_f32_e32 v65, v29
	s_delay_alu instid0(VALU_DEP_1) | instskip(NEXT) | instid1(VALU_DEP_1)
	v_dual_fmac_f32 v60, 0x32a5705f, v6 :: v_dual_sub_f32 v29, v29, v65
	v_add_f32_e32 v29, v29, v60
	v_cvt_i32_f32_e32 v60, v65
	s_delay_alu instid0(VALU_DEP_2) | instskip(NEXT) | instid1(TRANS32_DEP_1)
	v_exp_f32_e32 v29, v29
	v_ldexp_f32 v29, v29, v60
	s_wait_alu 0xf1ff
	s_delay_alu instid0(VALU_DEP_1) | instskip(SKIP_2) | instid1(VALU_DEP_1)
	v_cndmask_b32_e64 v29, 0, v29, s13
	v_cmp_nlt_f32_e64 s13, 0x42b17218, v6
	s_wait_alu 0xf1ff
	v_cndmask_b32_e64 v6, 0x7f800000, v29, s13
	v_sub_f32_e32 v29, v31, v2
	s_delay_alu instid0(VALU_DEP_1) | instskip(SKIP_1) | instid1(VALU_DEP_2)
	v_dual_cndmask_b32 v6, 0, v6 :: v_dual_mul_f32 v31, 0x3fb8aa3b, v29
	v_cmp_ngt_f32_e64 s13, 0xc2ce8ed0, v29
	v_cvt_f16_f32_e32 v60, v6
	s_delay_alu instid0(VALU_DEP_3) | instskip(SKIP_1) | instid1(VALU_DEP_2)
	v_fma_f32 v65, 0x3fb8aa3b, v29, -v31
	v_rndne_f32_e32 v66, v31
	v_fmac_f32_e32 v65, 0x32a5705f, v29
	s_delay_alu instid0(VALU_DEP_2) | instskip(NEXT) | instid1(VALU_DEP_1)
	v_sub_f32_e32 v31, v31, v66
	v_add_f32_e32 v31, v31, v65
	v_cvt_i32_f32_e32 v65, v66
	s_delay_alu instid0(VALU_DEP_2) | instskip(NEXT) | instid1(TRANS32_DEP_1)
	v_exp_f32_e32 v31, v31
	v_ldexp_f32 v31, v31, v65
	s_wait_alu 0xf1ff
	s_delay_alu instid0(VALU_DEP_1) | instskip(SKIP_2) | instid1(VALU_DEP_1)
	v_cndmask_b32_e64 v31, 0, v31, s13
	v_cmp_nlt_f32_e64 s13, 0x42b17218, v29
	s_wait_alu 0xf1ff
	v_cndmask_b32_e64 v29, 0x7f800000, v31, s13
	s_delay_alu instid0(VALU_DEP_1) | instskip(NEXT) | instid1(VALU_DEP_1)
	v_cndmask_b32_e64 v29, 0, v29, s10
	v_add_f32_e32 v6, v6, v29
	v_cvt_f16_f32_e32 v31, v29
	v_sub_f32_e32 v29, v33, v2
	s_delay_alu instid0(VALU_DEP_1) | instskip(SKIP_1) | instid1(VALU_DEP_2)
	v_mul_f32_e32 v33, 0x3fb8aa3b, v29
	v_cmp_ngt_f32_e64 s13, 0xc2ce8ed0, v29
	v_fma_f32 v65, 0x3fb8aa3b, v29, -v33
	v_rndne_f32_e32 v66, v33
	s_delay_alu instid0(VALU_DEP_2) | instskip(NEXT) | instid1(VALU_DEP_2)
	v_fmac_f32_e32 v65, 0x32a5705f, v29
	v_sub_f32_e32 v33, v33, v66
	s_delay_alu instid0(VALU_DEP_1) | instskip(SKIP_1) | instid1(VALU_DEP_2)
	v_add_f32_e32 v33, v33, v65
	v_cvt_i32_f32_e32 v65, v66
	v_exp_f32_e32 v33, v33
	s_delay_alu instid0(TRANS32_DEP_1) | instskip(SKIP_1) | instid1(VALU_DEP_1)
	v_ldexp_f32 v33, v33, v65
	s_wait_alu 0xf1ff
	v_cndmask_b32_e64 v33, 0, v33, s13
	v_cmp_nlt_f32_e64 s13, 0x42b17218, v29
	s_wait_alu 0xf1ff
	s_delay_alu instid0(VALU_DEP_1) | instskip(NEXT) | instid1(VALU_DEP_1)
	v_cndmask_b32_e64 v29, 0x7f800000, v33, s13
	v_cndmask_b32_e64 v29, 0, v29, s11
	s_delay_alu instid0(VALU_DEP_1) | instskip(SKIP_2) | instid1(VALU_DEP_1)
	v_add_f32_e32 v6, v29, v6
	v_cvt_f16_f32_e32 v33, v29
	v_sub_f32_e32 v29, v35, v2
	v_mul_f32_e32 v35, 0x3fb8aa3b, v29
	v_cmp_ngt_f32_e64 s13, 0xc2ce8ed0, v29
	s_delay_alu instid0(VALU_DEP_2) | instskip(SKIP_2) | instid1(VALU_DEP_3)
	v_fma_f32 v65, 0x3fb8aa3b, v29, -v35
	v_rndne_f32_e32 v66, v35
	v_and_b32_e32 v32, 0xffff, v32
	v_fmac_f32_e32 v65, 0x32a5705f, v29
	s_delay_alu instid0(VALU_DEP_3) | instskip(NEXT) | instid1(VALU_DEP_3)
	v_sub_f32_e32 v35, v35, v66
	v_mul_u32_u24_e32 v32, 0x10001, v32
	s_delay_alu instid0(VALU_DEP_2) | instskip(SKIP_1) | instid1(VALU_DEP_2)
	v_add_f32_e32 v35, v35, v65
	v_cvt_i32_f32_e32 v65, v66
	v_exp_f32_e32 v35, v35
	s_delay_alu instid0(TRANS32_DEP_1) | instskip(SKIP_1) | instid1(VALU_DEP_1)
	v_ldexp_f32 v35, v35, v65
	s_wait_alu 0xf1ff
	v_cndmask_b32_e64 v35, 0, v35, s13
	v_cmp_nlt_f32_e64 s13, 0x42b17218, v29
	s_wait_alu 0xf1ff
	s_delay_alu instid0(VALU_DEP_1) | instskip(SKIP_1) | instid1(VALU_DEP_2)
	v_cndmask_b32_e64 v29, 0x7f800000, v35, s13
	v_cmp_ngt_f32_e64 s13, 0xc2ce8ed0, v54
	v_cndmask_b32_e64 v29, 0, v29, s12
	s_delay_alu instid0(VALU_DEP_1) | instskip(SKIP_2) | instid1(VALU_DEP_1)
	v_add_f32_e32 v6, v29, v6
	v_cvt_f16_f32_e32 v35, v29
	v_mul_f32_e32 v29, 0x3fb8aa3b, v54
	v_fma_f32 v65, 0x3fb8aa3b, v54, -v29
	v_rndne_f32_e32 v66, v29
	s_delay_alu instid0(VALU_DEP_2) | instskip(NEXT) | instid1(VALU_DEP_2)
	v_fmac_f32_e32 v65, 0x32a5705f, v54
	v_sub_f32_e32 v29, v29, v66
	s_delay_alu instid0(VALU_DEP_1) | instskip(SKIP_1) | instid1(VALU_DEP_2)
	v_add_f32_e32 v29, v29, v65
	v_cvt_i32_f32_e32 v65, v66
	v_exp_f32_e32 v29, v29
	s_delay_alu instid0(TRANS32_DEP_1) | instskip(SKIP_1) | instid1(VALU_DEP_1)
	v_ldexp_f32 v29, v29, v65
	s_wait_alu 0xf1ff
	v_cndmask_b32_e64 v29, 0, v29, s13
	v_cmp_nlt_f32_e64 s13, 0x42b17218, v54
	v_sub_f32_e32 v54, v7, v3
	v_sub_f32_e32 v7, v27, v3
	s_wait_alu 0xf1ff
	s_delay_alu instid0(VALU_DEP_3) | instskip(NEXT) | instid1(VALU_DEP_2)
	v_cndmask_b32_e64 v29, 0x7f800000, v29, s13
	v_mul_f32_e32 v27, 0x3fb8aa3b, v7
	v_cmp_ngt_f32_e64 s13, 0xc2ce8ed0, v7
	s_delay_alu instid0(VALU_DEP_3) | instskip(SKIP_1) | instid1(VALU_DEP_4)
	v_fmac_f32_e32 v6, v62, v29
	v_cvt_f16_f32_e32 v29, v29
	v_fma_f32 v62, 0x3fb8aa3b, v7, -v27
	v_rndne_f32_e32 v65, v27
	s_delay_alu instid0(VALU_DEP_3) | instskip(NEXT) | instid1(VALU_DEP_2)
	v_and_b32_e32 v29, 0xffff, v29
	v_dual_fmac_f32 v62, 0x32a5705f, v7 :: v_dual_sub_f32 v27, v27, v65
	s_delay_alu instid0(VALU_DEP_2) | instskip(NEXT) | instid1(VALU_DEP_2)
	v_mul_u32_u24_e32 v29, 0x10001, v29
	v_add_f32_e32 v27, v27, v62
	v_cvt_i32_f32_e32 v62, v65
	s_delay_alu instid0(VALU_DEP_2) | instskip(NEXT) | instid1(TRANS32_DEP_1)
	v_exp_f32_e32 v27, v27
	v_ldexp_f32 v27, v27, v62
	v_mul_f32_e32 v62, 0x3fb8aa3b, v28
	s_wait_alu 0xf1ff
	s_delay_alu instid0(VALU_DEP_2) | instskip(NEXT) | instid1(VALU_DEP_2)
	v_cndmask_b32_e64 v27, 0, v27, s13
	v_fma_f32 v65, 0x3fb8aa3b, v28, -v62
	v_rndne_f32_e32 v66, v62
	v_cmp_nlt_f32_e64 s13, 0x42b17218, v7
	s_delay_alu instid0(VALU_DEP_2) | instskip(SKIP_1) | instid1(VALU_DEP_2)
	v_dual_fmac_f32 v65, 0x32a5705f, v28 :: v_dual_sub_f32 v62, v62, v66
	s_wait_alu 0xf1ff
	v_cndmask_b32_e64 v7, 0x7f800000, v27, s13
	s_delay_alu instid0(VALU_DEP_2) | instskip(SKIP_1) | instid1(VALU_DEP_2)
	v_add_f32_e32 v62, v62, v65
	v_cvt_i32_f32_e32 v65, v66
	v_exp_f32_e32 v62, v62
	s_delay_alu instid0(TRANS32_DEP_1) | instskip(SKIP_3) | instid1(VALU_DEP_3)
	v_ldexp_f32 v62, v62, v65
	v_cndmask_b32_e32 v7, 0, v7, vcc_lo
	v_cmp_ngt_f32_e32 vcc_lo, 0xc2ce8ed0, v28
	s_wait_alu 0xfffd
	v_cndmask_b32_e32 v62, 0, v62, vcc_lo
	v_cmp_nlt_f32_e32 vcc_lo, 0x42b17218, v28
	v_cvt_f16_f32_e32 v27, v7
	s_wait_alu 0xfffd
	s_delay_alu instid0(VALU_DEP_3) | instskip(NEXT) | instid1(VALU_DEP_1)
	v_cndmask_b32_e32 v28, 0x7f800000, v62, vcc_lo
	v_cndmask_b32_e64 v28, 0, v28, s10
	s_delay_alu instid0(VALU_DEP_1) | instskip(SKIP_2) | instid1(VALU_DEP_1)
	v_add_f32_e32 v7, v7, v28
	v_cvt_f16_f32_e32 v62, v28
	v_sub_f32_e32 v28, v30, v3
	v_mul_f32_e32 v30, 0x3fb8aa3b, v28
	v_cmp_ngt_f32_e32 vcc_lo, 0xc2ce8ed0, v28
	s_delay_alu instid0(VALU_DEP_2) | instskip(SKIP_1) | instid1(VALU_DEP_1)
	v_fma_f32 v65, 0x3fb8aa3b, v28, -v30
	v_rndne_f32_e32 v66, v30
	v_dual_fmac_f32 v65, 0x32a5705f, v28 :: v_dual_sub_f32 v30, v30, v66
	s_delay_alu instid0(VALU_DEP_1) | instskip(SKIP_1) | instid1(VALU_DEP_2)
	v_add_f32_e32 v30, v30, v65
	v_cvt_i32_f32_e32 v65, v66
	v_exp_f32_e32 v30, v30
	s_delay_alu instid0(TRANS32_DEP_1) | instskip(SKIP_1) | instid1(VALU_DEP_1)
	v_ldexp_f32 v30, v30, v65
	s_wait_alu 0xfffd
	v_cndmask_b32_e32 v30, 0, v30, vcc_lo
	v_cmp_nlt_f32_e32 vcc_lo, 0x42b17218, v28
	s_wait_alu 0xfffd
	s_delay_alu instid0(VALU_DEP_2) | instskip(SKIP_1) | instid1(VALU_DEP_2)
	v_cndmask_b32_e32 v28, 0x7f800000, v30, vcc_lo
	v_cmp_ngt_f32_e32 vcc_lo, 0xc2ce8ed0, v26
	v_cndmask_b32_e64 v28, 0, v28, s11
	s_wait_alu 0xfffe
	s_mul_u64 s[10:11], s[28:29], s[18:19]
	s_mov_b32 s28, 0
	s_wait_alu 0xfffe
	s_lshl_b64 s[10:11], s[10:11], 2
	s_mov_b32 s29, s28
	v_add_f32_e32 v7, v28, v7
	v_cvt_f16_f32_e32 v30, v28
	v_mul_f32_e32 v28, 0x3fb8aa3b, v26
	s_delay_alu instid0(VALU_DEP_1) | instskip(SKIP_1) | instid1(VALU_DEP_2)
	v_fma_f32 v65, 0x3fb8aa3b, v26, -v28
	v_rndne_f32_e32 v66, v28
	v_fmac_f32_e32 v65, 0x32a5705f, v26
	s_delay_alu instid0(VALU_DEP_2) | instskip(NEXT) | instid1(VALU_DEP_1)
	v_sub_f32_e32 v28, v28, v66
	v_add_f32_e32 v28, v28, v65
	v_cvt_i32_f32_e32 v65, v66
	s_delay_alu instid0(VALU_DEP_2) | instskip(NEXT) | instid1(TRANS32_DEP_1)
	v_exp_f32_e32 v28, v28
	v_ldexp_f32 v28, v28, v65
	s_wait_alu 0xfffd
	s_delay_alu instid0(VALU_DEP_1) | instskip(SKIP_2) | instid1(VALU_DEP_2)
	v_cndmask_b32_e32 v28, 0, v28, vcc_lo
	v_cmp_nlt_f32_e32 vcc_lo, 0x42b17218, v26
	s_wait_alu 0xfffd
	v_cndmask_b32_e32 v26, 0x7f800000, v28, vcc_lo
	v_cmp_ngt_f32_e32 vcc_lo, 0xc2ce8ed0, v54
	s_delay_alu instid0(VALU_DEP_2)
	v_cndmask_b32_e64 v26, 0, v26, s12
	s_wait_alu 0xfffe
	s_add_nc_u64 s[12:13], s[30:31], s[10:11]
	s_mov_b64 s[10:11], src_private_base
	s_lshl_b32 s10, s18, 4
	s_mov_b32 s30, s28
	v_add_f32_e32 v7, v26, v7
	v_cvt_f16_f32_e32 v65, v26
	v_mul_f32_e32 v26, 0x3fb8aa3b, v54
	s_delay_alu instid0(VALU_DEP_1) | instskip(SKIP_1) | instid1(VALU_DEP_2)
	v_fma_f32 v28, 0x3fb8aa3b, v54, -v26
	v_rndne_f32_e32 v66, v26
	v_fmac_f32_e32 v28, 0x32a5705f, v54
	s_delay_alu instid0(VALU_DEP_2) | instskip(NEXT) | instid1(VALU_DEP_1)
	v_sub_f32_e32 v26, v26, v66
	v_add_f32_e32 v26, v26, v28
	v_cvt_i32_f32_e32 v28, v66
	s_delay_alu instid0(VALU_DEP_2) | instskip(NEXT) | instid1(TRANS32_DEP_1)
	v_exp_f32_e32 v26, v26
	v_ldexp_f32 v26, v26, v28
	v_pack_b32_f16 v28, v60, v27
	v_pack_b32_f16 v27, v50, v61
	s_wait_alu 0xfffd
	s_delay_alu instid0(VALU_DEP_3) | instskip(SKIP_3) | instid1(VALU_DEP_3)
	v_cndmask_b32_e32 v26, 0, v26, vcc_lo
	v_cmp_nlt_f32_e32 vcc_lo, 0x42b17218, v54
	v_add_nc_u32_e32 v54, 0x4800, v8
	s_wait_alu 0xfffd
	v_cndmask_b32_e32 v26, 0x7f800000, v26, vcc_lo
	s_delay_alu instid0(VALU_DEP_2) | instskip(SKIP_1) | instid1(VALU_DEP_3)
	v_lshl_add_u32 v50, v55, 3, v54
	v_lshl_or_b32 v55, v22, 7, v17
	v_fmac_f32_e32 v7, v59, v26
	v_cvt_f16_f32_e32 v26, v26
	s_delay_alu instid0(VALU_DEP_1) | instskip(NEXT) | instid1(VALU_DEP_1)
	v_and_b32_e32 v26, 0xffff, v26
	v_mul_u32_u24_e32 v26, 0x10001, v26
	s_delay_alu instid0(VALU_DEP_1)
	v_pk_mul_f16 v26, v57, v26
	v_lshl_add_u32 v57, v44, 3, v54
	ds_store_b64 v57, v[27:28]
	v_pack_b32_f16 v28, v31, v62
	v_pack_b32_f16 v27, v51, v34
	v_lshl_add_u32 v31, v56, 3, v54
	ds_store_b64 v50, v[27:28]
	v_pack_b32_f16 v28, v33, v30
	v_pack_b32_f16 v27, v52, v63
	v_lshl_add_u32 v30, v58, 3, v54
	v_lshl_or_b32 v52, v21, 7, v17
	v_lshl_or_b32 v58, v23, 7, v17
	v_mov_b32_e32 v21, s28
	ds_store_b64 v31, v[27:28]
	v_pack_b32_f16 v28, v35, v65
	v_pack_b32_f16 v27, v53, v64
	v_lshl_or_b32 v35, v20, 7, v17
	v_dual_mov_b32 v65, 0 :: v_dual_mov_b32 v22, s29
	v_mov_b32_e32 v23, s30
	ds_store_b64 v30, v[27:28]
	v_mul_lo_u32 v30, s18, v18
	v_lshl_or_b32 v27, v18, 7, v17
	s_clause 0x1
	scratch_store_b32 off, v65, off
	scratch_store_b96 off, v[21:23], off offset:4
	v_ashrrev_i32_e32 v31, 31, v30
	s_delay_alu instid0(VALU_DEP_1) | instskip(SKIP_1) | instid1(VALU_DEP_1)
	v_lshlrev_b64_e32 v[33:34], 2, v[30:31]
	s_wait_alu 0xfffe
	v_add_co_u32 v18, vcc_lo, s12, v33
	s_wait_alu 0xfffd
	s_delay_alu instid0(VALU_DEP_2) | instskip(SKIP_1) | instid1(VALU_DEP_3)
	v_add_co_ci_u32_e64 v28, null, s13, v34, vcc_lo
	v_lshl_or_b32 v34, v19, 7, v17
	v_add_co_u32 v33, vcc_lo, v18, v17
	v_add_nc_u32_e32 v18, s10, v30
	s_wait_alu 0xfffd
	v_add_co_ci_u32_e64 v28, null, 0, v28, vcc_lo
	s_delay_alu instid0(VALU_DEP_2) | instskip(NEXT) | instid1(VALU_DEP_1)
	v_ashrrev_i32_e32 v19, 31, v18
	v_lshlrev_b64_e32 v[30:31], 2, v[18:19]
	v_add_nc_u32_e32 v18, s10, v18
	s_delay_alu instid0(VALU_DEP_2) | instskip(SKIP_1) | instid1(VALU_DEP_3)
	v_add_co_u32 v19, vcc_lo, s12, v30
	s_wait_alu 0xfffd
	v_add_co_ci_u32_e64 v30, null, s13, v31, vcc_lo
	s_delay_alu instid0(VALU_DEP_2) | instskip(SKIP_2) | instid1(VALU_DEP_3)
	v_add_co_u32 v31, vcc_lo, v19, v17
	v_ashrrev_i32_e32 v19, 31, v18
	s_wait_alu 0xfffd
	v_add_co_ci_u32_e64 v30, null, 0, v30, vcc_lo
	s_delay_alu instid0(VALU_DEP_2) | instskip(SKIP_1) | instid1(VALU_DEP_2)
	v_lshlrev_b64_e32 v[19:20], 2, v[18:19]
	v_add_nc_u32_e32 v18, s10, v18
	v_add_co_u32 v19, vcc_lo, s12, v19
	s_wait_alu 0xfffd
	s_delay_alu instid0(VALU_DEP_3) | instskip(NEXT) | instid1(VALU_DEP_2)
	v_add_co_ci_u32_e64 v20, null, s13, v20, vcc_lo
	v_add_co_u32 v50, vcc_lo, v19, v17
	v_ashrrev_i32_e32 v19, 31, v18
	s_wait_alu 0xfffd
	s_delay_alu instid0(VALU_DEP_3) | instskip(NEXT) | instid1(VALU_DEP_2)
	v_add_co_ci_u32_e64 v51, null, 0, v20, vcc_lo
	v_lshlrev_b64_e32 v[19:20], 2, v[18:19]
	v_add_nc_u32_e32 v18, s10, v18
	s_delay_alu instid0(VALU_DEP_2) | instskip(SKIP_1) | instid1(VALU_DEP_3)
	v_add_co_u32 v19, vcc_lo, s12, v19
	s_wait_alu 0xfffd
	v_add_co_ci_u32_e64 v20, null, s13, v20, vcc_lo
	s_delay_alu instid0(VALU_DEP_2) | instskip(SKIP_2) | instid1(VALU_DEP_3)
	v_add_co_u32 v53, vcc_lo, v19, v17
	v_ashrrev_i32_e32 v19, 31, v18
	s_wait_alu 0xfffd
	v_add_co_ci_u32_e64 v54, null, 0, v20, vcc_lo
	s_delay_alu instid0(VALU_DEP_2) | instskip(SKIP_1) | instid1(VALU_DEP_2)
	v_lshlrev_b64_e32 v[19:20], 2, v[18:19]
	v_add_nc_u32_e32 v18, s10, v18
	v_add_co_u32 v19, vcc_lo, s12, v19
	s_wait_alu 0xfffd
	s_delay_alu instid0(VALU_DEP_3) | instskip(NEXT) | instid1(VALU_DEP_2)
	v_add_co_ci_u32_e64 v20, null, s13, v20, vcc_lo
	v_add_co_u32 v56, vcc_lo, v19, v17
	v_ashrrev_i32_e32 v19, 31, v18
	s_wait_alu 0xfffd
	s_delay_alu instid0(VALU_DEP_3) | instskip(NEXT) | instid1(VALU_DEP_2)
	v_add_co_ci_u32_e64 v57, null, 0, v20, vcc_lo
	;; [unrolled: 23-line block ×3, first 2 shown]
	v_lshlrev_b64_e32 v[18:19], 2, v[18:19]
	s_delay_alu instid0(VALU_DEP_1) | instskip(SKIP_1) | instid1(VALU_DEP_2)
	v_add_co_u32 v18, vcc_lo, s12, v18
	s_wait_alu 0xfffd
	v_add_co_ci_u32_e64 v19, null, s13, v19, vcc_lo
	s_delay_alu instid0(VALU_DEP_2)
	v_add_co_u32 v63, vcc_lo, v18, v17
	v_cndmask_b32_e64 v18, s11, v28, s9
	v_cndmask_b32_e64 v17, 0, v33, s9
	s_wait_alu 0xfffd
	v_add_co_ci_u32_e64 v64, null, 0, v19, vcc_lo
	flat_load_b128 v[17:20], v[17:18]
	s_wait_loadcnt_dscnt 0x0
	ds_store_b128 v27, v[17:20]
	v_cndmask_b32_e64 v18, s11, v30, s8
	v_cndmask_b32_e64 v17, 0, v31, s8
	s_clause 0x1
	scratch_store_b32 off, v65, off
	scratch_store_b96 off, v[21:23], off offset:4
	flat_load_b128 v[17:20], v[17:18]
	s_wait_loadcnt_dscnt 0x0
	ds_store_b128 v34, v[17:20]
	v_cndmask_b32_e64 v18, s11, v51, s7
	v_cndmask_b32_e64 v17, 0, v50, s7
	s_clause 0x1
	scratch_store_b32 off, v65, off
	scratch_store_b96 off, v[21:23], off offset:4
	;; [unrolled: 8-line block ×5, first 2 shown]
	v_dual_mov_b32 v59, v7 :: v_dual_mov_b32 v60, v5
	flat_load_b128 v[17:20], v[17:18]
	s_wait_loadcnt_dscnt 0x0
	ds_store_b128 v58, v[17:20]
	v_cndmask_b32_e64 v18, s11, v62, s3
	v_cndmask_b32_e64 v17, 0, v61, s3
	s_clause 0x1
	scratch_store_b32 off, v65, off
	scratch_store_b96 off, v[21:23], off offset:4
	v_dual_mov_b32 v62, v6 :: v_dual_mov_b32 v61, v4
	v_mov_b32_e32 v7, v3
	flat_load_b128 v[17:20], v[17:18]
	v_dual_mov_b32 v5, v1 :: v_dual_mov_b32 v6, v2
	v_mov_b32_e32 v4, v0
	s_wait_loadcnt_dscnt 0x0
	ds_store_b128 v24, v[17:20]
	v_cndmask_b32_e64 v18, s11, v64, s2
	v_cndmask_b32_e64 v17, 0, v63, s2
	s_clause 0x1
	scratch_store_b32 off, v65, off
	scratch_store_b96 off, v[21:23], off offset:4
	flat_load_b128 v[17:20], v[17:18]
	s_wait_loadcnt_dscnt 0x0
	ds_store_b128 v25, v[17:20]
	s_wait_storecnt_dscnt 0x0
	s_barrier_signal -1
	s_barrier_wait -1
	global_inv scope:SCOPE_SE
	ds_load_2addr_b32 v[27:28], v46 offset1:32
	ds_load_b128 v[17:20], v8 offset:18432
	ds_load_b128 v[21:24], v8 offset:18448
	;; [unrolled: 1-line block ×4, first 2 shown]
	s_wait_dscnt 0x3
	v_lshrrev_b32_e32 v25, 16, v17
	v_and_b32_e32 v17, 0xffff, v17
	v_lshrrev_b32_e32 v30, 16, v18
	v_and_b32_e32 v18, 0xffff, v18
	s_delay_alu instid0(VALU_DEP_4) | instskip(NEXT) | instid1(VALU_DEP_4)
	v_mul_u32_u24_e32 v25, 0x10001, v25
	v_mul_u32_u24_e32 v17, 0x10001, v17
	s_delay_alu instid0(VALU_DEP_4) | instskip(NEXT) | instid1(VALU_DEP_4)
	v_mul_u32_u24_e32 v30, 0x10001, v30
	v_mul_u32_u24_e32 v18, 0x10001, v18
	s_delay_alu instid0(VALU_DEP_3) | instskip(NEXT) | instid1(VALU_DEP_2)
	v_pk_mul_f16 v17, v27, v17
	v_pk_mul_f16 v18, v27, v18
	s_delay_alu instid0(VALU_DEP_2)
	v_pk_fma_f16 v9, v49, v9, v17
	v_pk_mul_f16 v17, v27, v25
	v_pk_fma_f16 v25, v27, v30, v26
	v_lshrrev_b32_e32 v26, 16, v19
	v_lshrrev_b32_e32 v27, 16, v20
	v_and_b32_e32 v19, 0xffff, v19
	v_and_b32_e32 v20, 0xffff, v20
	v_pk_fma_f16 v17, v48, v32, v17
	v_pk_fma_f16 v18, v47, v29, v18
	v_mul_u32_u24_e32 v26, 0x10001, v26
	v_mul_u32_u24_e32 v19, 0x10001, v19
	v_mul_u32_u24_e32 v20, 0x10001, v20
	v_mul_u32_u24_e32 v27, 0x10001, v27
	s_delay_alu instid0(VALU_DEP_3) | instskip(SKIP_1) | instid1(VALU_DEP_4)
	v_pk_fma_f16 v9, v28, v19, v9
	v_pk_fma_f16 v19, v28, v26, v17
	;; [unrolled: 1-line block ×3, first 2 shown]
	ds_load_2addr_b32 v[17:18], v46 offset0:64 offset1:96
	v_pk_fma_f16 v25, v28, v27, v25
	s_wait_dscnt 0x3
	v_lshrrev_b32_e32 v26, 16, v21
	v_lshrrev_b32_e32 v27, 16, v22
	v_and_b32_e32 v21, 0xffff, v21
	v_and_b32_e32 v22, 0xffff, v22
	s_delay_alu instid0(VALU_DEP_4) | instskip(NEXT) | instid1(VALU_DEP_4)
	v_mul_u32_u24_e32 v26, 0x10001, v26
	v_mul_u32_u24_e32 v27, 0x10001, v27
	s_delay_alu instid0(VALU_DEP_4) | instskip(NEXT) | instid1(VALU_DEP_4)
	v_mul_u32_u24_e32 v21, 0x10001, v21
	v_mul_u32_u24_e32 v22, 0x10001, v22
	s_wait_dscnt 0x0
	s_delay_alu instid0(VALU_DEP_2) | instskip(NEXT) | instid1(VALU_DEP_2)
	v_pk_fma_f16 v9, v17, v21, v9
	v_pk_fma_f16 v20, v17, v22, v20
	v_lshrrev_b32_e32 v21, 16, v23
	v_lshrrev_b32_e32 v22, 16, v24
	v_and_b32_e32 v23, 0xffff, v23
	v_and_b32_e32 v24, 0xffff, v24
	v_pk_fma_f16 v19, v17, v26, v19
	v_pk_fma_f16 v17, v17, v27, v25
	v_mul_u32_u24_e32 v21, 0x10001, v21
	v_mul_u32_u24_e32 v23, 0x10001, v23
	;; [unrolled: 1-line block ×4, first 2 shown]
	v_and_b32_e32 v25, 0xffff, v51
	v_pk_fma_f16 v19, v18, v21, v19
	v_pk_fma_f16 v9, v18, v23, v9
	;; [unrolled: 1-line block ×4, first 2 shown]
	ds_load_2addr_b32 v[17:18], v46 offset0:128 offset1:160
	v_lshrrev_b32_e32 v22, 16, v50
	v_lshrrev_b32_e32 v23, 16, v51
	v_and_b32_e32 v24, 0xffff, v50
	v_mul_u32_u24_e32 v25, 0x10001, v25
	v_add_nc_u32_e32 v26, 0x400, v46
	v_mul_u32_u24_e32 v22, 0x10001, v22
	v_mul_u32_u24_e32 v23, 0x10001, v23
	;; [unrolled: 1-line block ×3, first 2 shown]
	s_wait_dscnt 0x0
	s_delay_alu instid0(VALU_DEP_1)
	v_pk_fma_f16 v9, v17, v24, v9
	v_pk_fma_f16 v19, v17, v22, v19
	;; [unrolled: 1-line block ×4, first 2 shown]
	v_lshrrev_b32_e32 v21, 16, v52
	v_lshrrev_b32_e32 v22, 16, v53
	v_and_b32_e32 v23, 0xffff, v52
	v_and_b32_e32 v24, 0xffff, v53
	v_and_b32_e32 v25, 0xffff, v55
	v_mul_u32_u24_e32 v21, 0x10001, v21
	v_mul_u32_u24_e32 v22, 0x10001, v22
	;; [unrolled: 1-line block ×5, first 2 shown]
	v_pk_fma_f16 v19, v18, v21, v19
	v_pk_fma_f16 v21, v18, v22, v17
	;; [unrolled: 1-line block ×4, first 2 shown]
	ds_load_2addr_b32 v[17:18], v46 offset0:192 offset1:224
	v_lshrrev_b32_e32 v22, 16, v54
	v_lshrrev_b32_e32 v23, 16, v55
	v_and_b32_e32 v24, 0xffff, v54
	s_delay_alu instid0(VALU_DEP_3) | instskip(NEXT) | instid1(VALU_DEP_3)
	v_mul_u32_u24_e32 v22, 0x10001, v22
	v_mul_u32_u24_e32 v23, 0x10001, v23
	s_delay_alu instid0(VALU_DEP_3) | instskip(SKIP_1) | instid1(VALU_DEP_1)
	v_mul_u32_u24_e32 v24, 0x10001, v24
	s_wait_dscnt 0x0
	v_pk_fma_f16 v9, v17, v24, v9
	v_pk_fma_f16 v19, v17, v22, v19
	;; [unrolled: 1-line block ×4, first 2 shown]
	v_lshrrev_b32_e32 v21, 16, v56
	v_lshrrev_b32_e32 v22, 16, v57
	v_and_b32_e32 v23, 0xffff, v56
	v_and_b32_e32 v24, 0xffff, v57
	s_delay_alu instid0(VALU_DEP_4) | instskip(NEXT) | instid1(VALU_DEP_4)
	v_mul_u32_u24_e32 v21, 0x10001, v21
	v_mul_u32_u24_e32 v22, 0x10001, v22
	s_delay_alu instid0(VALU_DEP_4) | instskip(NEXT) | instid1(VALU_DEP_4)
	v_mul_u32_u24_e32 v23, 0x10001, v23
	v_mul_u32_u24_e32 v24, 0x10001, v24
	s_delay_alu instid0(VALU_DEP_3) | instskip(NEXT) | instid1(VALU_DEP_3)
	v_pk_fma_f16 v25, v18, v22, v17
	v_pk_fma_f16 v9, v18, v23, v9
	;; [unrolled: 1-line block ×3, first 2 shown]
	s_delay_alu instid0(VALU_DEP_4)
	v_pk_fma_f16 v24, v18, v24, v20
	ds_load_2addr_b32 v[21:22], v26 offset1:32
	ds_load_b128 v[17:20], v8 offset:18496
	s_wait_dscnt 0x0
	v_lshrrev_b32_e32 v27, 16, v17
	v_lshrrev_b32_e32 v28, 16, v18
	v_and_b32_e32 v17, 0xffff, v17
	v_and_b32_e32 v18, 0xffff, v18
	s_delay_alu instid0(VALU_DEP_4) | instskip(NEXT) | instid1(VALU_DEP_4)
	v_mul_u32_u24_e32 v27, 0x10001, v27
	v_mul_u32_u24_e32 v28, 0x10001, v28
	s_delay_alu instid0(VALU_DEP_4) | instskip(NEXT) | instid1(VALU_DEP_4)
	v_mul_u32_u24_e32 v17, 0x10001, v17
	v_mul_u32_u24_e32 v18, 0x10001, v18
	s_delay_alu instid0(VALU_DEP_2) | instskip(SKIP_1) | instid1(VALU_DEP_3)
	v_pk_fma_f16 v9, v21, v17, v9
	v_pk_fma_f16 v17, v21, v27, v23
	;; [unrolled: 1-line block ×3, first 2 shown]
	v_lshrrev_b32_e32 v23, 16, v19
	v_lshrrev_b32_e32 v24, 16, v20
	v_and_b32_e32 v19, 0xffff, v19
	v_and_b32_e32 v20, 0xffff, v20
	v_pk_fma_f16 v21, v21, v28, v25
	v_mul_u32_u24_e32 v23, 0x10001, v23
	v_mul_u32_u24_e32 v24, 0x10001, v24
	v_mul_u32_u24_e32 v19, 0x10001, v19
	v_mul_u32_u24_e32 v20, 0x10001, v20
	s_delay_alu instid0(VALU_DEP_4) | instskip(NEXT) | instid1(VALU_DEP_4)
	v_pk_fma_f16 v23, v22, v23, v17
	v_pk_fma_f16 v24, v22, v24, v21
	s_delay_alu instid0(VALU_DEP_4) | instskip(NEXT) | instid1(VALU_DEP_4)
	v_pk_fma_f16 v9, v22, v19, v9
	v_pk_fma_f16 v25, v22, v20, v18
	ds_load_2addr_b32 v[21:22], v26 offset0:64 offset1:96
	ds_load_b128 v[17:20], v8 offset:18512
	s_wait_dscnt 0x0
	v_lshrrev_b32_e32 v27, 16, v17
	v_lshrrev_b32_e32 v28, 16, v18
	v_and_b32_e32 v17, 0xffff, v17
	v_and_b32_e32 v18, 0xffff, v18
	s_delay_alu instid0(VALU_DEP_4) | instskip(NEXT) | instid1(VALU_DEP_4)
	v_mul_u32_u24_e32 v27, 0x10001, v27
	v_mul_u32_u24_e32 v28, 0x10001, v28
	s_delay_alu instid0(VALU_DEP_4) | instskip(NEXT) | instid1(VALU_DEP_4)
	v_mul_u32_u24_e32 v17, 0x10001, v17
	v_mul_u32_u24_e32 v18, 0x10001, v18
	s_delay_alu instid0(VALU_DEP_2) | instskip(SKIP_1) | instid1(VALU_DEP_3)
	v_pk_fma_f16 v9, v21, v17, v9
	v_pk_fma_f16 v17, v21, v27, v23
	;; [unrolled: 1-line block ×4, first 2 shown]
	v_lshrrev_b32_e32 v23, 16, v19
	v_lshrrev_b32_e32 v24, 16, v20
	v_and_b32_e32 v19, 0xffff, v19
	v_and_b32_e32 v20, 0xffff, v20
	s_delay_alu instid0(VALU_DEP_4) | instskip(NEXT) | instid1(VALU_DEP_4)
	v_mul_u32_u24_e32 v23, 0x10001, v23
	v_mul_u32_u24_e32 v24, 0x10001, v24
	s_delay_alu instid0(VALU_DEP_4) | instskip(NEXT) | instid1(VALU_DEP_4)
	v_mul_u32_u24_e32 v19, 0x10001, v19
	v_mul_u32_u24_e32 v20, 0x10001, v20
	s_delay_alu instid0(VALU_DEP_4) | instskip(NEXT) | instid1(VALU_DEP_4)
	v_pk_fma_f16 v23, v22, v23, v17
	v_pk_fma_f16 v24, v22, v24, v21
	s_delay_alu instid0(VALU_DEP_4) | instskip(NEXT) | instid1(VALU_DEP_4)
	v_pk_fma_f16 v9, v22, v19, v9
	v_pk_fma_f16 v25, v22, v20, v18
	ds_load_2addr_b32 v[21:22], v26 offset0:128 offset1:160
	ds_load_b128 v[17:20], v8 offset:18528
	s_wait_dscnt 0x0
	v_lshrrev_b32_e32 v27, 16, v17
	v_lshrrev_b32_e32 v28, 16, v18
	v_and_b32_e32 v17, 0xffff, v17
	v_and_b32_e32 v18, 0xffff, v18
	s_delay_alu instid0(VALU_DEP_4) | instskip(NEXT) | instid1(VALU_DEP_4)
	v_mul_u32_u24_e32 v27, 0x10001, v27
	v_mul_u32_u24_e32 v28, 0x10001, v28
	s_delay_alu instid0(VALU_DEP_4) | instskip(NEXT) | instid1(VALU_DEP_4)
	v_mul_u32_u24_e32 v17, 0x10001, v17
	v_mul_u32_u24_e32 v18, 0x10001, v18
	s_delay_alu instid0(VALU_DEP_2) | instskip(SKIP_1) | instid1(VALU_DEP_3)
	v_pk_fma_f16 v9, v21, v17, v9
	v_pk_fma_f16 v17, v21, v27, v23
	;; [unrolled: 1-line block ×4, first 2 shown]
	v_lshrrev_b32_e32 v23, 16, v19
	v_lshrrev_b32_e32 v24, 16, v20
	v_and_b32_e32 v19, 0xffff, v19
	v_and_b32_e32 v20, 0xffff, v20
	s_delay_alu instid0(VALU_DEP_4) | instskip(NEXT) | instid1(VALU_DEP_4)
	v_mul_u32_u24_e32 v23, 0x10001, v23
	v_mul_u32_u24_e32 v24, 0x10001, v24
	s_delay_alu instid0(VALU_DEP_4) | instskip(NEXT) | instid1(VALU_DEP_4)
	v_mul_u32_u24_e32 v19, 0x10001, v19
	v_mul_u32_u24_e32 v20, 0x10001, v20
	s_delay_alu instid0(VALU_DEP_4) | instskip(NEXT) | instid1(VALU_DEP_4)
	v_pk_fma_f16 v23, v22, v23, v17
	v_pk_fma_f16 v24, v22, v24, v21
	s_delay_alu instid0(VALU_DEP_4) | instskip(NEXT) | instid1(VALU_DEP_4)
	v_pk_fma_f16 v9, v22, v19, v9
	v_pk_fma_f16 v25, v22, v20, v18
	ds_load_2addr_b32 v[21:22], v26 offset0:192 offset1:224
	ds_load_b128 v[17:20], v8 offset:18544
	s_wait_dscnt 0x0
	v_lshrrev_b32_e32 v26, 16, v17
	v_lshrrev_b32_e32 v27, 16, v18
	v_and_b32_e32 v17, 0xffff, v17
	v_and_b32_e32 v18, 0xffff, v18
	s_delay_alu instid0(VALU_DEP_4) | instskip(NEXT) | instid1(VALU_DEP_4)
	v_mul_u32_u24_e32 v26, 0x10001, v26
	v_mul_u32_u24_e32 v27, 0x10001, v27
	s_delay_alu instid0(VALU_DEP_4) | instskip(NEXT) | instid1(VALU_DEP_4)
	v_mul_u32_u24_e32 v17, 0x10001, v17
	v_mul_u32_u24_e32 v18, 0x10001, v18
	s_delay_alu instid0(VALU_DEP_2) | instskip(SKIP_1) | instid1(VALU_DEP_3)
	v_pk_fma_f16 v9, v21, v17, v9
	v_pk_fma_f16 v17, v21, v26, v23
	v_pk_fma_f16 v18, v21, v18, v25
	v_pk_fma_f16 v21, v21, v27, v24
	v_lshrrev_b32_e32 v23, 16, v19
	v_lshrrev_b32_e32 v24, 16, v20
	v_and_b32_e32 v19, 0xffff, v19
	v_and_b32_e32 v20, 0xffff, v20
	v_add_nc_u32_e32 v26, 0x800, v46
	v_mul_u32_u24_e32 v23, 0x10001, v23
	v_mul_u32_u24_e32 v24, 0x10001, v24
	v_mul_u32_u24_e32 v19, 0x10001, v19
	v_mul_u32_u24_e32 v20, 0x10001, v20
	s_delay_alu instid0(VALU_DEP_4) | instskip(NEXT) | instid1(VALU_DEP_4)
	v_pk_fma_f16 v23, v22, v23, v17
	v_pk_fma_f16 v24, v22, v24, v21
	s_delay_alu instid0(VALU_DEP_4) | instskip(NEXT) | instid1(VALU_DEP_4)
	v_pk_fma_f16 v9, v22, v19, v9
	v_pk_fma_f16 v25, v22, v20, v18
	ds_load_2addr_b32 v[21:22], v26 offset1:32
	ds_load_b128 v[17:20], v8 offset:18560
	s_wait_dscnt 0x0
	v_lshrrev_b32_e32 v27, 16, v17
	v_lshrrev_b32_e32 v28, 16, v18
	v_and_b32_e32 v17, 0xffff, v17
	v_and_b32_e32 v18, 0xffff, v18
	s_delay_alu instid0(VALU_DEP_4) | instskip(NEXT) | instid1(VALU_DEP_4)
	v_mul_u32_u24_e32 v27, 0x10001, v27
	v_mul_u32_u24_e32 v28, 0x10001, v28
	s_delay_alu instid0(VALU_DEP_4) | instskip(NEXT) | instid1(VALU_DEP_4)
	v_mul_u32_u24_e32 v17, 0x10001, v17
	v_mul_u32_u24_e32 v18, 0x10001, v18
	s_delay_alu instid0(VALU_DEP_2) | instskip(SKIP_1) | instid1(VALU_DEP_3)
	v_pk_fma_f16 v9, v21, v17, v9
	v_pk_fma_f16 v17, v21, v27, v23
	v_pk_fma_f16 v18, v21, v18, v25
	v_pk_fma_f16 v21, v21, v28, v24
	v_lshrrev_b32_e32 v23, 16, v19
	v_lshrrev_b32_e32 v24, 16, v20
	v_and_b32_e32 v19, 0xffff, v19
	v_and_b32_e32 v20, 0xffff, v20
	s_delay_alu instid0(VALU_DEP_4) | instskip(NEXT) | instid1(VALU_DEP_4)
	v_mul_u32_u24_e32 v23, 0x10001, v23
	v_mul_u32_u24_e32 v24, 0x10001, v24
	s_delay_alu instid0(VALU_DEP_4) | instskip(NEXT) | instid1(VALU_DEP_4)
	v_mul_u32_u24_e32 v19, 0x10001, v19
	v_mul_u32_u24_e32 v20, 0x10001, v20
	s_delay_alu instid0(VALU_DEP_4) | instskip(NEXT) | instid1(VALU_DEP_4)
	v_pk_fma_f16 v23, v22, v23, v17
	v_pk_fma_f16 v24, v22, v24, v21
	s_delay_alu instid0(VALU_DEP_4) | instskip(NEXT) | instid1(VALU_DEP_4)
	v_pk_fma_f16 v9, v22, v19, v9
	v_pk_fma_f16 v25, v22, v20, v18
	ds_load_2addr_b32 v[21:22], v26 offset0:64 offset1:96
	ds_load_b128 v[17:20], v8 offset:18576
	s_wait_dscnt 0x0
	v_lshrrev_b32_e32 v27, 16, v17
	v_lshrrev_b32_e32 v28, 16, v18
	v_and_b32_e32 v17, 0xffff, v17
	v_and_b32_e32 v18, 0xffff, v18
	s_delay_alu instid0(VALU_DEP_4) | instskip(NEXT) | instid1(VALU_DEP_4)
	v_mul_u32_u24_e32 v27, 0x10001, v27
	v_mul_u32_u24_e32 v28, 0x10001, v28
	s_delay_alu instid0(VALU_DEP_4) | instskip(NEXT) | instid1(VALU_DEP_4)
	v_mul_u32_u24_e32 v17, 0x10001, v17
	v_mul_u32_u24_e32 v18, 0x10001, v18
	s_delay_alu instid0(VALU_DEP_2) | instskip(SKIP_1) | instid1(VALU_DEP_3)
	v_pk_fma_f16 v9, v21, v17, v9
	v_pk_fma_f16 v17, v21, v27, v23
	v_pk_fma_f16 v18, v21, v18, v25
	v_pk_fma_f16 v21, v21, v28, v24
	v_lshrrev_b32_e32 v23, 16, v19
	v_lshrrev_b32_e32 v24, 16, v20
	v_and_b32_e32 v19, 0xffff, v19
	v_and_b32_e32 v20, 0xffff, v20
	s_delay_alu instid0(VALU_DEP_4) | instskip(NEXT) | instid1(VALU_DEP_4)
	v_mul_u32_u24_e32 v23, 0x10001, v23
	v_mul_u32_u24_e32 v24, 0x10001, v24
	s_delay_alu instid0(VALU_DEP_4) | instskip(NEXT) | instid1(VALU_DEP_4)
	v_mul_u32_u24_e32 v19, 0x10001, v19
	v_mul_u32_u24_e32 v20, 0x10001, v20
	s_delay_alu instid0(VALU_DEP_4) | instskip(NEXT) | instid1(VALU_DEP_4)
	v_pk_fma_f16 v23, v22, v23, v17
	v_pk_fma_f16 v24, v22, v24, v21
	s_delay_alu instid0(VALU_DEP_4) | instskip(NEXT) | instid1(VALU_DEP_4)
	v_pk_fma_f16 v9, v22, v19, v9
	v_pk_fma_f16 v25, v22, v20, v18
	ds_load_2addr_b32 v[21:22], v26 offset0:128 offset1:160
	;; [unrolled: 34-line block ×3, first 2 shown]
	ds_load_b128 v[17:20], v8 offset:18608
	s_wait_dscnt 0x0
	v_lshrrev_b32_e32 v26, 16, v17
	v_lshrrev_b32_e32 v27, 16, v18
	v_and_b32_e32 v17, 0xffff, v17
	v_and_b32_e32 v18, 0xffff, v18
	s_delay_alu instid0(VALU_DEP_4) | instskip(NEXT) | instid1(VALU_DEP_4)
	v_mul_u32_u24_e32 v26, 0x10001, v26
	v_mul_u32_u24_e32 v27, 0x10001, v27
	s_delay_alu instid0(VALU_DEP_4) | instskip(NEXT) | instid1(VALU_DEP_4)
	v_mul_u32_u24_e32 v17, 0x10001, v17
	v_mul_u32_u24_e32 v18, 0x10001, v18
	s_delay_alu instid0(VALU_DEP_2) | instskip(SKIP_1) | instid1(VALU_DEP_3)
	v_pk_fma_f16 v9, v21, v17, v9
	v_pk_fma_f16 v17, v21, v26, v23
	;; [unrolled: 1-line block ×4, first 2 shown]
	v_lshrrev_b32_e32 v23, 16, v19
	v_lshrrev_b32_e32 v24, 16, v20
	v_and_b32_e32 v19, 0xffff, v19
	v_and_b32_e32 v20, 0xffff, v20
	v_add_nc_u32_e32 v26, 0xc00, v46
	v_mul_u32_u24_e32 v23, 0x10001, v23
	v_mul_u32_u24_e32 v24, 0x10001, v24
	;; [unrolled: 1-line block ×4, first 2 shown]
	s_delay_alu instid0(VALU_DEP_4) | instskip(NEXT) | instid1(VALU_DEP_4)
	v_pk_fma_f16 v23, v22, v23, v17
	v_pk_fma_f16 v24, v22, v24, v21
	s_delay_alu instid0(VALU_DEP_4) | instskip(NEXT) | instid1(VALU_DEP_4)
	v_pk_fma_f16 v9, v22, v19, v9
	v_pk_fma_f16 v25, v22, v20, v18
	ds_load_2addr_b32 v[21:22], v26 offset1:32
	ds_load_b128 v[17:20], v8 offset:18624
	s_wait_dscnt 0x0
	v_lshrrev_b32_e32 v27, 16, v17
	v_lshrrev_b32_e32 v28, 16, v18
	v_and_b32_e32 v17, 0xffff, v17
	v_and_b32_e32 v18, 0xffff, v18
	s_delay_alu instid0(VALU_DEP_4) | instskip(NEXT) | instid1(VALU_DEP_4)
	v_mul_u32_u24_e32 v27, 0x10001, v27
	v_mul_u32_u24_e32 v28, 0x10001, v28
	s_delay_alu instid0(VALU_DEP_4) | instskip(NEXT) | instid1(VALU_DEP_4)
	v_mul_u32_u24_e32 v17, 0x10001, v17
	v_mul_u32_u24_e32 v18, 0x10001, v18
	s_delay_alu instid0(VALU_DEP_2) | instskip(SKIP_1) | instid1(VALU_DEP_3)
	v_pk_fma_f16 v9, v21, v17, v9
	v_pk_fma_f16 v17, v21, v27, v23
	v_pk_fma_f16 v18, v21, v18, v25
	v_pk_fma_f16 v21, v21, v28, v24
	v_lshrrev_b32_e32 v23, 16, v19
	v_lshrrev_b32_e32 v24, 16, v20
	v_and_b32_e32 v19, 0xffff, v19
	v_and_b32_e32 v20, 0xffff, v20
	s_delay_alu instid0(VALU_DEP_4) | instskip(NEXT) | instid1(VALU_DEP_4)
	v_mul_u32_u24_e32 v23, 0x10001, v23
	v_mul_u32_u24_e32 v24, 0x10001, v24
	s_delay_alu instid0(VALU_DEP_4) | instskip(NEXT) | instid1(VALU_DEP_4)
	v_mul_u32_u24_e32 v19, 0x10001, v19
	v_mul_u32_u24_e32 v20, 0x10001, v20
	s_delay_alu instid0(VALU_DEP_4) | instskip(NEXT) | instid1(VALU_DEP_4)
	v_pk_fma_f16 v23, v22, v23, v17
	v_pk_fma_f16 v24, v22, v24, v21
	s_delay_alu instid0(VALU_DEP_4) | instskip(NEXT) | instid1(VALU_DEP_4)
	v_pk_fma_f16 v9, v22, v19, v9
	v_pk_fma_f16 v25, v22, v20, v18
	ds_load_2addr_b32 v[21:22], v26 offset0:64 offset1:96
	ds_load_b128 v[17:20], v8 offset:18640
	s_wait_dscnt 0x0
	v_lshrrev_b32_e32 v27, 16, v17
	v_lshrrev_b32_e32 v28, 16, v18
	v_and_b32_e32 v17, 0xffff, v17
	v_and_b32_e32 v18, 0xffff, v18
	s_delay_alu instid0(VALU_DEP_4) | instskip(NEXT) | instid1(VALU_DEP_4)
	v_mul_u32_u24_e32 v27, 0x10001, v27
	v_mul_u32_u24_e32 v28, 0x10001, v28
	s_delay_alu instid0(VALU_DEP_4) | instskip(NEXT) | instid1(VALU_DEP_4)
	v_mul_u32_u24_e32 v17, 0x10001, v17
	v_mul_u32_u24_e32 v18, 0x10001, v18
	s_delay_alu instid0(VALU_DEP_2) | instskip(SKIP_1) | instid1(VALU_DEP_3)
	v_pk_fma_f16 v9, v21, v17, v9
	v_pk_fma_f16 v17, v21, v27, v23
	v_pk_fma_f16 v18, v21, v18, v25
	v_pk_fma_f16 v21, v21, v28, v24
	v_lshrrev_b32_e32 v23, 16, v19
	v_lshrrev_b32_e32 v24, 16, v20
	v_and_b32_e32 v19, 0xffff, v19
	v_and_b32_e32 v20, 0xffff, v20
	s_delay_alu instid0(VALU_DEP_4) | instskip(NEXT) | instid1(VALU_DEP_4)
	v_mul_u32_u24_e32 v23, 0x10001, v23
	v_mul_u32_u24_e32 v24, 0x10001, v24
	s_delay_alu instid0(VALU_DEP_4) | instskip(NEXT) | instid1(VALU_DEP_4)
	v_mul_u32_u24_e32 v19, 0x10001, v19
	v_mul_u32_u24_e32 v20, 0x10001, v20
	s_delay_alu instid0(VALU_DEP_4) | instskip(NEXT) | instid1(VALU_DEP_4)
	v_pk_fma_f16 v23, v22, v23, v17
	v_pk_fma_f16 v24, v22, v24, v21
	s_delay_alu instid0(VALU_DEP_4) | instskip(NEXT) | instid1(VALU_DEP_4)
	v_pk_fma_f16 v9, v22, v19, v9
	v_pk_fma_f16 v25, v22, v20, v18
	ds_load_2addr_b32 v[21:22], v26 offset0:128 offset1:160
	;; [unrolled: 34-line block ×3, first 2 shown]
	ds_load_b128 v[17:20], v8 offset:18672
	s_wait_dscnt 0x0
	v_lshrrev_b32_e32 v26, 16, v17
	v_lshrrev_b32_e32 v27, 16, v18
	v_and_b32_e32 v17, 0xffff, v17
	v_and_b32_e32 v18, 0xffff, v18
	s_delay_alu instid0(VALU_DEP_4) | instskip(NEXT) | instid1(VALU_DEP_4)
	v_mul_u32_u24_e32 v26, 0x10001, v26
	v_mul_u32_u24_e32 v27, 0x10001, v27
	s_delay_alu instid0(VALU_DEP_4) | instskip(NEXT) | instid1(VALU_DEP_4)
	v_mul_u32_u24_e32 v17, 0x10001, v17
	v_mul_u32_u24_e32 v18, 0x10001, v18
	s_delay_alu instid0(VALU_DEP_2) | instskip(SKIP_1) | instid1(VALU_DEP_3)
	v_pk_fma_f16 v9, v21, v17, v9
	v_pk_fma_f16 v17, v21, v26, v23
	;; [unrolled: 1-line block ×4, first 2 shown]
	v_lshrrev_b32_e32 v23, 16, v19
	v_lshrrev_b32_e32 v24, 16, v20
	v_and_b32_e32 v19, 0xffff, v19
	v_and_b32_e32 v20, 0xffff, v20
	v_add_nc_u32_e32 v26, 0x1000, v46
	v_mul_u32_u24_e32 v23, 0x10001, v23
	v_mul_u32_u24_e32 v24, 0x10001, v24
	;; [unrolled: 1-line block ×4, first 2 shown]
	s_delay_alu instid0(VALU_DEP_4) | instskip(NEXT) | instid1(VALU_DEP_4)
	v_pk_fma_f16 v23, v22, v23, v17
	v_pk_fma_f16 v24, v22, v24, v21
	s_delay_alu instid0(VALU_DEP_4) | instskip(NEXT) | instid1(VALU_DEP_4)
	v_pk_fma_f16 v9, v22, v19, v9
	v_pk_fma_f16 v25, v22, v20, v18
	ds_load_2addr_b32 v[21:22], v26 offset1:32
	ds_load_b128 v[17:20], v8 offset:18688
	s_wait_dscnt 0x0
	v_lshrrev_b32_e32 v27, 16, v17
	v_lshrrev_b32_e32 v28, 16, v18
	v_and_b32_e32 v17, 0xffff, v17
	v_and_b32_e32 v18, 0xffff, v18
	s_delay_alu instid0(VALU_DEP_4) | instskip(NEXT) | instid1(VALU_DEP_4)
	v_mul_u32_u24_e32 v27, 0x10001, v27
	v_mul_u32_u24_e32 v28, 0x10001, v28
	s_delay_alu instid0(VALU_DEP_4) | instskip(NEXT) | instid1(VALU_DEP_4)
	v_mul_u32_u24_e32 v17, 0x10001, v17
	v_mul_u32_u24_e32 v18, 0x10001, v18
	s_delay_alu instid0(VALU_DEP_2) | instskip(SKIP_1) | instid1(VALU_DEP_3)
	v_pk_fma_f16 v9, v21, v17, v9
	v_pk_fma_f16 v17, v21, v27, v23
	v_pk_fma_f16 v18, v21, v18, v25
	v_pk_fma_f16 v21, v21, v28, v24
	v_lshrrev_b32_e32 v23, 16, v19
	v_lshrrev_b32_e32 v24, 16, v20
	v_and_b32_e32 v19, 0xffff, v19
	v_and_b32_e32 v20, 0xffff, v20
	s_delay_alu instid0(VALU_DEP_4) | instskip(NEXT) | instid1(VALU_DEP_4)
	v_mul_u32_u24_e32 v23, 0x10001, v23
	v_mul_u32_u24_e32 v24, 0x10001, v24
	s_delay_alu instid0(VALU_DEP_4) | instskip(NEXT) | instid1(VALU_DEP_4)
	v_mul_u32_u24_e32 v19, 0x10001, v19
	v_mul_u32_u24_e32 v20, 0x10001, v20
	s_delay_alu instid0(VALU_DEP_4) | instskip(NEXT) | instid1(VALU_DEP_4)
	v_pk_fma_f16 v23, v22, v23, v17
	v_pk_fma_f16 v24, v22, v24, v21
	s_delay_alu instid0(VALU_DEP_4) | instskip(NEXT) | instid1(VALU_DEP_4)
	v_pk_fma_f16 v9, v22, v19, v9
	v_pk_fma_f16 v25, v22, v20, v18
	ds_load_2addr_b32 v[21:22], v26 offset0:64 offset1:96
	ds_load_b128 v[17:20], v8 offset:18704
	s_wait_dscnt 0x0
	v_lshrrev_b32_e32 v27, 16, v17
	v_lshrrev_b32_e32 v28, 16, v18
	v_and_b32_e32 v17, 0xffff, v17
	v_and_b32_e32 v18, 0xffff, v18
	s_delay_alu instid0(VALU_DEP_4) | instskip(NEXT) | instid1(VALU_DEP_4)
	v_mul_u32_u24_e32 v27, 0x10001, v27
	v_mul_u32_u24_e32 v28, 0x10001, v28
	s_delay_alu instid0(VALU_DEP_4) | instskip(NEXT) | instid1(VALU_DEP_4)
	v_mul_u32_u24_e32 v17, 0x10001, v17
	v_mul_u32_u24_e32 v18, 0x10001, v18
	s_delay_alu instid0(VALU_DEP_2) | instskip(SKIP_1) | instid1(VALU_DEP_3)
	v_pk_fma_f16 v9, v21, v17, v9
	v_pk_fma_f16 v17, v21, v27, v23
	v_pk_fma_f16 v18, v21, v18, v25
	v_pk_fma_f16 v21, v21, v28, v24
	v_lshrrev_b32_e32 v23, 16, v19
	v_lshrrev_b32_e32 v24, 16, v20
	v_and_b32_e32 v19, 0xffff, v19
	v_and_b32_e32 v20, 0xffff, v20
	s_delay_alu instid0(VALU_DEP_4) | instskip(NEXT) | instid1(VALU_DEP_4)
	v_mul_u32_u24_e32 v23, 0x10001, v23
	v_mul_u32_u24_e32 v24, 0x10001, v24
	s_delay_alu instid0(VALU_DEP_4) | instskip(NEXT) | instid1(VALU_DEP_4)
	v_mul_u32_u24_e32 v19, 0x10001, v19
	v_mul_u32_u24_e32 v20, 0x10001, v20
	s_delay_alu instid0(VALU_DEP_4) | instskip(NEXT) | instid1(VALU_DEP_4)
	v_pk_fma_f16 v23, v22, v23, v17
	v_pk_fma_f16 v24, v22, v24, v21
	s_delay_alu instid0(VALU_DEP_4) | instskip(NEXT) | instid1(VALU_DEP_4)
	v_pk_fma_f16 v9, v22, v19, v9
	v_pk_fma_f16 v25, v22, v20, v18
	ds_load_2addr_b32 v[21:22], v26 offset0:128 offset1:160
	;; [unrolled: 34-line block ×3, first 2 shown]
	ds_load_b128 v[17:20], v8 offset:18736
	s_wait_dscnt 0x0
	v_lshrrev_b32_e32 v26, 16, v17
	v_lshrrev_b32_e32 v27, 16, v18
	v_and_b32_e32 v17, 0xffff, v17
	v_and_b32_e32 v18, 0xffff, v18
	s_delay_alu instid0(VALU_DEP_4) | instskip(NEXT) | instid1(VALU_DEP_4)
	v_mul_u32_u24_e32 v26, 0x10001, v26
	v_mul_u32_u24_e32 v27, 0x10001, v27
	s_delay_alu instid0(VALU_DEP_4) | instskip(NEXT) | instid1(VALU_DEP_4)
	v_mul_u32_u24_e32 v17, 0x10001, v17
	v_mul_u32_u24_e32 v18, 0x10001, v18
	s_delay_alu instid0(VALU_DEP_2) | instskip(SKIP_1) | instid1(VALU_DEP_3)
	v_pk_fma_f16 v9, v21, v17, v9
	v_pk_fma_f16 v17, v21, v26, v23
	;; [unrolled: 1-line block ×4, first 2 shown]
	v_lshrrev_b32_e32 v23, 16, v19
	v_lshrrev_b32_e32 v24, 16, v20
	v_and_b32_e32 v19, 0xffff, v19
	v_and_b32_e32 v20, 0xffff, v20
	v_add_nc_u32_e32 v26, 0x1400, v46
	v_mul_u32_u24_e32 v23, 0x10001, v23
	v_mul_u32_u24_e32 v24, 0x10001, v24
	;; [unrolled: 1-line block ×4, first 2 shown]
	s_delay_alu instid0(VALU_DEP_4) | instskip(NEXT) | instid1(VALU_DEP_4)
	v_pk_fma_f16 v23, v22, v23, v17
	v_pk_fma_f16 v24, v22, v24, v21
	s_delay_alu instid0(VALU_DEP_4) | instskip(NEXT) | instid1(VALU_DEP_4)
	v_pk_fma_f16 v9, v22, v19, v9
	v_pk_fma_f16 v25, v22, v20, v18
	ds_load_2addr_b32 v[21:22], v26 offset1:32
	ds_load_b128 v[17:20], v8 offset:18752
	s_wait_dscnt 0x0
	v_lshrrev_b32_e32 v27, 16, v17
	v_lshrrev_b32_e32 v28, 16, v18
	v_and_b32_e32 v17, 0xffff, v17
	v_and_b32_e32 v18, 0xffff, v18
	s_delay_alu instid0(VALU_DEP_4) | instskip(NEXT) | instid1(VALU_DEP_4)
	v_mul_u32_u24_e32 v27, 0x10001, v27
	v_mul_u32_u24_e32 v28, 0x10001, v28
	s_delay_alu instid0(VALU_DEP_4) | instskip(NEXT) | instid1(VALU_DEP_4)
	v_mul_u32_u24_e32 v17, 0x10001, v17
	v_mul_u32_u24_e32 v18, 0x10001, v18
	s_delay_alu instid0(VALU_DEP_2) | instskip(SKIP_1) | instid1(VALU_DEP_3)
	v_pk_fma_f16 v9, v21, v17, v9
	v_pk_fma_f16 v17, v21, v27, v23
	v_pk_fma_f16 v18, v21, v18, v25
	v_pk_fma_f16 v21, v21, v28, v24
	v_lshrrev_b32_e32 v23, 16, v19
	v_lshrrev_b32_e32 v24, 16, v20
	v_and_b32_e32 v19, 0xffff, v19
	v_and_b32_e32 v20, 0xffff, v20
	s_delay_alu instid0(VALU_DEP_4) | instskip(NEXT) | instid1(VALU_DEP_4)
	v_mul_u32_u24_e32 v23, 0x10001, v23
	v_mul_u32_u24_e32 v24, 0x10001, v24
	s_delay_alu instid0(VALU_DEP_4) | instskip(NEXT) | instid1(VALU_DEP_4)
	v_mul_u32_u24_e32 v19, 0x10001, v19
	v_mul_u32_u24_e32 v20, 0x10001, v20
	s_delay_alu instid0(VALU_DEP_4) | instskip(NEXT) | instid1(VALU_DEP_4)
	v_pk_fma_f16 v23, v22, v23, v17
	v_pk_fma_f16 v24, v22, v24, v21
	s_delay_alu instid0(VALU_DEP_4) | instskip(NEXT) | instid1(VALU_DEP_4)
	v_pk_fma_f16 v9, v22, v19, v9
	v_pk_fma_f16 v25, v22, v20, v18
	ds_load_2addr_b32 v[21:22], v26 offset0:64 offset1:96
	ds_load_b128 v[17:20], v8 offset:18768
	s_wait_dscnt 0x0
	v_lshrrev_b32_e32 v27, 16, v17
	v_lshrrev_b32_e32 v28, 16, v18
	v_and_b32_e32 v17, 0xffff, v17
	v_and_b32_e32 v18, 0xffff, v18
	s_delay_alu instid0(VALU_DEP_4) | instskip(NEXT) | instid1(VALU_DEP_4)
	v_mul_u32_u24_e32 v27, 0x10001, v27
	v_mul_u32_u24_e32 v28, 0x10001, v28
	s_delay_alu instid0(VALU_DEP_4) | instskip(NEXT) | instid1(VALU_DEP_4)
	v_mul_u32_u24_e32 v17, 0x10001, v17
	v_mul_u32_u24_e32 v18, 0x10001, v18
	s_delay_alu instid0(VALU_DEP_2) | instskip(SKIP_1) | instid1(VALU_DEP_3)
	v_pk_fma_f16 v9, v21, v17, v9
	v_pk_fma_f16 v17, v21, v27, v23
	v_pk_fma_f16 v18, v21, v18, v25
	v_pk_fma_f16 v21, v21, v28, v24
	v_lshrrev_b32_e32 v23, 16, v19
	v_lshrrev_b32_e32 v24, 16, v20
	v_and_b32_e32 v19, 0xffff, v19
	v_and_b32_e32 v20, 0xffff, v20
	s_delay_alu instid0(VALU_DEP_4) | instskip(NEXT) | instid1(VALU_DEP_4)
	v_mul_u32_u24_e32 v23, 0x10001, v23
	v_mul_u32_u24_e32 v24, 0x10001, v24
	s_delay_alu instid0(VALU_DEP_4) | instskip(NEXT) | instid1(VALU_DEP_4)
	v_mul_u32_u24_e32 v19, 0x10001, v19
	v_mul_u32_u24_e32 v20, 0x10001, v20
	s_delay_alu instid0(VALU_DEP_4) | instskip(NEXT) | instid1(VALU_DEP_4)
	v_pk_fma_f16 v23, v22, v23, v17
	v_pk_fma_f16 v24, v22, v24, v21
	s_delay_alu instid0(VALU_DEP_4) | instskip(NEXT) | instid1(VALU_DEP_4)
	v_pk_fma_f16 v9, v22, v19, v9
	v_pk_fma_f16 v25, v22, v20, v18
	ds_load_2addr_b32 v[21:22], v26 offset0:128 offset1:160
	;; [unrolled: 34-line block ×3, first 2 shown]
	ds_load_b128 v[17:20], v8 offset:18800
	s_wait_dscnt 0x0
	v_lshrrev_b32_e32 v26, 16, v17
	v_lshrrev_b32_e32 v27, 16, v18
	v_and_b32_e32 v17, 0xffff, v17
	v_and_b32_e32 v18, 0xffff, v18
	s_delay_alu instid0(VALU_DEP_4) | instskip(NEXT) | instid1(VALU_DEP_4)
	v_mul_u32_u24_e32 v26, 0x10001, v26
	v_mul_u32_u24_e32 v27, 0x10001, v27
	s_delay_alu instid0(VALU_DEP_4) | instskip(NEXT) | instid1(VALU_DEP_4)
	v_mul_u32_u24_e32 v17, 0x10001, v17
	v_mul_u32_u24_e32 v18, 0x10001, v18
	s_delay_alu instid0(VALU_DEP_2) | instskip(SKIP_1) | instid1(VALU_DEP_3)
	v_pk_fma_f16 v9, v21, v17, v9
	v_pk_fma_f16 v17, v21, v26, v23
	;; [unrolled: 1-line block ×4, first 2 shown]
	v_lshrrev_b32_e32 v23, 16, v19
	v_lshrrev_b32_e32 v24, 16, v20
	v_and_b32_e32 v19, 0xffff, v19
	v_and_b32_e32 v20, 0xffff, v20
	v_add_nc_u32_e32 v26, 0x1800, v46
	v_mul_u32_u24_e32 v23, 0x10001, v23
	v_mul_u32_u24_e32 v24, 0x10001, v24
	;; [unrolled: 1-line block ×4, first 2 shown]
	s_delay_alu instid0(VALU_DEP_4) | instskip(NEXT) | instid1(VALU_DEP_4)
	v_pk_fma_f16 v23, v22, v23, v17
	v_pk_fma_f16 v24, v22, v24, v21
	s_delay_alu instid0(VALU_DEP_4) | instskip(NEXT) | instid1(VALU_DEP_4)
	v_pk_fma_f16 v9, v22, v19, v9
	v_pk_fma_f16 v25, v22, v20, v18
	ds_load_2addr_b32 v[21:22], v26 offset1:32
	ds_load_b128 v[17:20], v8 offset:18816
	s_wait_dscnt 0x0
	v_lshrrev_b32_e32 v27, 16, v17
	v_lshrrev_b32_e32 v28, 16, v18
	v_and_b32_e32 v17, 0xffff, v17
	v_and_b32_e32 v18, 0xffff, v18
	s_delay_alu instid0(VALU_DEP_4) | instskip(NEXT) | instid1(VALU_DEP_4)
	v_mul_u32_u24_e32 v27, 0x10001, v27
	v_mul_u32_u24_e32 v28, 0x10001, v28
	s_delay_alu instid0(VALU_DEP_4) | instskip(NEXT) | instid1(VALU_DEP_4)
	v_mul_u32_u24_e32 v17, 0x10001, v17
	v_mul_u32_u24_e32 v18, 0x10001, v18
	s_delay_alu instid0(VALU_DEP_2) | instskip(SKIP_1) | instid1(VALU_DEP_3)
	v_pk_fma_f16 v9, v21, v17, v9
	v_pk_fma_f16 v17, v21, v27, v23
	v_pk_fma_f16 v18, v21, v18, v25
	v_pk_fma_f16 v21, v21, v28, v24
	v_lshrrev_b32_e32 v23, 16, v19
	v_lshrrev_b32_e32 v24, 16, v20
	v_and_b32_e32 v19, 0xffff, v19
	v_and_b32_e32 v20, 0xffff, v20
	s_delay_alu instid0(VALU_DEP_4) | instskip(NEXT) | instid1(VALU_DEP_4)
	v_mul_u32_u24_e32 v23, 0x10001, v23
	v_mul_u32_u24_e32 v24, 0x10001, v24
	s_delay_alu instid0(VALU_DEP_4) | instskip(NEXT) | instid1(VALU_DEP_4)
	v_mul_u32_u24_e32 v19, 0x10001, v19
	v_mul_u32_u24_e32 v20, 0x10001, v20
	s_delay_alu instid0(VALU_DEP_4) | instskip(NEXT) | instid1(VALU_DEP_4)
	v_pk_fma_f16 v23, v22, v23, v17
	v_pk_fma_f16 v24, v22, v24, v21
	s_delay_alu instid0(VALU_DEP_4) | instskip(NEXT) | instid1(VALU_DEP_4)
	v_pk_fma_f16 v9, v22, v19, v9
	v_pk_fma_f16 v25, v22, v20, v18
	ds_load_2addr_b32 v[21:22], v26 offset0:64 offset1:96
	ds_load_b128 v[17:20], v8 offset:18832
	s_wait_dscnt 0x0
	v_lshrrev_b32_e32 v27, 16, v17
	v_lshrrev_b32_e32 v28, 16, v18
	v_and_b32_e32 v17, 0xffff, v17
	v_and_b32_e32 v18, 0xffff, v18
	s_delay_alu instid0(VALU_DEP_4) | instskip(NEXT) | instid1(VALU_DEP_4)
	v_mul_u32_u24_e32 v27, 0x10001, v27
	v_mul_u32_u24_e32 v28, 0x10001, v28
	s_delay_alu instid0(VALU_DEP_4) | instskip(NEXT) | instid1(VALU_DEP_4)
	v_mul_u32_u24_e32 v17, 0x10001, v17
	v_mul_u32_u24_e32 v18, 0x10001, v18
	s_delay_alu instid0(VALU_DEP_2) | instskip(SKIP_1) | instid1(VALU_DEP_3)
	v_pk_fma_f16 v9, v21, v17, v9
	v_pk_fma_f16 v17, v21, v27, v23
	v_pk_fma_f16 v18, v21, v18, v25
	v_pk_fma_f16 v21, v21, v28, v24
	v_lshrrev_b32_e32 v23, 16, v19
	v_lshrrev_b32_e32 v24, 16, v20
	v_and_b32_e32 v19, 0xffff, v19
	v_and_b32_e32 v20, 0xffff, v20
	s_delay_alu instid0(VALU_DEP_4) | instskip(NEXT) | instid1(VALU_DEP_4)
	v_mul_u32_u24_e32 v23, 0x10001, v23
	v_mul_u32_u24_e32 v24, 0x10001, v24
	s_delay_alu instid0(VALU_DEP_4) | instskip(NEXT) | instid1(VALU_DEP_4)
	v_mul_u32_u24_e32 v19, 0x10001, v19
	v_mul_u32_u24_e32 v20, 0x10001, v20
	s_delay_alu instid0(VALU_DEP_4) | instskip(NEXT) | instid1(VALU_DEP_4)
	v_pk_fma_f16 v23, v22, v23, v17
	v_pk_fma_f16 v24, v22, v24, v21
	s_delay_alu instid0(VALU_DEP_4) | instskip(NEXT) | instid1(VALU_DEP_4)
	v_pk_fma_f16 v9, v22, v19, v9
	v_pk_fma_f16 v25, v22, v20, v18
	ds_load_2addr_b32 v[21:22], v26 offset0:128 offset1:160
	;; [unrolled: 34-line block ×3, first 2 shown]
	ds_load_b128 v[17:20], v8 offset:18864
	s_wait_dscnt 0x0
	v_lshrrev_b32_e32 v26, 16, v17
	v_lshrrev_b32_e32 v27, 16, v18
	v_and_b32_e32 v17, 0xffff, v17
	v_and_b32_e32 v18, 0xffff, v18
	s_delay_alu instid0(VALU_DEP_4) | instskip(NEXT) | instid1(VALU_DEP_4)
	v_mul_u32_u24_e32 v26, 0x10001, v26
	v_mul_u32_u24_e32 v27, 0x10001, v27
	s_delay_alu instid0(VALU_DEP_4) | instskip(NEXT) | instid1(VALU_DEP_4)
	v_mul_u32_u24_e32 v17, 0x10001, v17
	v_mul_u32_u24_e32 v18, 0x10001, v18
	s_delay_alu instid0(VALU_DEP_2) | instskip(SKIP_1) | instid1(VALU_DEP_3)
	v_pk_fma_f16 v9, v21, v17, v9
	v_pk_fma_f16 v17, v21, v26, v23
	;; [unrolled: 1-line block ×4, first 2 shown]
	v_lshrrev_b32_e32 v23, 16, v19
	v_lshrrev_b32_e32 v24, 16, v20
	v_and_b32_e32 v19, 0xffff, v19
	v_and_b32_e32 v20, 0xffff, v20
	v_add_nc_u32_e32 v26, 0x1c00, v46
	v_mul_u32_u24_e32 v23, 0x10001, v23
	v_mul_u32_u24_e32 v24, 0x10001, v24
	;; [unrolled: 1-line block ×4, first 2 shown]
	s_delay_alu instid0(VALU_DEP_4) | instskip(NEXT) | instid1(VALU_DEP_4)
	v_pk_fma_f16 v23, v22, v23, v17
	v_pk_fma_f16 v24, v22, v24, v21
	s_delay_alu instid0(VALU_DEP_4) | instskip(NEXT) | instid1(VALU_DEP_4)
	v_pk_fma_f16 v9, v22, v19, v9
	v_pk_fma_f16 v25, v22, v20, v18
	ds_load_2addr_b32 v[21:22], v26 offset1:32
	ds_load_b128 v[17:20], v8 offset:18880
	s_wait_dscnt 0x0
	v_lshrrev_b32_e32 v27, 16, v17
	v_lshrrev_b32_e32 v28, 16, v18
	v_and_b32_e32 v17, 0xffff, v17
	v_and_b32_e32 v18, 0xffff, v18
	s_delay_alu instid0(VALU_DEP_4) | instskip(NEXT) | instid1(VALU_DEP_4)
	v_mul_u32_u24_e32 v27, 0x10001, v27
	v_mul_u32_u24_e32 v28, 0x10001, v28
	s_delay_alu instid0(VALU_DEP_4) | instskip(NEXT) | instid1(VALU_DEP_4)
	v_mul_u32_u24_e32 v17, 0x10001, v17
	v_mul_u32_u24_e32 v18, 0x10001, v18
	s_delay_alu instid0(VALU_DEP_2) | instskip(SKIP_1) | instid1(VALU_DEP_3)
	v_pk_fma_f16 v9, v21, v17, v9
	v_pk_fma_f16 v17, v21, v27, v23
	v_pk_fma_f16 v18, v21, v18, v25
	v_pk_fma_f16 v21, v21, v28, v24
	v_lshrrev_b32_e32 v23, 16, v19
	v_lshrrev_b32_e32 v24, 16, v20
	v_and_b32_e32 v19, 0xffff, v19
	v_and_b32_e32 v20, 0xffff, v20
	s_delay_alu instid0(VALU_DEP_4) | instskip(NEXT) | instid1(VALU_DEP_4)
	v_mul_u32_u24_e32 v23, 0x10001, v23
	v_mul_u32_u24_e32 v24, 0x10001, v24
	s_delay_alu instid0(VALU_DEP_4) | instskip(NEXT) | instid1(VALU_DEP_4)
	v_mul_u32_u24_e32 v19, 0x10001, v19
	v_mul_u32_u24_e32 v20, 0x10001, v20
	s_delay_alu instid0(VALU_DEP_4) | instskip(NEXT) | instid1(VALU_DEP_4)
	v_pk_fma_f16 v23, v22, v23, v17
	v_pk_fma_f16 v24, v22, v24, v21
	s_delay_alu instid0(VALU_DEP_4) | instskip(NEXT) | instid1(VALU_DEP_4)
	v_pk_fma_f16 v9, v22, v19, v9
	v_pk_fma_f16 v25, v22, v20, v18
	ds_load_2addr_b32 v[21:22], v26 offset0:64 offset1:96
	ds_load_b128 v[17:20], v8 offset:18896
	s_wait_dscnt 0x0
	v_lshrrev_b32_e32 v27, 16, v17
	v_lshrrev_b32_e32 v28, 16, v18
	v_and_b32_e32 v17, 0xffff, v17
	v_and_b32_e32 v18, 0xffff, v18
	s_delay_alu instid0(VALU_DEP_4) | instskip(NEXT) | instid1(VALU_DEP_4)
	v_mul_u32_u24_e32 v27, 0x10001, v27
	v_mul_u32_u24_e32 v28, 0x10001, v28
	s_delay_alu instid0(VALU_DEP_4) | instskip(NEXT) | instid1(VALU_DEP_4)
	v_mul_u32_u24_e32 v17, 0x10001, v17
	v_mul_u32_u24_e32 v18, 0x10001, v18
	s_delay_alu instid0(VALU_DEP_2) | instskip(SKIP_1) | instid1(VALU_DEP_3)
	v_pk_fma_f16 v9, v21, v17, v9
	v_pk_fma_f16 v17, v21, v27, v23
	v_pk_fma_f16 v18, v21, v18, v25
	v_pk_fma_f16 v21, v21, v28, v24
	v_lshrrev_b32_e32 v23, 16, v19
	v_lshrrev_b32_e32 v24, 16, v20
	v_and_b32_e32 v19, 0xffff, v19
	v_and_b32_e32 v20, 0xffff, v20
	s_delay_alu instid0(VALU_DEP_4) | instskip(NEXT) | instid1(VALU_DEP_4)
	v_mul_u32_u24_e32 v23, 0x10001, v23
	v_mul_u32_u24_e32 v24, 0x10001, v24
	s_delay_alu instid0(VALU_DEP_4) | instskip(NEXT) | instid1(VALU_DEP_4)
	v_mul_u32_u24_e32 v19, 0x10001, v19
	v_mul_u32_u24_e32 v20, 0x10001, v20
	s_delay_alu instid0(VALU_DEP_4) | instskip(NEXT) | instid1(VALU_DEP_4)
	v_pk_fma_f16 v23, v22, v23, v17
	v_pk_fma_f16 v24, v22, v24, v21
	s_delay_alu instid0(VALU_DEP_4) | instskip(NEXT) | instid1(VALU_DEP_4)
	v_pk_fma_f16 v9, v22, v19, v9
	v_pk_fma_f16 v25, v22, v20, v18
	ds_load_2addr_b32 v[21:22], v26 offset0:128 offset1:160
	;; [unrolled: 34-line block ×3, first 2 shown]
	ds_load_b128 v[17:20], v8 offset:18928
	s_wait_dscnt 0x0
	v_lshrrev_b32_e32 v26, 16, v17
	v_lshrrev_b32_e32 v27, 16, v18
	v_and_b32_e32 v17, 0xffff, v17
	v_and_b32_e32 v18, 0xffff, v18
	s_delay_alu instid0(VALU_DEP_4) | instskip(NEXT) | instid1(VALU_DEP_4)
	v_mul_u32_u24_e32 v26, 0x10001, v26
	v_mul_u32_u24_e32 v27, 0x10001, v27
	s_delay_alu instid0(VALU_DEP_4) | instskip(NEXT) | instid1(VALU_DEP_4)
	v_mul_u32_u24_e32 v17, 0x10001, v17
	v_mul_u32_u24_e32 v18, 0x10001, v18
	s_delay_alu instid0(VALU_DEP_2) | instskip(SKIP_1) | instid1(VALU_DEP_3)
	v_pk_fma_f16 v9, v21, v17, v9
	v_pk_fma_f16 v17, v21, v26, v23
	;; [unrolled: 1-line block ×4, first 2 shown]
	v_lshrrev_b32_e32 v23, 16, v19
	v_lshrrev_b32_e32 v24, 16, v20
	v_and_b32_e32 v19, 0xffff, v19
	v_and_b32_e32 v20, 0xffff, v20
	v_add_nc_u32_e32 v26, 0x2000, v46
	v_mul_u32_u24_e32 v23, 0x10001, v23
	v_mul_u32_u24_e32 v24, 0x10001, v24
	;; [unrolled: 1-line block ×4, first 2 shown]
	s_delay_alu instid0(VALU_DEP_4) | instskip(NEXT) | instid1(VALU_DEP_4)
	v_pk_fma_f16 v23, v22, v23, v17
	v_pk_fma_f16 v24, v22, v24, v21
	s_delay_alu instid0(VALU_DEP_4) | instskip(NEXT) | instid1(VALU_DEP_4)
	v_pk_fma_f16 v9, v22, v19, v9
	v_pk_fma_f16 v25, v22, v20, v18
	ds_load_2addr_b32 v[21:22], v26 offset1:32
	ds_load_b128 v[17:20], v8 offset:18944
	s_wait_dscnt 0x0
	v_lshrrev_b32_e32 v27, 16, v17
	v_lshrrev_b32_e32 v28, 16, v18
	v_and_b32_e32 v17, 0xffff, v17
	v_and_b32_e32 v18, 0xffff, v18
	s_delay_alu instid0(VALU_DEP_4) | instskip(NEXT) | instid1(VALU_DEP_4)
	v_mul_u32_u24_e32 v27, 0x10001, v27
	v_mul_u32_u24_e32 v28, 0x10001, v28
	s_delay_alu instid0(VALU_DEP_4) | instskip(NEXT) | instid1(VALU_DEP_4)
	v_mul_u32_u24_e32 v17, 0x10001, v17
	v_mul_u32_u24_e32 v18, 0x10001, v18
	s_delay_alu instid0(VALU_DEP_2) | instskip(SKIP_1) | instid1(VALU_DEP_3)
	v_pk_fma_f16 v9, v21, v17, v9
	v_pk_fma_f16 v17, v21, v27, v23
	v_pk_fma_f16 v18, v21, v18, v25
	v_pk_fma_f16 v21, v21, v28, v24
	v_lshrrev_b32_e32 v23, 16, v19
	v_lshrrev_b32_e32 v24, 16, v20
	v_and_b32_e32 v19, 0xffff, v19
	v_and_b32_e32 v20, 0xffff, v20
	s_delay_alu instid0(VALU_DEP_4) | instskip(NEXT) | instid1(VALU_DEP_4)
	v_mul_u32_u24_e32 v23, 0x10001, v23
	v_mul_u32_u24_e32 v24, 0x10001, v24
	s_delay_alu instid0(VALU_DEP_4) | instskip(NEXT) | instid1(VALU_DEP_4)
	v_mul_u32_u24_e32 v19, 0x10001, v19
	v_mul_u32_u24_e32 v20, 0x10001, v20
	s_delay_alu instid0(VALU_DEP_4) | instskip(NEXT) | instid1(VALU_DEP_4)
	v_pk_fma_f16 v23, v22, v23, v17
	v_pk_fma_f16 v24, v22, v24, v21
	s_delay_alu instid0(VALU_DEP_4) | instskip(NEXT) | instid1(VALU_DEP_4)
	v_pk_fma_f16 v9, v22, v19, v9
	v_pk_fma_f16 v25, v22, v20, v18
	ds_load_2addr_b32 v[21:22], v26 offset0:64 offset1:96
	ds_load_b128 v[17:20], v8 offset:18960
	s_wait_dscnt 0x0
	v_lshrrev_b32_e32 v27, 16, v17
	v_lshrrev_b32_e32 v28, 16, v18
	v_and_b32_e32 v17, 0xffff, v17
	v_and_b32_e32 v18, 0xffff, v18
	s_delay_alu instid0(VALU_DEP_4) | instskip(NEXT) | instid1(VALU_DEP_4)
	v_mul_u32_u24_e32 v27, 0x10001, v27
	v_mul_u32_u24_e32 v28, 0x10001, v28
	s_delay_alu instid0(VALU_DEP_4) | instskip(NEXT) | instid1(VALU_DEP_4)
	v_mul_u32_u24_e32 v17, 0x10001, v17
	v_mul_u32_u24_e32 v18, 0x10001, v18
	s_delay_alu instid0(VALU_DEP_2) | instskip(SKIP_1) | instid1(VALU_DEP_3)
	v_pk_fma_f16 v9, v21, v17, v9
	v_pk_fma_f16 v17, v21, v27, v23
	v_pk_fma_f16 v18, v21, v18, v25
	v_pk_fma_f16 v21, v21, v28, v24
	v_lshrrev_b32_e32 v23, 16, v19
	v_lshrrev_b32_e32 v24, 16, v20
	v_and_b32_e32 v19, 0xffff, v19
	v_and_b32_e32 v20, 0xffff, v20
	s_delay_alu instid0(VALU_DEP_4) | instskip(NEXT) | instid1(VALU_DEP_4)
	v_mul_u32_u24_e32 v23, 0x10001, v23
	v_mul_u32_u24_e32 v24, 0x10001, v24
	s_delay_alu instid0(VALU_DEP_4) | instskip(NEXT) | instid1(VALU_DEP_4)
	v_mul_u32_u24_e32 v19, 0x10001, v19
	v_mul_u32_u24_e32 v20, 0x10001, v20
	s_delay_alu instid0(VALU_DEP_4) | instskip(NEXT) | instid1(VALU_DEP_4)
	v_pk_fma_f16 v23, v22, v23, v17
	v_pk_fma_f16 v24, v22, v24, v21
	s_delay_alu instid0(VALU_DEP_4) | instskip(NEXT) | instid1(VALU_DEP_4)
	v_pk_fma_f16 v9, v22, v19, v9
	v_pk_fma_f16 v25, v22, v20, v18
	ds_load_2addr_b32 v[21:22], v26 offset0:128 offset1:160
	ds_load_b128 v[17:20], v8 offset:18976
	s_wait_dscnt 0x0
	v_lshrrev_b32_e32 v27, 16, v17
	v_lshrrev_b32_e32 v28, 16, v18
	v_and_b32_e32 v17, 0xffff, v17
	v_and_b32_e32 v18, 0xffff, v18
	s_delay_alu instid0(VALU_DEP_4) | instskip(NEXT) | instid1(VALU_DEP_4)
	v_mul_u32_u24_e32 v27, 0x10001, v27
	v_mul_u32_u24_e32 v28, 0x10001, v28
	s_delay_alu instid0(VALU_DEP_4) | instskip(NEXT) | instid1(VALU_DEP_4)
	v_mul_u32_u24_e32 v17, 0x10001, v17
	v_mul_u32_u24_e32 v18, 0x10001, v18
	s_delay_alu instid0(VALU_DEP_2) | instskip(SKIP_1) | instid1(VALU_DEP_3)
	v_pk_fma_f16 v9, v21, v17, v9
	v_pk_fma_f16 v17, v21, v27, v23
	v_pk_fma_f16 v18, v21, v18, v25
	v_pk_fma_f16 v21, v21, v28, v24
	v_lshrrev_b32_e32 v23, 16, v19
	v_lshrrev_b32_e32 v24, 16, v20
	v_and_b32_e32 v19, 0xffff, v19
	v_and_b32_e32 v20, 0xffff, v20
	s_delay_alu instid0(VALU_DEP_4) | instskip(NEXT) | instid1(VALU_DEP_4)
	v_mul_u32_u24_e32 v23, 0x10001, v23
	v_mul_u32_u24_e32 v24, 0x10001, v24
	s_delay_alu instid0(VALU_DEP_4) | instskip(NEXT) | instid1(VALU_DEP_4)
	v_mul_u32_u24_e32 v19, 0x10001, v19
	v_mul_u32_u24_e32 v20, 0x10001, v20
	s_delay_alu instid0(VALU_DEP_4) | instskip(NEXT) | instid1(VALU_DEP_4)
	v_pk_fma_f16 v23, v22, v23, v17
	v_pk_fma_f16 v24, v22, v24, v21
	s_delay_alu instid0(VALU_DEP_4) | instskip(NEXT) | instid1(VALU_DEP_4)
	v_pk_fma_f16 v9, v22, v19, v9
	v_pk_fma_f16 v25, v22, v20, v18
	ds_load_2addr_b32 v[21:22], v26 offset0:192 offset1:224
	ds_load_b128 v[17:20], v8 offset:18992
	s_wait_dscnt 0x0
	v_lshrrev_b32_e32 v26, 16, v17
	v_lshrrev_b32_e32 v27, 16, v18
	v_and_b32_e32 v17, 0xffff, v17
	v_and_b32_e32 v18, 0xffff, v18
	s_delay_alu instid0(VALU_DEP_4) | instskip(NEXT) | instid1(VALU_DEP_4)
	v_mul_u32_u24_e32 v26, 0x10001, v26
	v_mul_u32_u24_e32 v27, 0x10001, v27
	s_delay_alu instid0(VALU_DEP_4) | instskip(NEXT) | instid1(VALU_DEP_4)
	v_mul_u32_u24_e32 v17, 0x10001, v17
	v_mul_u32_u24_e32 v18, 0x10001, v18
	s_delay_alu instid0(VALU_DEP_2) | instskip(SKIP_1) | instid1(VALU_DEP_3)
	v_pk_fma_f16 v9, v21, v17, v9
	v_pk_fma_f16 v17, v21, v26, v23
	;; [unrolled: 1-line block ×4, first 2 shown]
	v_lshrrev_b32_e32 v23, 16, v19
	v_lshrrev_b32_e32 v24, 16, v20
	v_and_b32_e32 v19, 0xffff, v19
	v_and_b32_e32 v20, 0xffff, v20
	v_add_nc_u32_e32 v26, 0x2400, v46
	v_mul_u32_u24_e32 v23, 0x10001, v23
	v_mul_u32_u24_e32 v24, 0x10001, v24
	;; [unrolled: 1-line block ×4, first 2 shown]
	s_delay_alu instid0(VALU_DEP_4) | instskip(NEXT) | instid1(VALU_DEP_4)
	v_pk_fma_f16 v23, v22, v23, v17
	v_pk_fma_f16 v24, v22, v24, v21
	s_delay_alu instid0(VALU_DEP_4) | instskip(NEXT) | instid1(VALU_DEP_4)
	v_pk_fma_f16 v9, v22, v19, v9
	v_pk_fma_f16 v25, v22, v20, v18
	ds_load_2addr_b32 v[21:22], v26 offset1:32
	ds_load_b128 v[17:20], v8 offset:19008
	s_wait_dscnt 0x0
	v_lshrrev_b32_e32 v27, 16, v17
	v_lshrrev_b32_e32 v28, 16, v18
	v_and_b32_e32 v17, 0xffff, v17
	v_and_b32_e32 v18, 0xffff, v18
	s_delay_alu instid0(VALU_DEP_4) | instskip(NEXT) | instid1(VALU_DEP_4)
	v_mul_u32_u24_e32 v27, 0x10001, v27
	v_mul_u32_u24_e32 v28, 0x10001, v28
	s_delay_alu instid0(VALU_DEP_4) | instskip(NEXT) | instid1(VALU_DEP_4)
	v_mul_u32_u24_e32 v17, 0x10001, v17
	v_mul_u32_u24_e32 v18, 0x10001, v18
	s_delay_alu instid0(VALU_DEP_2) | instskip(SKIP_1) | instid1(VALU_DEP_3)
	v_pk_fma_f16 v9, v21, v17, v9
	v_pk_fma_f16 v17, v21, v27, v23
	v_pk_fma_f16 v18, v21, v18, v25
	v_pk_fma_f16 v21, v21, v28, v24
	v_lshrrev_b32_e32 v23, 16, v19
	v_lshrrev_b32_e32 v24, 16, v20
	v_and_b32_e32 v19, 0xffff, v19
	v_and_b32_e32 v20, 0xffff, v20
	s_delay_alu instid0(VALU_DEP_4) | instskip(NEXT) | instid1(VALU_DEP_4)
	v_mul_u32_u24_e32 v23, 0x10001, v23
	v_mul_u32_u24_e32 v24, 0x10001, v24
	s_delay_alu instid0(VALU_DEP_4) | instskip(NEXT) | instid1(VALU_DEP_4)
	v_mul_u32_u24_e32 v19, 0x10001, v19
	v_mul_u32_u24_e32 v20, 0x10001, v20
	s_delay_alu instid0(VALU_DEP_4) | instskip(NEXT) | instid1(VALU_DEP_4)
	v_pk_fma_f16 v23, v22, v23, v17
	v_pk_fma_f16 v24, v22, v24, v21
	s_delay_alu instid0(VALU_DEP_4) | instskip(NEXT) | instid1(VALU_DEP_4)
	v_pk_fma_f16 v9, v22, v19, v9
	v_pk_fma_f16 v25, v22, v20, v18
	ds_load_2addr_b32 v[21:22], v26 offset0:64 offset1:96
	ds_load_b128 v[17:20], v8 offset:19024
	s_wait_dscnt 0x0
	v_lshrrev_b32_e32 v27, 16, v17
	v_lshrrev_b32_e32 v28, 16, v18
	v_and_b32_e32 v17, 0xffff, v17
	v_and_b32_e32 v18, 0xffff, v18
	s_delay_alu instid0(VALU_DEP_4) | instskip(NEXT) | instid1(VALU_DEP_4)
	v_mul_u32_u24_e32 v27, 0x10001, v27
	v_mul_u32_u24_e32 v28, 0x10001, v28
	s_delay_alu instid0(VALU_DEP_4) | instskip(NEXT) | instid1(VALU_DEP_4)
	v_mul_u32_u24_e32 v17, 0x10001, v17
	v_mul_u32_u24_e32 v18, 0x10001, v18
	s_delay_alu instid0(VALU_DEP_2) | instskip(SKIP_1) | instid1(VALU_DEP_3)
	v_pk_fma_f16 v9, v21, v17, v9
	v_pk_fma_f16 v17, v21, v27, v23
	v_pk_fma_f16 v18, v21, v18, v25
	v_pk_fma_f16 v21, v21, v28, v24
	v_lshrrev_b32_e32 v23, 16, v19
	v_lshrrev_b32_e32 v24, 16, v20
	v_and_b32_e32 v19, 0xffff, v19
	v_and_b32_e32 v20, 0xffff, v20
	s_delay_alu instid0(VALU_DEP_4) | instskip(NEXT) | instid1(VALU_DEP_4)
	v_mul_u32_u24_e32 v23, 0x10001, v23
	v_mul_u32_u24_e32 v24, 0x10001, v24
	s_delay_alu instid0(VALU_DEP_4) | instskip(NEXT) | instid1(VALU_DEP_4)
	v_mul_u32_u24_e32 v19, 0x10001, v19
	v_mul_u32_u24_e32 v20, 0x10001, v20
	s_delay_alu instid0(VALU_DEP_4) | instskip(NEXT) | instid1(VALU_DEP_4)
	v_pk_fma_f16 v23, v22, v23, v17
	v_pk_fma_f16 v24, v22, v24, v21
	s_delay_alu instid0(VALU_DEP_4) | instskip(NEXT) | instid1(VALU_DEP_4)
	v_pk_fma_f16 v9, v22, v19, v9
	v_pk_fma_f16 v25, v22, v20, v18
	ds_load_2addr_b32 v[21:22], v26 offset0:128 offset1:160
	;; [unrolled: 34-line block ×3, first 2 shown]
	ds_load_b128 v[17:20], v8 offset:19056
	s_wait_dscnt 0x0
	v_lshrrev_b32_e32 v26, 16, v17
	v_lshrrev_b32_e32 v27, 16, v18
	v_and_b32_e32 v17, 0xffff, v17
	v_and_b32_e32 v18, 0xffff, v18
	s_delay_alu instid0(VALU_DEP_4) | instskip(NEXT) | instid1(VALU_DEP_4)
	v_mul_u32_u24_e32 v26, 0x10001, v26
	v_mul_u32_u24_e32 v27, 0x10001, v27
	s_delay_alu instid0(VALU_DEP_4) | instskip(NEXT) | instid1(VALU_DEP_4)
	v_mul_u32_u24_e32 v17, 0x10001, v17
	v_mul_u32_u24_e32 v18, 0x10001, v18
	s_delay_alu instid0(VALU_DEP_2) | instskip(SKIP_1) | instid1(VALU_DEP_3)
	v_pk_fma_f16 v9, v21, v17, v9
	v_pk_fma_f16 v17, v21, v26, v23
	;; [unrolled: 1-line block ×4, first 2 shown]
	v_lshrrev_b32_e32 v23, 16, v19
	v_lshrrev_b32_e32 v24, 16, v20
	v_and_b32_e32 v19, 0xffff, v19
	v_and_b32_e32 v20, 0xffff, v20
	v_add_nc_u32_e32 v26, 0x2800, v46
	v_mul_u32_u24_e32 v23, 0x10001, v23
	v_mul_u32_u24_e32 v24, 0x10001, v24
	;; [unrolled: 1-line block ×4, first 2 shown]
	s_delay_alu instid0(VALU_DEP_4) | instskip(NEXT) | instid1(VALU_DEP_4)
	v_pk_fma_f16 v23, v22, v23, v17
	v_pk_fma_f16 v24, v22, v24, v21
	s_delay_alu instid0(VALU_DEP_4) | instskip(NEXT) | instid1(VALU_DEP_4)
	v_pk_fma_f16 v9, v22, v19, v9
	v_pk_fma_f16 v25, v22, v20, v18
	ds_load_2addr_b32 v[21:22], v26 offset1:32
	ds_load_b128 v[17:20], v8 offset:19072
	s_wait_dscnt 0x0
	v_lshrrev_b32_e32 v27, 16, v17
	v_lshrrev_b32_e32 v28, 16, v18
	v_and_b32_e32 v17, 0xffff, v17
	v_and_b32_e32 v18, 0xffff, v18
	s_delay_alu instid0(VALU_DEP_4) | instskip(NEXT) | instid1(VALU_DEP_4)
	v_mul_u32_u24_e32 v27, 0x10001, v27
	v_mul_u32_u24_e32 v28, 0x10001, v28
	s_delay_alu instid0(VALU_DEP_4) | instskip(NEXT) | instid1(VALU_DEP_4)
	v_mul_u32_u24_e32 v17, 0x10001, v17
	v_mul_u32_u24_e32 v18, 0x10001, v18
	s_delay_alu instid0(VALU_DEP_2) | instskip(SKIP_1) | instid1(VALU_DEP_3)
	v_pk_fma_f16 v9, v21, v17, v9
	v_pk_fma_f16 v17, v21, v27, v23
	v_pk_fma_f16 v18, v21, v18, v25
	v_pk_fma_f16 v21, v21, v28, v24
	v_lshrrev_b32_e32 v23, 16, v19
	v_lshrrev_b32_e32 v24, 16, v20
	v_and_b32_e32 v19, 0xffff, v19
	v_and_b32_e32 v20, 0xffff, v20
	s_delay_alu instid0(VALU_DEP_4) | instskip(NEXT) | instid1(VALU_DEP_4)
	v_mul_u32_u24_e32 v23, 0x10001, v23
	v_mul_u32_u24_e32 v24, 0x10001, v24
	s_delay_alu instid0(VALU_DEP_4) | instskip(NEXT) | instid1(VALU_DEP_4)
	v_mul_u32_u24_e32 v19, 0x10001, v19
	v_mul_u32_u24_e32 v20, 0x10001, v20
	s_delay_alu instid0(VALU_DEP_4) | instskip(NEXT) | instid1(VALU_DEP_4)
	v_pk_fma_f16 v23, v22, v23, v17
	v_pk_fma_f16 v24, v22, v24, v21
	s_delay_alu instid0(VALU_DEP_4) | instskip(NEXT) | instid1(VALU_DEP_4)
	v_pk_fma_f16 v9, v22, v19, v9
	v_pk_fma_f16 v25, v22, v20, v18
	ds_load_2addr_b32 v[21:22], v26 offset0:64 offset1:96
	ds_load_b128 v[17:20], v8 offset:19088
	s_wait_dscnt 0x0
	v_lshrrev_b32_e32 v27, 16, v17
	v_lshrrev_b32_e32 v28, 16, v18
	v_and_b32_e32 v17, 0xffff, v17
	v_and_b32_e32 v18, 0xffff, v18
	s_delay_alu instid0(VALU_DEP_4) | instskip(NEXT) | instid1(VALU_DEP_4)
	v_mul_u32_u24_e32 v27, 0x10001, v27
	v_mul_u32_u24_e32 v28, 0x10001, v28
	s_delay_alu instid0(VALU_DEP_4) | instskip(NEXT) | instid1(VALU_DEP_4)
	v_mul_u32_u24_e32 v17, 0x10001, v17
	v_mul_u32_u24_e32 v18, 0x10001, v18
	s_delay_alu instid0(VALU_DEP_2) | instskip(SKIP_1) | instid1(VALU_DEP_3)
	v_pk_fma_f16 v9, v21, v17, v9
	v_pk_fma_f16 v17, v21, v27, v23
	v_pk_fma_f16 v18, v21, v18, v25
	v_pk_fma_f16 v21, v21, v28, v24
	v_lshrrev_b32_e32 v23, 16, v19
	v_lshrrev_b32_e32 v24, 16, v20
	v_and_b32_e32 v19, 0xffff, v19
	v_and_b32_e32 v20, 0xffff, v20
	s_delay_alu instid0(VALU_DEP_4) | instskip(NEXT) | instid1(VALU_DEP_4)
	v_mul_u32_u24_e32 v23, 0x10001, v23
	v_mul_u32_u24_e32 v24, 0x10001, v24
	s_delay_alu instid0(VALU_DEP_4) | instskip(NEXT) | instid1(VALU_DEP_4)
	v_mul_u32_u24_e32 v19, 0x10001, v19
	v_mul_u32_u24_e32 v20, 0x10001, v20
	s_delay_alu instid0(VALU_DEP_4) | instskip(NEXT) | instid1(VALU_DEP_4)
	v_pk_fma_f16 v23, v22, v23, v17
	v_pk_fma_f16 v24, v22, v24, v21
	s_delay_alu instid0(VALU_DEP_4) | instskip(NEXT) | instid1(VALU_DEP_4)
	v_pk_fma_f16 v9, v22, v19, v9
	v_pk_fma_f16 v25, v22, v20, v18
	ds_load_2addr_b32 v[21:22], v26 offset0:128 offset1:160
	;; [unrolled: 34-line block ×3, first 2 shown]
	ds_load_b128 v[17:20], v8 offset:19120
	s_wait_dscnt 0x0
	v_lshrrev_b32_e32 v26, 16, v17
	v_lshrrev_b32_e32 v27, 16, v18
	v_and_b32_e32 v17, 0xffff, v17
	v_and_b32_e32 v18, 0xffff, v18
	s_delay_alu instid0(VALU_DEP_4) | instskip(NEXT) | instid1(VALU_DEP_4)
	v_mul_u32_u24_e32 v26, 0x10001, v26
	v_mul_u32_u24_e32 v27, 0x10001, v27
	s_delay_alu instid0(VALU_DEP_4) | instskip(NEXT) | instid1(VALU_DEP_4)
	v_mul_u32_u24_e32 v17, 0x10001, v17
	v_mul_u32_u24_e32 v18, 0x10001, v18
	s_delay_alu instid0(VALU_DEP_2) | instskip(SKIP_1) | instid1(VALU_DEP_3)
	v_pk_fma_f16 v9, v21, v17, v9
	v_pk_fma_f16 v17, v21, v26, v23
	;; [unrolled: 1-line block ×4, first 2 shown]
	v_lshrrev_b32_e32 v23, 16, v19
	v_lshrrev_b32_e32 v24, 16, v20
	v_and_b32_e32 v19, 0xffff, v19
	v_and_b32_e32 v20, 0xffff, v20
	v_add_nc_u32_e32 v26, 0x2c00, v46
	v_mul_u32_u24_e32 v23, 0x10001, v23
	v_mul_u32_u24_e32 v24, 0x10001, v24
	;; [unrolled: 1-line block ×4, first 2 shown]
	s_delay_alu instid0(VALU_DEP_4) | instskip(NEXT) | instid1(VALU_DEP_4)
	v_pk_fma_f16 v23, v22, v23, v17
	v_pk_fma_f16 v24, v22, v24, v21
	s_delay_alu instid0(VALU_DEP_4) | instskip(NEXT) | instid1(VALU_DEP_4)
	v_pk_fma_f16 v9, v22, v19, v9
	v_pk_fma_f16 v25, v22, v20, v18
	ds_load_2addr_b32 v[21:22], v26 offset1:32
	ds_load_b128 v[17:20], v8 offset:19136
	s_wait_dscnt 0x0
	v_lshrrev_b32_e32 v27, 16, v17
	v_lshrrev_b32_e32 v28, 16, v18
	v_and_b32_e32 v17, 0xffff, v17
	v_and_b32_e32 v18, 0xffff, v18
	s_delay_alu instid0(VALU_DEP_4) | instskip(NEXT) | instid1(VALU_DEP_4)
	v_mul_u32_u24_e32 v27, 0x10001, v27
	v_mul_u32_u24_e32 v28, 0x10001, v28
	s_delay_alu instid0(VALU_DEP_4) | instskip(NEXT) | instid1(VALU_DEP_4)
	v_mul_u32_u24_e32 v17, 0x10001, v17
	v_mul_u32_u24_e32 v18, 0x10001, v18
	s_delay_alu instid0(VALU_DEP_2) | instskip(SKIP_1) | instid1(VALU_DEP_3)
	v_pk_fma_f16 v9, v21, v17, v9
	v_pk_fma_f16 v17, v21, v27, v23
	v_pk_fma_f16 v18, v21, v18, v25
	v_pk_fma_f16 v21, v21, v28, v24
	v_lshrrev_b32_e32 v23, 16, v19
	v_lshrrev_b32_e32 v24, 16, v20
	v_and_b32_e32 v19, 0xffff, v19
	v_and_b32_e32 v20, 0xffff, v20
	s_delay_alu instid0(VALU_DEP_4) | instskip(NEXT) | instid1(VALU_DEP_4)
	v_mul_u32_u24_e32 v23, 0x10001, v23
	v_mul_u32_u24_e32 v24, 0x10001, v24
	s_delay_alu instid0(VALU_DEP_4) | instskip(NEXT) | instid1(VALU_DEP_4)
	v_mul_u32_u24_e32 v19, 0x10001, v19
	v_mul_u32_u24_e32 v20, 0x10001, v20
	s_delay_alu instid0(VALU_DEP_4) | instskip(NEXT) | instid1(VALU_DEP_4)
	v_pk_fma_f16 v23, v22, v23, v17
	v_pk_fma_f16 v24, v22, v24, v21
	s_delay_alu instid0(VALU_DEP_4) | instskip(NEXT) | instid1(VALU_DEP_4)
	v_pk_fma_f16 v9, v22, v19, v9
	v_pk_fma_f16 v25, v22, v20, v18
	ds_load_2addr_b32 v[21:22], v26 offset0:64 offset1:96
	ds_load_b128 v[17:20], v8 offset:19152
	s_wait_dscnt 0x0
	v_lshrrev_b32_e32 v27, 16, v17
	v_lshrrev_b32_e32 v28, 16, v18
	v_and_b32_e32 v17, 0xffff, v17
	v_and_b32_e32 v18, 0xffff, v18
	s_delay_alu instid0(VALU_DEP_4) | instskip(NEXT) | instid1(VALU_DEP_4)
	v_mul_u32_u24_e32 v27, 0x10001, v27
	v_mul_u32_u24_e32 v28, 0x10001, v28
	s_delay_alu instid0(VALU_DEP_4) | instskip(NEXT) | instid1(VALU_DEP_4)
	v_mul_u32_u24_e32 v17, 0x10001, v17
	v_mul_u32_u24_e32 v18, 0x10001, v18
	s_delay_alu instid0(VALU_DEP_2) | instskip(SKIP_1) | instid1(VALU_DEP_3)
	v_pk_fma_f16 v9, v21, v17, v9
	v_pk_fma_f16 v17, v21, v27, v23
	v_pk_fma_f16 v18, v21, v18, v25
	v_pk_fma_f16 v21, v21, v28, v24
	v_lshrrev_b32_e32 v23, 16, v19
	v_lshrrev_b32_e32 v24, 16, v20
	v_and_b32_e32 v19, 0xffff, v19
	v_and_b32_e32 v20, 0xffff, v20
	s_delay_alu instid0(VALU_DEP_4) | instskip(NEXT) | instid1(VALU_DEP_4)
	v_mul_u32_u24_e32 v23, 0x10001, v23
	v_mul_u32_u24_e32 v24, 0x10001, v24
	s_delay_alu instid0(VALU_DEP_4) | instskip(NEXT) | instid1(VALU_DEP_4)
	v_mul_u32_u24_e32 v19, 0x10001, v19
	v_mul_u32_u24_e32 v20, 0x10001, v20
	s_delay_alu instid0(VALU_DEP_4) | instskip(NEXT) | instid1(VALU_DEP_4)
	v_pk_fma_f16 v23, v22, v23, v17
	v_pk_fma_f16 v24, v22, v24, v21
	s_delay_alu instid0(VALU_DEP_4) | instskip(NEXT) | instid1(VALU_DEP_4)
	v_pk_fma_f16 v9, v22, v19, v9
	v_pk_fma_f16 v25, v22, v20, v18
	ds_load_2addr_b32 v[21:22], v26 offset0:128 offset1:160
	;; [unrolled: 34-line block ×3, first 2 shown]
	ds_load_b128 v[17:20], v8 offset:19184
	s_wait_dscnt 0x0
	v_lshrrev_b32_e32 v26, 16, v17
	v_lshrrev_b32_e32 v27, 16, v18
	v_and_b32_e32 v17, 0xffff, v17
	v_and_b32_e32 v18, 0xffff, v18
	s_delay_alu instid0(VALU_DEP_4) | instskip(NEXT) | instid1(VALU_DEP_4)
	v_mul_u32_u24_e32 v26, 0x10001, v26
	v_mul_u32_u24_e32 v27, 0x10001, v27
	s_delay_alu instid0(VALU_DEP_4) | instskip(NEXT) | instid1(VALU_DEP_4)
	v_mul_u32_u24_e32 v17, 0x10001, v17
	v_mul_u32_u24_e32 v18, 0x10001, v18
	s_delay_alu instid0(VALU_DEP_2) | instskip(SKIP_1) | instid1(VALU_DEP_3)
	v_pk_fma_f16 v9, v21, v17, v9
	v_pk_fma_f16 v17, v21, v26, v23
	;; [unrolled: 1-line block ×4, first 2 shown]
	v_lshrrev_b32_e32 v23, 16, v19
	v_lshrrev_b32_e32 v24, 16, v20
	v_and_b32_e32 v19, 0xffff, v19
	v_and_b32_e32 v20, 0xffff, v20
	v_add_nc_u32_e32 v26, 0x3000, v46
	v_mul_u32_u24_e32 v23, 0x10001, v23
	v_mul_u32_u24_e32 v24, 0x10001, v24
	;; [unrolled: 1-line block ×4, first 2 shown]
	s_delay_alu instid0(VALU_DEP_4) | instskip(NEXT) | instid1(VALU_DEP_4)
	v_pk_fma_f16 v23, v22, v23, v17
	v_pk_fma_f16 v24, v22, v24, v21
	s_delay_alu instid0(VALU_DEP_4) | instskip(NEXT) | instid1(VALU_DEP_4)
	v_pk_fma_f16 v9, v22, v19, v9
	v_pk_fma_f16 v25, v22, v20, v18
	ds_load_2addr_b32 v[21:22], v26 offset1:32
	ds_load_b128 v[17:20], v8 offset:19200
	s_wait_dscnt 0x0
	v_lshrrev_b32_e32 v27, 16, v17
	v_lshrrev_b32_e32 v28, 16, v18
	v_and_b32_e32 v17, 0xffff, v17
	v_and_b32_e32 v18, 0xffff, v18
	s_delay_alu instid0(VALU_DEP_4) | instskip(NEXT) | instid1(VALU_DEP_4)
	v_mul_u32_u24_e32 v27, 0x10001, v27
	v_mul_u32_u24_e32 v28, 0x10001, v28
	s_delay_alu instid0(VALU_DEP_4) | instskip(NEXT) | instid1(VALU_DEP_4)
	v_mul_u32_u24_e32 v17, 0x10001, v17
	v_mul_u32_u24_e32 v18, 0x10001, v18
	s_delay_alu instid0(VALU_DEP_2) | instskip(SKIP_1) | instid1(VALU_DEP_3)
	v_pk_fma_f16 v9, v21, v17, v9
	v_pk_fma_f16 v17, v21, v27, v23
	v_pk_fma_f16 v18, v21, v18, v25
	v_pk_fma_f16 v21, v21, v28, v24
	v_lshrrev_b32_e32 v23, 16, v19
	v_lshrrev_b32_e32 v24, 16, v20
	v_and_b32_e32 v19, 0xffff, v19
	v_and_b32_e32 v20, 0xffff, v20
	s_delay_alu instid0(VALU_DEP_4) | instskip(NEXT) | instid1(VALU_DEP_4)
	v_mul_u32_u24_e32 v23, 0x10001, v23
	v_mul_u32_u24_e32 v24, 0x10001, v24
	s_delay_alu instid0(VALU_DEP_4) | instskip(NEXT) | instid1(VALU_DEP_4)
	v_mul_u32_u24_e32 v19, 0x10001, v19
	v_mul_u32_u24_e32 v20, 0x10001, v20
	s_delay_alu instid0(VALU_DEP_4) | instskip(NEXT) | instid1(VALU_DEP_4)
	v_pk_fma_f16 v23, v22, v23, v17
	v_pk_fma_f16 v24, v22, v24, v21
	s_delay_alu instid0(VALU_DEP_4) | instskip(NEXT) | instid1(VALU_DEP_4)
	v_pk_fma_f16 v9, v22, v19, v9
	v_pk_fma_f16 v25, v22, v20, v18
	ds_load_2addr_b32 v[21:22], v26 offset0:64 offset1:96
	ds_load_b128 v[17:20], v8 offset:19216
	s_wait_dscnt 0x0
	v_lshrrev_b32_e32 v27, 16, v17
	v_lshrrev_b32_e32 v28, 16, v18
	v_and_b32_e32 v17, 0xffff, v17
	v_and_b32_e32 v18, 0xffff, v18
	s_delay_alu instid0(VALU_DEP_4) | instskip(NEXT) | instid1(VALU_DEP_4)
	v_mul_u32_u24_e32 v27, 0x10001, v27
	v_mul_u32_u24_e32 v28, 0x10001, v28
	s_delay_alu instid0(VALU_DEP_4) | instskip(NEXT) | instid1(VALU_DEP_4)
	v_mul_u32_u24_e32 v17, 0x10001, v17
	v_mul_u32_u24_e32 v18, 0x10001, v18
	s_delay_alu instid0(VALU_DEP_2) | instskip(SKIP_1) | instid1(VALU_DEP_3)
	v_pk_fma_f16 v9, v21, v17, v9
	v_pk_fma_f16 v17, v21, v27, v23
	v_pk_fma_f16 v18, v21, v18, v25
	v_pk_fma_f16 v21, v21, v28, v24
	v_lshrrev_b32_e32 v23, 16, v19
	v_lshrrev_b32_e32 v24, 16, v20
	v_and_b32_e32 v19, 0xffff, v19
	v_and_b32_e32 v20, 0xffff, v20
	s_delay_alu instid0(VALU_DEP_4) | instskip(NEXT) | instid1(VALU_DEP_4)
	v_mul_u32_u24_e32 v23, 0x10001, v23
	v_mul_u32_u24_e32 v24, 0x10001, v24
	s_delay_alu instid0(VALU_DEP_4) | instskip(NEXT) | instid1(VALU_DEP_4)
	v_mul_u32_u24_e32 v19, 0x10001, v19
	v_mul_u32_u24_e32 v20, 0x10001, v20
	s_delay_alu instid0(VALU_DEP_4) | instskip(NEXT) | instid1(VALU_DEP_4)
	v_pk_fma_f16 v23, v22, v23, v17
	v_pk_fma_f16 v24, v22, v24, v21
	s_delay_alu instid0(VALU_DEP_4) | instskip(NEXT) | instid1(VALU_DEP_4)
	v_pk_fma_f16 v9, v22, v19, v9
	v_pk_fma_f16 v25, v22, v20, v18
	ds_load_2addr_b32 v[21:22], v26 offset0:128 offset1:160
	ds_load_b128 v[17:20], v8 offset:19232
	s_wait_dscnt 0x0
	v_lshrrev_b32_e32 v27, 16, v17
	v_lshrrev_b32_e32 v28, 16, v18
	v_and_b32_e32 v17, 0xffff, v17
	v_and_b32_e32 v18, 0xffff, v18
	s_delay_alu instid0(VALU_DEP_4) | instskip(NEXT) | instid1(VALU_DEP_4)
	v_mul_u32_u24_e32 v27, 0x10001, v27
	v_mul_u32_u24_e32 v28, 0x10001, v28
	s_delay_alu instid0(VALU_DEP_4) | instskip(NEXT) | instid1(VALU_DEP_4)
	v_mul_u32_u24_e32 v17, 0x10001, v17
	v_mul_u32_u24_e32 v18, 0x10001, v18
	s_delay_alu instid0(VALU_DEP_2) | instskip(SKIP_1) | instid1(VALU_DEP_3)
	v_pk_fma_f16 v9, v21, v17, v9
	v_pk_fma_f16 v17, v21, v27, v23
	v_pk_fma_f16 v18, v21, v18, v25
	v_pk_fma_f16 v21, v21, v28, v24
	v_lshrrev_b32_e32 v23, 16, v19
	v_lshrrev_b32_e32 v24, 16, v20
	v_and_b32_e32 v19, 0xffff, v19
	v_and_b32_e32 v20, 0xffff, v20
	s_delay_alu instid0(VALU_DEP_4) | instskip(NEXT) | instid1(VALU_DEP_4)
	v_mul_u32_u24_e32 v23, 0x10001, v23
	v_mul_u32_u24_e32 v24, 0x10001, v24
	s_delay_alu instid0(VALU_DEP_4) | instskip(NEXT) | instid1(VALU_DEP_4)
	v_mul_u32_u24_e32 v19, 0x10001, v19
	v_mul_u32_u24_e32 v20, 0x10001, v20
	s_delay_alu instid0(VALU_DEP_4) | instskip(NEXT) | instid1(VALU_DEP_4)
	v_pk_fma_f16 v23, v22, v23, v17
	v_pk_fma_f16 v24, v22, v24, v21
	s_delay_alu instid0(VALU_DEP_4) | instskip(NEXT) | instid1(VALU_DEP_4)
	v_pk_fma_f16 v9, v22, v19, v9
	v_pk_fma_f16 v25, v22, v20, v18
	ds_load_2addr_b32 v[21:22], v26 offset0:192 offset1:224
	ds_load_b128 v[17:20], v8 offset:19248
	s_wait_dscnt 0x0
	v_lshrrev_b32_e32 v26, 16, v17
	v_lshrrev_b32_e32 v27, 16, v18
	v_and_b32_e32 v17, 0xffff, v17
	v_and_b32_e32 v18, 0xffff, v18
	s_delay_alu instid0(VALU_DEP_4) | instskip(NEXT) | instid1(VALU_DEP_4)
	v_mul_u32_u24_e32 v26, 0x10001, v26
	v_mul_u32_u24_e32 v27, 0x10001, v27
	s_delay_alu instid0(VALU_DEP_4) | instskip(NEXT) | instid1(VALU_DEP_4)
	v_mul_u32_u24_e32 v17, 0x10001, v17
	v_mul_u32_u24_e32 v18, 0x10001, v18
	s_delay_alu instid0(VALU_DEP_2) | instskip(SKIP_1) | instid1(VALU_DEP_3)
	v_pk_fma_f16 v9, v21, v17, v9
	v_pk_fma_f16 v17, v21, v26, v23
	;; [unrolled: 1-line block ×4, first 2 shown]
	v_lshrrev_b32_e32 v23, 16, v19
	v_lshrrev_b32_e32 v24, 16, v20
	v_and_b32_e32 v19, 0xffff, v19
	v_and_b32_e32 v20, 0xffff, v20
	v_add_nc_u32_e32 v26, 0x3400, v46
	v_mul_u32_u24_e32 v23, 0x10001, v23
	v_mul_u32_u24_e32 v24, 0x10001, v24
	;; [unrolled: 1-line block ×4, first 2 shown]
	s_delay_alu instid0(VALU_DEP_4) | instskip(NEXT) | instid1(VALU_DEP_4)
	v_pk_fma_f16 v23, v22, v23, v17
	v_pk_fma_f16 v24, v22, v24, v21
	s_delay_alu instid0(VALU_DEP_4) | instskip(NEXT) | instid1(VALU_DEP_4)
	v_pk_fma_f16 v9, v22, v19, v9
	v_pk_fma_f16 v25, v22, v20, v18
	ds_load_2addr_b32 v[21:22], v26 offset1:32
	ds_load_b128 v[17:20], v8 offset:19264
	s_wait_dscnt 0x0
	v_lshrrev_b32_e32 v27, 16, v17
	v_lshrrev_b32_e32 v28, 16, v18
	v_and_b32_e32 v17, 0xffff, v17
	v_and_b32_e32 v18, 0xffff, v18
	s_delay_alu instid0(VALU_DEP_4) | instskip(NEXT) | instid1(VALU_DEP_4)
	v_mul_u32_u24_e32 v27, 0x10001, v27
	v_mul_u32_u24_e32 v28, 0x10001, v28
	s_delay_alu instid0(VALU_DEP_4) | instskip(NEXT) | instid1(VALU_DEP_4)
	v_mul_u32_u24_e32 v17, 0x10001, v17
	v_mul_u32_u24_e32 v18, 0x10001, v18
	s_delay_alu instid0(VALU_DEP_2) | instskip(SKIP_1) | instid1(VALU_DEP_3)
	v_pk_fma_f16 v9, v21, v17, v9
	v_pk_fma_f16 v17, v21, v27, v23
	v_pk_fma_f16 v18, v21, v18, v25
	v_pk_fma_f16 v21, v21, v28, v24
	v_lshrrev_b32_e32 v23, 16, v19
	v_lshrrev_b32_e32 v24, 16, v20
	v_and_b32_e32 v19, 0xffff, v19
	v_and_b32_e32 v20, 0xffff, v20
	s_delay_alu instid0(VALU_DEP_4) | instskip(NEXT) | instid1(VALU_DEP_4)
	v_mul_u32_u24_e32 v23, 0x10001, v23
	v_mul_u32_u24_e32 v24, 0x10001, v24
	s_delay_alu instid0(VALU_DEP_4) | instskip(NEXT) | instid1(VALU_DEP_4)
	v_mul_u32_u24_e32 v19, 0x10001, v19
	v_mul_u32_u24_e32 v20, 0x10001, v20
	s_delay_alu instid0(VALU_DEP_4) | instskip(NEXT) | instid1(VALU_DEP_4)
	v_pk_fma_f16 v23, v22, v23, v17
	v_pk_fma_f16 v24, v22, v24, v21
	s_delay_alu instid0(VALU_DEP_4) | instskip(NEXT) | instid1(VALU_DEP_4)
	v_pk_fma_f16 v9, v22, v19, v9
	v_pk_fma_f16 v25, v22, v20, v18
	ds_load_2addr_b32 v[21:22], v26 offset0:64 offset1:96
	ds_load_b128 v[17:20], v8 offset:19280
	s_wait_dscnt 0x0
	v_lshrrev_b32_e32 v27, 16, v17
	v_lshrrev_b32_e32 v28, 16, v18
	v_and_b32_e32 v17, 0xffff, v17
	v_and_b32_e32 v18, 0xffff, v18
	s_delay_alu instid0(VALU_DEP_4) | instskip(NEXT) | instid1(VALU_DEP_4)
	v_mul_u32_u24_e32 v27, 0x10001, v27
	v_mul_u32_u24_e32 v28, 0x10001, v28
	s_delay_alu instid0(VALU_DEP_4) | instskip(NEXT) | instid1(VALU_DEP_4)
	v_mul_u32_u24_e32 v17, 0x10001, v17
	v_mul_u32_u24_e32 v18, 0x10001, v18
	s_delay_alu instid0(VALU_DEP_2) | instskip(SKIP_1) | instid1(VALU_DEP_3)
	v_pk_fma_f16 v9, v21, v17, v9
	v_pk_fma_f16 v17, v21, v27, v23
	v_pk_fma_f16 v18, v21, v18, v25
	v_pk_fma_f16 v21, v21, v28, v24
	v_lshrrev_b32_e32 v23, 16, v19
	v_lshrrev_b32_e32 v24, 16, v20
	v_and_b32_e32 v19, 0xffff, v19
	v_and_b32_e32 v20, 0xffff, v20
	s_delay_alu instid0(VALU_DEP_4) | instskip(NEXT) | instid1(VALU_DEP_4)
	v_mul_u32_u24_e32 v23, 0x10001, v23
	v_mul_u32_u24_e32 v24, 0x10001, v24
	s_delay_alu instid0(VALU_DEP_4) | instskip(NEXT) | instid1(VALU_DEP_4)
	v_mul_u32_u24_e32 v19, 0x10001, v19
	v_mul_u32_u24_e32 v20, 0x10001, v20
	s_delay_alu instid0(VALU_DEP_4) | instskip(NEXT) | instid1(VALU_DEP_4)
	v_pk_fma_f16 v23, v22, v23, v17
	v_pk_fma_f16 v24, v22, v24, v21
	s_delay_alu instid0(VALU_DEP_4) | instskip(NEXT) | instid1(VALU_DEP_4)
	v_pk_fma_f16 v9, v22, v19, v9
	v_pk_fma_f16 v25, v22, v20, v18
	ds_load_2addr_b32 v[21:22], v26 offset0:128 offset1:160
	;; [unrolled: 34-line block ×3, first 2 shown]
	ds_load_b128 v[17:20], v8 offset:19312
	s_wait_dscnt 0x0
	v_lshrrev_b32_e32 v26, 16, v17
	v_lshrrev_b32_e32 v27, 16, v18
	v_and_b32_e32 v17, 0xffff, v17
	v_and_b32_e32 v18, 0xffff, v18
	s_delay_alu instid0(VALU_DEP_4) | instskip(NEXT) | instid1(VALU_DEP_4)
	v_mul_u32_u24_e32 v26, 0x10001, v26
	v_mul_u32_u24_e32 v27, 0x10001, v27
	s_delay_alu instid0(VALU_DEP_4) | instskip(NEXT) | instid1(VALU_DEP_4)
	v_mul_u32_u24_e32 v17, 0x10001, v17
	v_mul_u32_u24_e32 v18, 0x10001, v18
	s_delay_alu instid0(VALU_DEP_2) | instskip(SKIP_1) | instid1(VALU_DEP_3)
	v_pk_fma_f16 v9, v21, v17, v9
	v_pk_fma_f16 v17, v21, v26, v23
	;; [unrolled: 1-line block ×4, first 2 shown]
	v_lshrrev_b32_e32 v23, 16, v19
	v_lshrrev_b32_e32 v24, 16, v20
	v_and_b32_e32 v19, 0xffff, v19
	v_and_b32_e32 v20, 0xffff, v20
	v_add_nc_u32_e32 v26, 0x3800, v46
	v_mul_u32_u24_e32 v23, 0x10001, v23
	v_mul_u32_u24_e32 v24, 0x10001, v24
	v_mul_u32_u24_e32 v19, 0x10001, v19
	v_mul_u32_u24_e32 v20, 0x10001, v20
	s_delay_alu instid0(VALU_DEP_4) | instskip(NEXT) | instid1(VALU_DEP_4)
	v_pk_fma_f16 v23, v22, v23, v17
	v_pk_fma_f16 v24, v22, v24, v21
	s_delay_alu instid0(VALU_DEP_4) | instskip(NEXT) | instid1(VALU_DEP_4)
	v_pk_fma_f16 v9, v22, v19, v9
	v_pk_fma_f16 v25, v22, v20, v18
	ds_load_2addr_b32 v[21:22], v26 offset1:32
	ds_load_b128 v[17:20], v8 offset:19328
	s_wait_dscnt 0x0
	v_lshrrev_b32_e32 v27, 16, v17
	v_lshrrev_b32_e32 v28, 16, v18
	v_and_b32_e32 v17, 0xffff, v17
	v_and_b32_e32 v18, 0xffff, v18
	s_delay_alu instid0(VALU_DEP_4) | instskip(NEXT) | instid1(VALU_DEP_4)
	v_mul_u32_u24_e32 v27, 0x10001, v27
	v_mul_u32_u24_e32 v28, 0x10001, v28
	s_delay_alu instid0(VALU_DEP_4) | instskip(NEXT) | instid1(VALU_DEP_4)
	v_mul_u32_u24_e32 v17, 0x10001, v17
	v_mul_u32_u24_e32 v18, 0x10001, v18
	s_delay_alu instid0(VALU_DEP_2) | instskip(SKIP_1) | instid1(VALU_DEP_3)
	v_pk_fma_f16 v9, v21, v17, v9
	v_pk_fma_f16 v17, v21, v27, v23
	v_pk_fma_f16 v18, v21, v18, v25
	v_pk_fma_f16 v21, v21, v28, v24
	v_lshrrev_b32_e32 v23, 16, v19
	v_lshrrev_b32_e32 v24, 16, v20
	v_and_b32_e32 v19, 0xffff, v19
	v_and_b32_e32 v20, 0xffff, v20
	s_delay_alu instid0(VALU_DEP_4) | instskip(NEXT) | instid1(VALU_DEP_4)
	v_mul_u32_u24_e32 v23, 0x10001, v23
	v_mul_u32_u24_e32 v24, 0x10001, v24
	s_delay_alu instid0(VALU_DEP_4) | instskip(NEXT) | instid1(VALU_DEP_4)
	v_mul_u32_u24_e32 v19, 0x10001, v19
	v_mul_u32_u24_e32 v20, 0x10001, v20
	s_delay_alu instid0(VALU_DEP_4) | instskip(NEXT) | instid1(VALU_DEP_4)
	v_pk_fma_f16 v23, v22, v23, v17
	v_pk_fma_f16 v24, v22, v24, v21
	s_delay_alu instid0(VALU_DEP_4) | instskip(NEXT) | instid1(VALU_DEP_4)
	v_pk_fma_f16 v9, v22, v19, v9
	v_pk_fma_f16 v25, v22, v20, v18
	ds_load_2addr_b32 v[21:22], v26 offset0:64 offset1:96
	ds_load_b128 v[17:20], v8 offset:19344
	s_wait_dscnt 0x0
	v_lshrrev_b32_e32 v27, 16, v17
	v_lshrrev_b32_e32 v28, 16, v18
	v_and_b32_e32 v17, 0xffff, v17
	v_and_b32_e32 v18, 0xffff, v18
	s_delay_alu instid0(VALU_DEP_4) | instskip(NEXT) | instid1(VALU_DEP_4)
	v_mul_u32_u24_e32 v27, 0x10001, v27
	v_mul_u32_u24_e32 v28, 0x10001, v28
	s_delay_alu instid0(VALU_DEP_4) | instskip(NEXT) | instid1(VALU_DEP_4)
	v_mul_u32_u24_e32 v17, 0x10001, v17
	v_mul_u32_u24_e32 v18, 0x10001, v18
	s_delay_alu instid0(VALU_DEP_2) | instskip(SKIP_1) | instid1(VALU_DEP_3)
	v_pk_fma_f16 v9, v21, v17, v9
	v_pk_fma_f16 v17, v21, v27, v23
	v_pk_fma_f16 v18, v21, v18, v25
	v_pk_fma_f16 v21, v21, v28, v24
	v_lshrrev_b32_e32 v23, 16, v19
	v_lshrrev_b32_e32 v24, 16, v20
	v_and_b32_e32 v19, 0xffff, v19
	v_and_b32_e32 v20, 0xffff, v20
	s_delay_alu instid0(VALU_DEP_4) | instskip(NEXT) | instid1(VALU_DEP_4)
	v_mul_u32_u24_e32 v23, 0x10001, v23
	v_mul_u32_u24_e32 v24, 0x10001, v24
	s_delay_alu instid0(VALU_DEP_4) | instskip(NEXT) | instid1(VALU_DEP_4)
	v_mul_u32_u24_e32 v19, 0x10001, v19
	v_mul_u32_u24_e32 v20, 0x10001, v20
	s_delay_alu instid0(VALU_DEP_4) | instskip(NEXT) | instid1(VALU_DEP_4)
	v_pk_fma_f16 v23, v22, v23, v17
	v_pk_fma_f16 v24, v22, v24, v21
	s_delay_alu instid0(VALU_DEP_4) | instskip(NEXT) | instid1(VALU_DEP_4)
	v_pk_fma_f16 v9, v22, v19, v9
	v_pk_fma_f16 v25, v22, v20, v18
	ds_load_2addr_b32 v[21:22], v26 offset0:128 offset1:160
	;; [unrolled: 34-line block ×3, first 2 shown]
	ds_load_b128 v[17:20], v8 offset:19376
	s_wait_dscnt 0x0
	v_lshrrev_b32_e32 v26, 16, v17
	v_lshrrev_b32_e32 v27, 16, v18
	v_and_b32_e32 v17, 0xffff, v17
	v_and_b32_e32 v18, 0xffff, v18
	s_delay_alu instid0(VALU_DEP_4) | instskip(NEXT) | instid1(VALU_DEP_4)
	v_mul_u32_u24_e32 v26, 0x10001, v26
	v_mul_u32_u24_e32 v27, 0x10001, v27
	s_delay_alu instid0(VALU_DEP_4) | instskip(NEXT) | instid1(VALU_DEP_4)
	v_mul_u32_u24_e32 v17, 0x10001, v17
	v_mul_u32_u24_e32 v18, 0x10001, v18
	s_delay_alu instid0(VALU_DEP_2) | instskip(SKIP_1) | instid1(VALU_DEP_3)
	v_pk_fma_f16 v9, v21, v17, v9
	v_pk_fma_f16 v17, v21, v26, v23
	;; [unrolled: 1-line block ×4, first 2 shown]
	v_lshrrev_b32_e32 v23, 16, v19
	v_lshrrev_b32_e32 v24, 16, v20
	v_and_b32_e32 v19, 0xffff, v19
	v_and_b32_e32 v20, 0xffff, v20
	v_add_nc_u32_e32 v26, 0x3c00, v46
	v_mul_u32_u24_e32 v23, 0x10001, v23
	v_mul_u32_u24_e32 v24, 0x10001, v24
	;; [unrolled: 1-line block ×4, first 2 shown]
	s_delay_alu instid0(VALU_DEP_4) | instskip(NEXT) | instid1(VALU_DEP_4)
	v_pk_fma_f16 v23, v22, v23, v17
	v_pk_fma_f16 v24, v22, v24, v21
	s_delay_alu instid0(VALU_DEP_4) | instskip(NEXT) | instid1(VALU_DEP_4)
	v_pk_fma_f16 v9, v22, v19, v9
	v_pk_fma_f16 v25, v22, v20, v18
	ds_load_2addr_b32 v[21:22], v26 offset1:32
	ds_load_b128 v[17:20], v8 offset:19392
	s_wait_dscnt 0x0
	v_lshrrev_b32_e32 v27, 16, v17
	v_lshrrev_b32_e32 v28, 16, v18
	v_and_b32_e32 v17, 0xffff, v17
	v_and_b32_e32 v18, 0xffff, v18
	s_delay_alu instid0(VALU_DEP_4) | instskip(NEXT) | instid1(VALU_DEP_4)
	v_mul_u32_u24_e32 v27, 0x10001, v27
	v_mul_u32_u24_e32 v28, 0x10001, v28
	s_delay_alu instid0(VALU_DEP_4) | instskip(NEXT) | instid1(VALU_DEP_4)
	v_mul_u32_u24_e32 v17, 0x10001, v17
	v_mul_u32_u24_e32 v18, 0x10001, v18
	s_delay_alu instid0(VALU_DEP_2) | instskip(SKIP_1) | instid1(VALU_DEP_3)
	v_pk_fma_f16 v9, v21, v17, v9
	v_pk_fma_f16 v17, v21, v27, v23
	v_pk_fma_f16 v18, v21, v18, v25
	v_pk_fma_f16 v21, v21, v28, v24
	v_lshrrev_b32_e32 v23, 16, v19
	v_lshrrev_b32_e32 v24, 16, v20
	v_and_b32_e32 v19, 0xffff, v19
	v_and_b32_e32 v20, 0xffff, v20
	s_delay_alu instid0(VALU_DEP_4) | instskip(NEXT) | instid1(VALU_DEP_4)
	v_mul_u32_u24_e32 v23, 0x10001, v23
	v_mul_u32_u24_e32 v24, 0x10001, v24
	s_delay_alu instid0(VALU_DEP_4) | instskip(NEXT) | instid1(VALU_DEP_4)
	v_mul_u32_u24_e32 v19, 0x10001, v19
	v_mul_u32_u24_e32 v20, 0x10001, v20
	s_delay_alu instid0(VALU_DEP_4) | instskip(NEXT) | instid1(VALU_DEP_4)
	v_pk_fma_f16 v23, v22, v23, v17
	v_pk_fma_f16 v24, v22, v24, v21
	s_delay_alu instid0(VALU_DEP_4) | instskip(NEXT) | instid1(VALU_DEP_4)
	v_pk_fma_f16 v9, v22, v19, v9
	v_pk_fma_f16 v25, v22, v20, v18
	ds_load_2addr_b32 v[21:22], v26 offset0:64 offset1:96
	ds_load_b128 v[17:20], v8 offset:19408
	s_wait_dscnt 0x0
	v_lshrrev_b32_e32 v27, 16, v17
	v_lshrrev_b32_e32 v28, 16, v18
	v_and_b32_e32 v17, 0xffff, v17
	v_and_b32_e32 v18, 0xffff, v18
	s_delay_alu instid0(VALU_DEP_4) | instskip(NEXT) | instid1(VALU_DEP_4)
	v_mul_u32_u24_e32 v27, 0x10001, v27
	v_mul_u32_u24_e32 v28, 0x10001, v28
	s_delay_alu instid0(VALU_DEP_4) | instskip(NEXT) | instid1(VALU_DEP_4)
	v_mul_u32_u24_e32 v17, 0x10001, v17
	v_mul_u32_u24_e32 v18, 0x10001, v18
	s_delay_alu instid0(VALU_DEP_2) | instskip(SKIP_1) | instid1(VALU_DEP_3)
	v_pk_fma_f16 v9, v21, v17, v9
	v_pk_fma_f16 v17, v21, v27, v23
	v_pk_fma_f16 v18, v21, v18, v25
	v_pk_fma_f16 v21, v21, v28, v24
	v_lshrrev_b32_e32 v23, 16, v19
	v_lshrrev_b32_e32 v24, 16, v20
	v_and_b32_e32 v19, 0xffff, v19
	v_and_b32_e32 v20, 0xffff, v20
	s_delay_alu instid0(VALU_DEP_4) | instskip(NEXT) | instid1(VALU_DEP_4)
	v_mul_u32_u24_e32 v23, 0x10001, v23
	v_mul_u32_u24_e32 v24, 0x10001, v24
	s_delay_alu instid0(VALU_DEP_4) | instskip(NEXT) | instid1(VALU_DEP_4)
	v_mul_u32_u24_e32 v19, 0x10001, v19
	v_mul_u32_u24_e32 v20, 0x10001, v20
	s_delay_alu instid0(VALU_DEP_4) | instskip(NEXT) | instid1(VALU_DEP_4)
	v_pk_fma_f16 v23, v22, v23, v17
	v_pk_fma_f16 v24, v22, v24, v21
	s_delay_alu instid0(VALU_DEP_4) | instskip(NEXT) | instid1(VALU_DEP_4)
	v_pk_fma_f16 v9, v22, v19, v9
	v_pk_fma_f16 v25, v22, v20, v18
	ds_load_2addr_b32 v[21:22], v26 offset0:128 offset1:160
	;; [unrolled: 34-line block ×3, first 2 shown]
	ds_load_b128 v[17:20], v8 offset:19440
	s_wait_loadcnt_dscnt 0x0
	s_barrier_signal -1
	s_barrier_wait -1
	global_inv scope:SCOPE_SE
	v_lshrrev_b32_e32 v8, 16, v17
	v_lshrrev_b32_e32 v26, 16, v18
	v_and_b32_e32 v17, 0xffff, v17
	v_and_b32_e32 v18, 0xffff, v18
	s_delay_alu instid0(VALU_DEP_4) | instskip(NEXT) | instid1(VALU_DEP_4)
	v_mul_u32_u24_e32 v8, 0x10001, v8
	v_mul_u32_u24_e32 v26, 0x10001, v26
	s_delay_alu instid0(VALU_DEP_4) | instskip(NEXT) | instid1(VALU_DEP_4)
	v_mul_u32_u24_e32 v17, 0x10001, v17
	v_mul_u32_u24_e32 v18, 0x10001, v18
	s_delay_alu instid0(VALU_DEP_4) | instskip(SKIP_1) | instid1(VALU_DEP_4)
	v_pk_fma_f16 v8, v21, v8, v23
	v_lshrrev_b32_e32 v23, 16, v20
	v_pk_fma_f16 v9, v21, v17, v9
	s_delay_alu instid0(VALU_DEP_4)
	v_pk_fma_f16 v17, v21, v18, v25
	v_pk_fma_f16 v18, v21, v26, v24
	v_lshrrev_b32_e32 v21, 16, v19
	v_and_b32_e32 v19, 0xffff, v19
	v_and_b32_e32 v20, 0xffff, v20
	v_mul_u32_u24_e32 v23, 0x10001, v23
	s_delay_alu instid0(VALU_DEP_4) | instskip(NEXT) | instid1(VALU_DEP_4)
	v_mul_u32_u24_e32 v21, 0x10001, v21
	v_mul_u32_u24_e32 v19, 0x10001, v19
	s_delay_alu instid0(VALU_DEP_4) | instskip(NEXT) | instid1(VALU_DEP_4)
	v_mul_u32_u24_e32 v20, 0x10001, v20
	v_pk_fma_f16 v57, v22, v23, v18
	s_delay_alu instid0(VALU_DEP_4) | instskip(NEXT) | instid1(VALU_DEP_4)
	v_pk_fma_f16 v48, v22, v21, v8
	v_pk_fma_f16 v49, v22, v19, v9
	s_delay_alu instid0(VALU_DEP_4)
	v_pk_fma_f16 v47, v22, v20, v17
.LBB59_128:
	v_cmp_lt_i32_e32 vcc_lo, v16, v15
	s_cmp_eq_u64 s[16:17], 0
	s_cselect_b32 s2, -1, 0
	s_cmp_lg_u32 s14, 0
	s_wait_alu 0xfffd
	v_cndmask_b32_e32 v0, v45, v16, vcc_lo
	v_cmp_lt_i32_e32 vcc_lo, v13, v15
	s_cselect_b32 s3, -1, 0
	s_wait_alu 0xfffe
	s_or_b32 s2, s3, s2
	v_lshlrev_b32_e32 v0, 2, v0
	ds_bpermute_b32 v1, v0, v61
	s_wait_dscnt 0x0
	v_add_f32_e32 v1, v61, v1
	ds_bpermute_b32 v3, v0, v62
	ds_bpermute_b32 v2, v0, v60
	;; [unrolled: 1-line block ×3, first 2 shown]
	s_wait_dscnt 0x2
	s_wait_alu 0xfffd
	v_dual_add_f32 v3, v62, v3 :: v_dual_cndmask_b32 v8, v45, v13
	v_cmp_lt_i32_e32 vcc_lo, v12, v15
	s_delay_alu instid0(VALU_DEP_2)
	v_lshlrev_b32_e32 v8, 2, v8
	ds_bpermute_b32 v9, v8, v1
	s_wait_dscnt 0x0
	v_add_f32_e32 v1, v1, v9
	ds_bpermute_b32 v16, v8, v3
	s_wait_dscnt 0x0
	v_add_f32_e32 v3, v3, v16
	s_wait_alu 0xfffd
	v_cndmask_b32_e32 v12, v45, v12, vcc_lo
	v_cmp_lt_i32_e32 vcc_lo, v11, v15
	v_add_f32_e32 v2, v60, v2
	s_wait_alu 0xfffd
	s_delay_alu instid0(VALU_DEP_3)
	v_dual_cndmask_b32 v11, v45, v11 :: v_dual_lshlrev_b32 v12, 2, v12
	v_add_f32_e32 v0, v59, v0
	ds_bpermute_b32 v13, v8, v2
	v_cmp_lt_i32_e32 vcc_lo, v10, v15
	v_lshlrev_b32_e32 v11, 2, v11
	ds_bpermute_b32 v8, v8, v0
	s_wait_dscnt 0x0
	v_add_f32_e32 v0, v0, v8
	ds_bpermute_b32 v8, v12, v1
	v_add_f32_e32 v2, v2, v13
	ds_bpermute_b32 v13, v12, v3
	s_wait_dscnt 0x1
	v_add_f32_e32 v1, v1, v8
	ds_bpermute_b32 v9, v12, v2
	ds_bpermute_b32 v12, v12, v0
	s_wait_dscnt 0x2
	v_add_f32_e32 v3, v3, v13
	ds_bpermute_b32 v8, v11, v1
	s_wait_dscnt 0x2
	v_add_f32_e32 v2, v2, v9
	s_wait_dscnt 0x1
	v_add_f32_e32 v0, v0, v12
	ds_bpermute_b32 v12, v11, v3
	s_wait_alu 0xfffd
	v_cndmask_b32_e32 v10, v45, v10, vcc_lo
	s_wait_dscnt 0x1
	v_add_f32_e32 v1, v1, v8
	ds_bpermute_b32 v9, v11, v2
	ds_bpermute_b32 v11, v11, v0
	s_wait_alu 0xfffe
	s_and_b32 vcc_lo, exec_lo, s2
	s_wait_dscnt 0x2
	v_dual_add_f32 v3, v3, v12 :: v_dual_lshlrev_b32 v10, 2, v10
	s_wait_dscnt 0x0
	v_add_f32_e32 v8, v0, v11
	v_add_f32_e32 v2, v2, v9
	ds_bpermute_b32 v0, v10, v1
	ds_bpermute_b32 v11, v10, v3
	;; [unrolled: 1-line block ×4, first 2 shown]
	s_wait_dscnt 0x1
	v_dual_add_f32 v0, v1, v0 :: v_dual_add_f32 v1, v2, v9
	s_wait_dscnt 0x0
	v_dual_add_f32 v2, v3, v11 :: v_dual_add_f32 v3, v8, v10
	s_wait_alu 0xfffe
	s_cbranch_vccnz .LBB59_131
; %bb.129:
	v_dual_mov_b32 v8, 0 :: v_dual_max_num_f32 v9, v4, v4
	s_lshl_b64 s[2:3], s[34:35], 2
	v_dual_max_num_f32 v12, v6, v6 :: v_dual_max_num_f32 v13, v7, v7
	s_wait_alu 0xfffe
	s_add_nc_u64 s[2:3], s[16:17], s[2:3]
	v_max_num_f32_e32 v11, v5, v5
	global_load_b32 v8, v8, s[2:3]
	s_wait_loadcnt 0x0
	v_max_num_f32_e32 v10, v8, v8
	s_delay_alu instid0(VALU_DEP_1) | instskip(SKIP_3) | instid1(VALU_DEP_4)
	v_max_num_f32_e32 v16, v11, v10
	v_max_num_f32_e32 v15, v9, v10
	;; [unrolled: 1-line block ×4, first 2 shown]
	v_sub_f32_e32 v10, v8, v16
	s_delay_alu instid0(VALU_DEP_4) | instskip(SKIP_2) | instid1(VALU_DEP_3)
	v_sub_f32_e32 v9, v8, v15
	v_dual_sub_f32 v4, v4, v15 :: v_dual_sub_f32 v5, v5, v16
	v_sub_f32_e32 v11, v8, v17
	v_dual_sub_f32 v12, v8, v18 :: v_dual_mul_f32 v13, 0x3fb8aa3b, v9
	s_delay_alu instid0(VALU_DEP_3) | instskip(SKIP_2) | instid1(VALU_DEP_3)
	v_mul_f32_e32 v8, 0x3fb8aa3b, v4
	v_dual_sub_f32 v6, v6, v17 :: v_dual_sub_f32 v7, v7, v18
	v_dual_mul_f32 v19, 0x3fb8aa3b, v5 :: v_dual_mul_f32 v20, 0x3fb8aa3b, v10
	v_fma_f32 v25, 0x3fb8aa3b, v4, -v8
	s_delay_alu instid0(VALU_DEP_3)
	v_dual_mul_f32 v21, 0x3fb8aa3b, v6 :: v_dual_mul_f32 v22, 0x3fb8aa3b, v11
	v_rndne_f32_e32 v26, v8
	v_fma_f32 v27, 0x3fb8aa3b, v9, -v13
	v_fma_f32 v31, 0x3fb8aa3b, v10, -v20
	v_rndne_f32_e32 v32, v20
	v_fma_f32 v33, 0x3fb8aa3b, v6, -v21
	v_dual_fmac_f32 v25, 0x32a5705f, v4 :: v_dual_sub_f32 v8, v8, v26
	s_delay_alu instid0(VALU_DEP_3) | instskip(SKIP_2) | instid1(VALU_DEP_4)
	v_dual_fmac_f32 v27, 0x32a5705f, v9 :: v_dual_sub_f32 v20, v20, v32
	v_fmac_f32_e32 v31, 0x32a5705f, v10
	v_rndne_f32_e32 v28, v13
	v_dual_add_f32 v8, v8, v25 :: v_dual_fmac_f32 v33, 0x32a5705f, v6
	v_dual_mul_f32 v23, 0x3fb8aa3b, v7 :: v_dual_mul_f32 v24, 0x3fb8aa3b, v12
	s_delay_alu instid0(VALU_DEP_4)
	v_add_f32_e32 v20, v20, v31
	v_fma_f32 v29, 0x3fb8aa3b, v5, -v19
	v_rndne_f32_e32 v30, v19
	v_rndne_f32_e32 v45, v22
	v_sub_f32_e32 v13, v13, v28
	v_exp_f32_e32 v20, v20
	v_cvt_i32_f32_e32 v32, v32
	v_exp_f32_e32 v8, v8
	v_fma_f32 v35, 0x3fb8aa3b, v11, -v22
	v_fma_f32 v46, 0x3fb8aa3b, v7, -v23
	v_rndne_f32_e32 v52, v24
	v_cvt_i32_f32_e32 v26, v26
	v_fmac_f32_e32 v29, 0x32a5705f, v5
	v_dual_sub_f32 v19, v19, v30 :: v_dual_sub_f32 v22, v22, v45
	s_delay_alu instid0(TRANS32_DEP_2)
	v_ldexp_f32 v20, v20, v32
	v_add_f32_e32 v13, v13, v27
	v_rndne_f32_e32 v34, v21
	v_fma_f32 v51, 0x3fb8aa3b, v12, -v24
	v_fmac_f32_e32 v46, 0x32a5705f, v7
	v_dual_sub_f32 v24, v24, v52 :: v_dual_add_f32 v19, v19, v29
	v_exp_f32_e32 v13, v13
	v_ldexp_f32 v8, v8, v26
	v_cmp_ngt_f32_e32 vcc_lo, 0xc2ce8ed0, v4
	v_cvt_i32_f32_e32 v28, v28
	v_fmac_f32_e32 v35, 0x32a5705f, v11
	v_exp_f32_e32 v19, v19
	v_cvt_i32_f32_e32 v30, v30
	s_wait_alu 0xfffd
	v_dual_cndmask_b32 v8, 0, v8 :: v_dual_sub_f32 v21, v21, v34
	v_add_f32_e32 v22, v22, v35
	v_ldexp_f32 v13, v13, v28
	v_cmp_ngt_f32_e32 vcc_lo, 0xc2ce8ed0, v9
	v_cvt_i32_f32_e32 v34, v34
	v_add_f32_e32 v21, v21, v33
	v_exp_f32_e32 v22, v22
	v_ldexp_f32 v19, v19, v30
	s_wait_alu 0xfffd
	v_cndmask_b32_e32 v13, 0, v13, vcc_lo
	v_cmp_ngt_f32_e32 vcc_lo, 0xc2ce8ed0, v5
	v_exp_f32_e32 v21, v21
	v_cvt_i32_f32_e32 v45, v45
	v_rndne_f32_e32 v50, v23
	v_cvt_i32_f32_e32 v27, v52
	s_wait_alu 0xfffd
	v_cndmask_b32_e32 v19, 0, v19, vcc_lo
	v_cmp_ngt_f32_e32 vcc_lo, 0xc2ce8ed0, v10
	v_ldexp_f32 v22, v22, v45
	v_cvt_i32_f32_e32 v25, v50
	s_delay_alu instid0(TRANS32_DEP_1)
	v_ldexp_f32 v21, v21, v34
	s_wait_alu 0xfffd
	v_cndmask_b32_e32 v20, 0, v20, vcc_lo
	v_cmp_ngt_f32_e32 vcc_lo, 0xc2ce8ed0, v6
	s_wait_alu 0xfffd
	v_cndmask_b32_e32 v21, 0, v21, vcc_lo
	v_cmp_ngt_f32_e32 vcc_lo, 0xc2ce8ed0, v11
	s_wait_alu 0xfffd
	v_dual_fmac_f32 v51, 0x32a5705f, v12 :: v_dual_cndmask_b32 v22, 0, v22
	s_delay_alu instid0(VALU_DEP_1) | instskip(SKIP_1) | instid1(VALU_DEP_2)
	v_dual_sub_f32 v23, v23, v50 :: v_dual_add_f32 v24, v24, v51
	v_cmp_ngt_f32_e32 vcc_lo, 0xc2ce8ed0, v7
	v_add_f32_e32 v23, v23, v46
	s_delay_alu instid0(VALU_DEP_3) | instskip(NEXT) | instid1(VALU_DEP_1)
	v_exp_f32_e32 v24, v24
	v_exp_f32_e32 v23, v23
	s_delay_alu instid0(TRANS32_DEP_2) | instskip(NEXT) | instid1(TRANS32_DEP_1)
	v_ldexp_f32 v24, v24, v27
	v_ldexp_f32 v23, v23, v25
	s_wait_alu 0xfffd
	s_delay_alu instid0(VALU_DEP_1)
	v_cndmask_b32_e32 v23, 0, v23, vcc_lo
	v_cmp_ngt_f32_e32 vcc_lo, 0xc2ce8ed0, v12
	s_wait_alu 0xfffd
	v_cndmask_b32_e32 v24, 0, v24, vcc_lo
	v_cmp_nlt_f32_e32 vcc_lo, 0x42b17218, v4
	s_wait_alu 0xfffd
	v_cndmask_b32_e32 v4, 0x7f800000, v8, vcc_lo
	v_cmp_nlt_f32_e32 vcc_lo, 0x42b17218, v9
	;; [unrolled: 3-line block ×3, first 2 shown]
	s_wait_alu 0xfffd
	s_delay_alu instid0(VALU_DEP_2)
	v_dual_fmac_f32 v8, v0, v4 :: v_dual_cndmask_b32 v5, 0x7f800000, v19
	v_cmp_nlt_f32_e32 vcc_lo, 0x42b17218, v10
	v_cvt_f16_f32_e32 v0, v4
	s_wait_alu 0xfffd
	v_cndmask_b32_e32 v9, 0x7f800000, v20, vcc_lo
	v_cmp_nlt_f32_e32 vcc_lo, 0x42b17218, v6
	s_delay_alu instid0(VALU_DEP_2) | instskip(SKIP_4) | instid1(VALU_DEP_3)
	v_dual_fmac_f32 v9, v1, v5 :: v_dual_and_b32 v0, 0xffff, v0
	s_wait_alu 0xfffd
	v_cndmask_b32_e32 v6, 0x7f800000, v21, vcc_lo
	v_cmp_nlt_f32_e32 vcc_lo, 0x42b17218, v11
	v_cvt_f16_f32_e32 v1, v5
	v_cvt_f16_f32_e32 v4, v6
	s_wait_alu 0xfffd
	v_cndmask_b32_e32 v10, 0x7f800000, v22, vcc_lo
	v_cmp_nlt_f32_e32 vcc_lo, 0x42b17218, v7
	s_delay_alu instid0(VALU_DEP_2)
	v_dual_fmac_f32 v10, v2, v6 :: v_dual_and_b32 v1, 0xffff, v1
	v_and_b32_e32 v2, 0xffff, v4
	s_wait_alu 0xfffd
	v_cndmask_b32_e32 v7, 0x7f800000, v23, vcc_lo
	v_cmp_nlt_f32_e32 vcc_lo, 0x42b17218, v12
	v_mul_u32_u24_e32 v6, 0x10001, v1
	s_delay_alu instid0(VALU_DEP_3) | instskip(SKIP_2) | instid1(VALU_DEP_3)
	v_cvt_f16_f32_e32 v5, v7
	s_wait_alu 0xfffd
	v_cndmask_b32_e32 v11, 0x7f800000, v24, vcc_lo
	v_pk_mul_f16 v48, v48, v6
	s_delay_alu instid0(VALU_DEP_2) | instskip(SKIP_3) | instid1(VALU_DEP_4)
	v_dual_fmac_f32 v11, v3, v7 :: v_dual_and_b32 v4, 0xffff, v5
	v_mul_u32_u24_e32 v5, 0x10001, v0
	v_mul_u32_u24_e32 v7, 0x10001, v2
	v_dual_mov_b32 v0, v8 :: v_dual_mov_b32 v1, v9
	v_mul_u32_u24_e32 v4, 0x10001, v4
	s_delay_alu instid0(VALU_DEP_4) | instskip(NEXT) | instid1(VALU_DEP_4)
	v_pk_mul_f16 v49, v49, v5
	v_pk_mul_f16 v47, v47, v7
	v_dual_mov_b32 v2, v10 :: v_dual_mov_b32 v3, v11
	s_delay_alu instid0(VALU_DEP_4)
	v_pk_mul_f16 v57, v57, v4
	v_dual_mov_b32 v4, v15 :: v_dual_mov_b32 v5, v16
	v_dual_mov_b32 v6, v17 :: v_dual_mov_b32 v7, v18
	s_mov_b32 s2, exec_lo
	v_cmpx_gt_i32_e64 s26, v43
	s_cbranch_execnz .LBB59_132
.LBB59_130:
	s_nop 0
	s_sendmsg sendmsg(MSG_DEALLOC_VGPRS)
	s_endpgm
.LBB59_131:
	v_dual_mov_b32 v8, v0 :: v_dual_mov_b32 v9, v1
	s_delay_alu instid0(VALU_DEP_2)
	v_dual_mov_b32 v10, v2 :: v_dual_mov_b32 v11, v3
	s_mov_b32 s2, exec_lo
	v_cmpx_gt_i32_e64 s26, v43
	s_cbranch_execz .LBB59_130
.LBB59_132:
	s_load_b32 s1, s[0:1], 0xd4
	v_mov_b32_e32 v15, 1.0
	s_wait_kmcnt 0x0
	s_cmp_lg_u32 s1, 1
	s_cselect_b32 s4, -1, 0
	s_cmp_eq_u32 s1, 1
	s_cselect_b32 s3, -1, 0
	s_wait_alu 0xfffe
	s_and_b32 vcc_lo, exec_lo, s4
	s_wait_alu 0xfffe
	s_cbranch_vccnz .LBB59_134
; %bb.133:
	v_div_scale_f32 v12, null, v8, v8, 1.0
	s_delay_alu instid0(VALU_DEP_1) | instskip(NEXT) | instid1(TRANS32_DEP_1)
	v_rcp_f32_e32 v13, v12
	v_fma_f32 v15, -v12, v13, 1.0
	s_delay_alu instid0(VALU_DEP_1) | instskip(SKIP_1) | instid1(VALU_DEP_1)
	v_fmac_f32_e32 v13, v15, v13
	v_div_scale_f32 v15, vcc_lo, 1.0, v8, 1.0
	v_mul_f32_e32 v16, v15, v13
	s_delay_alu instid0(VALU_DEP_1) | instskip(NEXT) | instid1(VALU_DEP_1)
	v_fma_f32 v17, -v12, v16, v15
	v_fmac_f32_e32 v16, v17, v13
	s_delay_alu instid0(VALU_DEP_1) | instskip(SKIP_1) | instid1(VALU_DEP_1)
	v_fma_f32 v12, -v12, v16, v15
	s_wait_alu 0xfffd
	v_div_fmas_f32 v12, v12, v13, v16
	s_delay_alu instid0(VALU_DEP_1)
	v_div_fixup_f32 v15, v12, v8, 1.0
.LBB59_134:
	s_mul_i32 s2, s36, s26
	v_cmp_eq_u32_e32 vcc_lo, 0, v44
	s_wait_alu 0xfffe
	s_add_co_i32 s2, s2, s15
	s_wait_alu 0xfffe
	v_dual_mov_b32 v17, 0 :: v_dual_add_nc_u32 v8, s2, v41
	s_delay_alu instid0(VALU_DEP_1) | instskip(SKIP_1) | instid1(VALU_DEP_1)
	v_mad_co_u64_u32 v[12:13], null, v8, s27, s[34:35]
	v_lshrrev_b32_e32 v8, 16, v49
	v_cvt_f32_f16_e32 v8, v8
	s_delay_alu instid0(VALU_DEP_3) | instskip(SKIP_1) | instid1(VALU_DEP_3)
	v_mad_co_u64_u32 v[12:13], null, s1, v12, s[14:15]
	v_cvt_f32_f16_e32 v13, v49
	v_mul_f32_e32 v19, v15, v8
	s_delay_alu instid0(VALU_DEP_2) | instskip(NEXT) | instid1(VALU_DEP_4)
	v_mul_f32_e32 v18, v15, v13
	v_lshl_add_u32 v16, v12, 6, v14
	s_delay_alu instid0(VALU_DEP_1) | instskip(NEXT) | instid1(VALU_DEP_1)
	v_lshlrev_b64_e32 v[16:17], 2, v[16:17]
	v_add_co_u32 v15, s0, s20, v16
	s_wait_alu 0xf1ff
	s_delay_alu instid0(VALU_DEP_2)
	v_add_co_ci_u32_e64 v16, null, s21, v17, s0
	s_and_b32 s0, vcc_lo, s4
	global_store_b64 v[15:16], v[18:19], off
	s_wait_alu 0xfffe
	s_and_saveexec_b32 s4, s0
	s_cbranch_execz .LBB59_136
; %bb.135:
	v_ashrrev_i32_e32 v13, 31, v12
	v_dual_mov_b32 v15, v4 :: v_dual_mov_b32 v16, v0
	s_delay_alu instid0(VALU_DEP_2) | instskip(NEXT) | instid1(VALU_DEP_1)
	v_lshlrev_b64_e32 v[12:13], 3, v[12:13]
	v_add_co_u32 v12, vcc_lo, s22, v12
	s_wait_alu 0xfffd
	s_delay_alu instid0(VALU_DEP_2)
	v_add_co_ci_u32_e64 v13, null, s23, v13, vcc_lo
	global_store_b64 v[12:13], v[15:16], off
.LBB59_136:
	s_wait_alu 0xfffe
	s_or_b32 exec_lo, exec_lo, s4
	v_cmp_gt_i32_e32 vcc_lo, s26, v42
	s_and_b32 exec_lo, exec_lo, vcc_lo
	s_cbranch_execz .LBB59_130
; %bb.137:
	v_cndmask_b32_e64 v4, 0, 1, s3
	v_mov_b32_e32 v0, 1.0
	s_and_not1_b32 vcc_lo, exec_lo, s3
	s_wait_alu 0xfffe
	s_cbranch_vccnz .LBB59_139
; %bb.138:
	v_div_scale_f32 v0, null, v9, v9, 1.0
	s_delay_alu instid0(VALU_DEP_1) | instskip(NEXT) | instid1(TRANS32_DEP_1)
	v_rcp_f32_e32 v8, v0
	v_fma_f32 v12, -v0, v8, 1.0
	s_delay_alu instid0(VALU_DEP_1) | instskip(SKIP_1) | instid1(VALU_DEP_1)
	v_fmac_f32_e32 v8, v12, v8
	v_div_scale_f32 v12, vcc_lo, 1.0, v9, 1.0
	v_mul_f32_e32 v13, v12, v8
	s_delay_alu instid0(VALU_DEP_1) | instskip(NEXT) | instid1(VALU_DEP_1)
	v_fma_f32 v15, -v0, v13, v12
	v_fmac_f32_e32 v13, v15, v8
	s_delay_alu instid0(VALU_DEP_1) | instskip(SKIP_1) | instid1(VALU_DEP_1)
	v_fma_f32 v0, -v0, v13, v12
	s_wait_alu 0xfffd
	v_div_fmas_f32 v0, v0, v8, v13
	s_delay_alu instid0(VALU_DEP_1)
	v_div_fixup_f32 v0, v0, v9, 1.0
.LBB59_139:
	v_dual_mov_b32 v13, 0 :: v_dual_add_nc_u32 v8, s2, v39
	v_cvt_f32_f16_e32 v15, v48
	s_delay_alu instid0(VALU_DEP_2) | instskip(NEXT) | instid1(VALU_DEP_2)
	v_mad_co_u64_u32 v[8:9], null, v8, s27, s[34:35]
	v_mul_f32_e32 v15, v0, v15
	s_delay_alu instid0(VALU_DEP_2) | instskip(SKIP_1) | instid1(VALU_DEP_1)
	v_mad_co_u64_u32 v[8:9], null, s1, v8, s[14:15]
	v_lshrrev_b32_e32 v9, 16, v48
	v_cvt_f32_f16_e32 v9, v9
	s_delay_alu instid0(VALU_DEP_3) | instskip(NEXT) | instid1(VALU_DEP_2)
	v_lshl_add_u32 v12, v8, 6, v14
	v_mul_f32_e32 v16, v0, v9
	s_delay_alu instid0(VALU_DEP_2) | instskip(NEXT) | instid1(VALU_DEP_1)
	v_lshlrev_b64_e32 v[12:13], 2, v[12:13]
	v_add_co_u32 v12, vcc_lo, s20, v12
	s_wait_alu 0xfffd
	s_delay_alu instid0(VALU_DEP_2)
	v_add_co_ci_u32_e64 v13, null, s21, v13, vcc_lo
	global_store_b64 v[12:13], v[15:16], off
	s_and_saveexec_b32 s3, s0
	s_cbranch_execz .LBB59_141
; %bb.140:
	v_ashrrev_i32_e32 v9, 31, v8
	v_mov_b32_e32 v0, v5
	s_delay_alu instid0(VALU_DEP_2) | instskip(NEXT) | instid1(VALU_DEP_1)
	v_lshlrev_b64_e32 v[8:9], 3, v[8:9]
	v_add_co_u32 v8, vcc_lo, s22, v8
	s_wait_alu 0xfffd
	s_delay_alu instid0(VALU_DEP_2)
	v_add_co_ci_u32_e64 v9, null, s23, v9, vcc_lo
	global_store_b64 v[8:9], v[0:1], off
.LBB59_141:
	s_wait_alu 0xfffe
	s_or_b32 exec_lo, exec_lo, s3
	v_cmp_gt_i32_e32 vcc_lo, s26, v40
	s_and_b32 exec_lo, exec_lo, vcc_lo
	s_cbranch_execz .LBB59_130
; %bb.142:
	v_cmp_ne_u32_e32 vcc_lo, 1, v4
	v_mov_b32_e32 v5, 1.0
	s_cbranch_vccnz .LBB59_144
; %bb.143:
	v_div_scale_f32 v0, null, v10, v10, 1.0
	s_delay_alu instid0(VALU_DEP_1) | instskip(NEXT) | instid1(TRANS32_DEP_1)
	v_rcp_f32_e32 v1, v0
	v_fma_f32 v5, -v0, v1, 1.0
	s_delay_alu instid0(VALU_DEP_1) | instskip(SKIP_1) | instid1(VALU_DEP_1)
	v_fmac_f32_e32 v1, v5, v1
	v_div_scale_f32 v5, vcc_lo, 1.0, v10, 1.0
	v_mul_f32_e32 v8, v5, v1
	s_delay_alu instid0(VALU_DEP_1) | instskip(NEXT) | instid1(VALU_DEP_1)
	v_fma_f32 v9, -v0, v8, v5
	v_fmac_f32_e32 v8, v9, v1
	s_delay_alu instid0(VALU_DEP_1) | instskip(SKIP_1) | instid1(VALU_DEP_1)
	v_fma_f32 v0, -v0, v8, v5
	s_wait_alu 0xfffd
	v_div_fmas_f32 v0, v0, v1, v8
	s_delay_alu instid0(VALU_DEP_1)
	v_div_fixup_f32 v5, v0, v10, 1.0
.LBB59_144:
	v_dual_mov_b32 v9, 0 :: v_dual_add_nc_u32 v0, s2, v38
	v_cvt_f32_f16_e32 v10, v47
	s_delay_alu instid0(VALU_DEP_2) | instskip(NEXT) | instid1(VALU_DEP_2)
	v_mad_co_u64_u32 v[0:1], null, v0, s27, s[34:35]
	v_mul_f32_e32 v12, v5, v10
	s_delay_alu instid0(VALU_DEP_2) | instskip(SKIP_1) | instid1(VALU_DEP_1)
	v_mad_co_u64_u32 v[0:1], null, s1, v0, s[14:15]
	v_lshrrev_b32_e32 v1, 16, v47
	v_cvt_f32_f16_e32 v1, v1
	s_delay_alu instid0(VALU_DEP_3) | instskip(NEXT) | instid1(VALU_DEP_2)
	v_lshl_add_u32 v8, v0, 6, v14
	v_mul_f32_e32 v13, v5, v1
	s_delay_alu instid0(VALU_DEP_2) | instskip(NEXT) | instid1(VALU_DEP_1)
	v_lshlrev_b64_e32 v[8:9], 2, v[8:9]
	v_add_co_u32 v8, vcc_lo, s20, v8
	s_wait_alu 0xfffd
	s_delay_alu instid0(VALU_DEP_2)
	v_add_co_ci_u32_e64 v9, null, s21, v9, vcc_lo
	global_store_b64 v[8:9], v[12:13], off
	s_and_saveexec_b32 s3, s0
	s_cbranch_execz .LBB59_146
; %bb.145:
	v_ashrrev_i32_e32 v1, 31, v0
	s_delay_alu instid0(VALU_DEP_1) | instskip(NEXT) | instid1(VALU_DEP_1)
	v_lshlrev_b64_e32 v[0:1], 3, v[0:1]
	v_add_co_u32 v8, vcc_lo, s22, v0
	s_wait_alu 0xfffd
	s_delay_alu instid0(VALU_DEP_2)
	v_add_co_ci_u32_e64 v9, null, s23, v1, vcc_lo
	v_mov_b32_e32 v1, v6
	global_store_b64 v[8:9], v[1:2], off
.LBB59_146:
	s_wait_alu 0xfffe
	s_or_b32 exec_lo, exec_lo, s3
	v_cmp_gt_i32_e32 vcc_lo, s26, v37
	s_and_b32 exec_lo, exec_lo, vcc_lo
	s_cbranch_execz .LBB59_130
; %bb.147:
	v_cmp_ne_u32_e32 vcc_lo, 1, v4
	v_mov_b32_e32 v2, 1.0
	s_cbranch_vccnz .LBB59_149
; %bb.148:
	v_div_scale_f32 v0, null, v11, v11, 1.0
	s_delay_alu instid0(VALU_DEP_1) | instskip(NEXT) | instid1(TRANS32_DEP_1)
	v_rcp_f32_e32 v1, v0
	v_fma_f32 v2, -v0, v1, 1.0
	s_delay_alu instid0(VALU_DEP_1) | instskip(SKIP_1) | instid1(VALU_DEP_1)
	v_fmac_f32_e32 v1, v2, v1
	v_div_scale_f32 v2, vcc_lo, 1.0, v11, 1.0
	v_mul_f32_e32 v4, v2, v1
	s_delay_alu instid0(VALU_DEP_1) | instskip(NEXT) | instid1(VALU_DEP_1)
	v_fma_f32 v5, -v0, v4, v2
	v_fmac_f32_e32 v4, v5, v1
	s_delay_alu instid0(VALU_DEP_1) | instskip(SKIP_1) | instid1(VALU_DEP_1)
	v_fma_f32 v0, -v0, v4, v2
	s_wait_alu 0xfffd
	v_div_fmas_f32 v0, v0, v1, v4
	s_delay_alu instid0(VALU_DEP_1)
	v_div_fixup_f32 v2, v0, v11, 1.0
.LBB59_149:
	v_dual_mov_b32 v5, 0 :: v_dual_add_nc_u32 v0, s2, v36
	v_cvt_f32_f16_e32 v6, v57
	s_delay_alu instid0(VALU_DEP_2) | instskip(NEXT) | instid1(VALU_DEP_1)
	v_mad_co_u64_u32 v[0:1], null, v0, s27, s[34:35]
	v_mad_co_u64_u32 v[0:1], null, s1, v0, s[14:15]
	v_lshrrev_b32_e32 v1, 16, v57
	s_delay_alu instid0(VALU_DEP_1) | instskip(NEXT) | instid1(VALU_DEP_3)
	v_cvt_f32_f16_e32 v8, v1
	v_lshl_add_u32 v4, v0, 6, v14
	v_mul_f32_e32 v1, v2, v6
	s_delay_alu instid0(VALU_DEP_3) | instskip(NEXT) | instid1(VALU_DEP_3)
	v_mul_f32_e32 v2, v2, v8
	v_lshlrev_b64_e32 v[4:5], 2, v[4:5]
	s_delay_alu instid0(VALU_DEP_1) | instskip(SKIP_1) | instid1(VALU_DEP_2)
	v_add_co_u32 v4, vcc_lo, s20, v4
	s_wait_alu 0xfffd
	v_add_co_ci_u32_e64 v5, null, s21, v5, vcc_lo
	global_store_b64 v[4:5], v[1:2], off
	s_and_b32 exec_lo, exec_lo, s0
	s_cbranch_execz .LBB59_130
; %bb.150:
	v_ashrrev_i32_e32 v1, 31, v0
	v_mov_b32_e32 v2, v7
	s_delay_alu instid0(VALU_DEP_2) | instskip(NEXT) | instid1(VALU_DEP_1)
	v_lshlrev_b64_e32 v[0:1], 3, v[0:1]
	v_add_co_u32 v0, vcc_lo, s22, v0
	s_wait_alu 0xfffd
	s_delay_alu instid0(VALU_DEP_2)
	v_add_co_ci_u32_e64 v1, null, s23, v1, vcc_lo
	global_store_b64 v[0:1], v[2:3], off
	s_nop 0
	s_sendmsg sendmsg(MSG_DEALLOC_VGPRS)
	s_endpgm
	.section	.rodata,"a",@progbits
	.p2align	6, 0x0
	.amdhsa_kernel _ZL15flash_attn_tileILi64ELi64ELi16ELi1ELb0EEvPKcS1_S1_S1_S1_PKiPfP15HIP_vector_typeIfLj2EEffffjfiS5_IjLj3EEiiiiiiiiiiiliiliiiiil
		.amdhsa_group_segment_fixed_size 24576
		.amdhsa_private_segment_fixed_size 32
		.amdhsa_kernarg_size 464
		.amdhsa_user_sgpr_count 2
		.amdhsa_user_sgpr_dispatch_ptr 0
		.amdhsa_user_sgpr_queue_ptr 0
		.amdhsa_user_sgpr_kernarg_segment_ptr 1
		.amdhsa_user_sgpr_dispatch_id 0
		.amdhsa_user_sgpr_private_segment_size 0
		.amdhsa_wavefront_size32 1
		.amdhsa_uses_dynamic_stack 0
		.amdhsa_enable_private_segment 1
		.amdhsa_system_sgpr_workgroup_id_x 1
		.amdhsa_system_sgpr_workgroup_id_y 1
		.amdhsa_system_sgpr_workgroup_id_z 1
		.amdhsa_system_sgpr_workgroup_info 0
		.amdhsa_system_vgpr_workitem_id 1
		.amdhsa_next_free_vgpr 241
		.amdhsa_next_free_sgpr 48
		.amdhsa_reserve_vcc 1
		.amdhsa_float_round_mode_32 0
		.amdhsa_float_round_mode_16_64 0
		.amdhsa_float_denorm_mode_32 3
		.amdhsa_float_denorm_mode_16_64 3
		.amdhsa_fp16_overflow 0
		.amdhsa_workgroup_processor_mode 1
		.amdhsa_memory_ordered 1
		.amdhsa_forward_progress 1
		.amdhsa_inst_pref_size 255
		.amdhsa_round_robin_scheduling 0
		.amdhsa_exception_fp_ieee_invalid_op 0
		.amdhsa_exception_fp_denorm_src 0
		.amdhsa_exception_fp_ieee_div_zero 0
		.amdhsa_exception_fp_ieee_overflow 0
		.amdhsa_exception_fp_ieee_underflow 0
		.amdhsa_exception_fp_ieee_inexact 0
		.amdhsa_exception_int_div_zero 0
	.end_amdhsa_kernel
	.section	.text._ZL15flash_attn_tileILi64ELi64ELi16ELi1ELb0EEvPKcS1_S1_S1_S1_PKiPfP15HIP_vector_typeIfLj2EEffffjfiS5_IjLj3EEiiiiiiiiiiiliiliiiiil,"axG",@progbits,_ZL15flash_attn_tileILi64ELi64ELi16ELi1ELb0EEvPKcS1_S1_S1_S1_PKiPfP15HIP_vector_typeIfLj2EEffffjfiS5_IjLj3EEiiiiiiiiiiiliiliiiiil,comdat
.Lfunc_end59:
	.size	_ZL15flash_attn_tileILi64ELi64ELi16ELi1ELb0EEvPKcS1_S1_S1_S1_PKiPfP15HIP_vector_typeIfLj2EEffffjfiS5_IjLj3EEiiiiiiiiiiiliiliiiiil, .Lfunc_end59-_ZL15flash_attn_tileILi64ELi64ELi16ELi1ELb0EEvPKcS1_S1_S1_S1_PKiPfP15HIP_vector_typeIfLj2EEffffjfiS5_IjLj3EEiiiiiiiiiiiliiliiiiil
                                        ; -- End function
	.set _ZL15flash_attn_tileILi64ELi64ELi16ELi1ELb0EEvPKcS1_S1_S1_S1_PKiPfP15HIP_vector_typeIfLj2EEffffjfiS5_IjLj3EEiiiiiiiiiiiliiliiiiil.num_vgpr, 157
	.set _ZL15flash_attn_tileILi64ELi64ELi16ELi1ELb0EEvPKcS1_S1_S1_S1_PKiPfP15HIP_vector_typeIfLj2EEffffjfiS5_IjLj3EEiiiiiiiiiiiliiliiiiil.num_agpr, 0
	.set _ZL15flash_attn_tileILi64ELi64ELi16ELi1ELb0EEvPKcS1_S1_S1_S1_PKiPfP15HIP_vector_typeIfLj2EEffffjfiS5_IjLj3EEiiiiiiiiiiiliiliiiiil.numbered_sgpr, 48
	.set _ZL15flash_attn_tileILi64ELi64ELi16ELi1ELb0EEvPKcS1_S1_S1_S1_PKiPfP15HIP_vector_typeIfLj2EEffffjfiS5_IjLj3EEiiiiiiiiiiiliiliiiiil.num_named_barrier, 0
	.set _ZL15flash_attn_tileILi64ELi64ELi16ELi1ELb0EEvPKcS1_S1_S1_S1_PKiPfP15HIP_vector_typeIfLj2EEffffjfiS5_IjLj3EEiiiiiiiiiiiliiliiiiil.private_seg_size, 32
	.set _ZL15flash_attn_tileILi64ELi64ELi16ELi1ELb0EEvPKcS1_S1_S1_S1_PKiPfP15HIP_vector_typeIfLj2EEffffjfiS5_IjLj3EEiiiiiiiiiiiliiliiiiil.uses_vcc, 1
	.set _ZL15flash_attn_tileILi64ELi64ELi16ELi1ELb0EEvPKcS1_S1_S1_S1_PKiPfP15HIP_vector_typeIfLj2EEffffjfiS5_IjLj3EEiiiiiiiiiiiliiliiiiil.uses_flat_scratch, 1
	.set _ZL15flash_attn_tileILi64ELi64ELi16ELi1ELb0EEvPKcS1_S1_S1_S1_PKiPfP15HIP_vector_typeIfLj2EEffffjfiS5_IjLj3EEiiiiiiiiiiiliiliiiiil.has_dyn_sized_stack, 0
	.set _ZL15flash_attn_tileILi64ELi64ELi16ELi1ELb0EEvPKcS1_S1_S1_S1_PKiPfP15HIP_vector_typeIfLj2EEffffjfiS5_IjLj3EEiiiiiiiiiiiliiliiiiil.has_recursion, 0
	.set _ZL15flash_attn_tileILi64ELi64ELi16ELi1ELb0EEvPKcS1_S1_S1_S1_PKiPfP15HIP_vector_typeIfLj2EEffffjfiS5_IjLj3EEiiiiiiiiiiiliiliiiiil.has_indirect_call, 0
	.section	.AMDGPU.csdata,"",@progbits
; Kernel info:
; codeLenInByte = 49928
; TotalNumSgprs: 50
; NumVgprs: 157
; ScratchSize: 32
; MemoryBound: 0
; FloatMode: 240
; IeeeMode: 1
; LDSByteSize: 24576 bytes/workgroup (compile time only)
; SGPRBlocks: 0
; VGPRBlocks: 30
; NumSGPRsForWavesPerEU: 50
; NumVGPRsForWavesPerEU: 241
; Occupancy: 5
; WaveLimiterHint : 0
; COMPUTE_PGM_RSRC2:SCRATCH_EN: 1
; COMPUTE_PGM_RSRC2:USER_SGPR: 2
; COMPUTE_PGM_RSRC2:TRAP_HANDLER: 0
; COMPUTE_PGM_RSRC2:TGID_X_EN: 1
; COMPUTE_PGM_RSRC2:TGID_Y_EN: 1
; COMPUTE_PGM_RSRC2:TGID_Z_EN: 1
; COMPUTE_PGM_RSRC2:TIDIG_COMP_CNT: 1
	.section	.text._ZL33flash_attn_stream_k_fixup_uniformILi64ELi16ELi1EEvPfPK15HIP_vector_typeIfLj2EEiiiiiiS1_IjLj3EES5_S5_,"axG",@progbits,_ZL33flash_attn_stream_k_fixup_uniformILi64ELi16ELi1EEvPfPK15HIP_vector_typeIfLj2EEiiiiiiS1_IjLj3EES5_S5_,comdat
	.globl	_ZL33flash_attn_stream_k_fixup_uniformILi64ELi16ELi1EEvPfPK15HIP_vector_typeIfLj2EEiiiiiiS1_IjLj3EES5_S5_ ; -- Begin function _ZL33flash_attn_stream_k_fixup_uniformILi64ELi16ELi1EEvPfPK15HIP_vector_typeIfLj2EEiiiiiiS1_IjLj3EES5_S5_
	.p2align	8
	.type	_ZL33flash_attn_stream_k_fixup_uniformILi64ELi16ELi1EEvPfPK15HIP_vector_typeIfLj2EEiiiiiiS1_IjLj3EES5_S5_,@function
_ZL33flash_attn_stream_k_fixup_uniformILi64ELi16ELi1EEvPfPK15HIP_vector_typeIfLj2EEiiiiiiS1_IjLj3EES5_S5_: ; @_ZL33flash_attn_stream_k_fixup_uniformILi64ELi16ELi1EEvPfPK15HIP_vector_typeIfLj2EEiiiiiiS1_IjLj3EES5_S5_
; %bb.0:
	s_clause 0x1
	s_load_b256 s[4:11], s[0:1], 0x1c
	s_load_b128 s[12:15], s[0:1], 0x3c
	s_wait_kmcnt 0x0
	s_mul_hi_u32 s2, s7, ttmp9
	s_delay_alu instid0(SALU_CYCLE_1) | instskip(NEXT) | instid1(SALU_CYCLE_1)
	s_add_co_i32 s2, ttmp9, s2
	s_lshr_b32 s2, s2, s8
	s_delay_alu instid0(SALU_CYCLE_1) | instskip(SKIP_2) | instid1(SALU_CYCLE_1)
	s_mul_i32 s3, s2, s9
	s_load_b64 s[8:9], s[0:1], 0x10
	s_sub_co_i32 s7, ttmp9, s3
	s_mul_hi_u32 s3, s7, s10
	s_delay_alu instid0(SALU_CYCLE_1) | instskip(NEXT) | instid1(SALU_CYCLE_1)
	s_add_co_i32 s3, s7, s3
	s_lshr_b32 s3, s3, s11
	s_delay_alu instid0(SALU_CYCLE_1) | instskip(NEXT) | instid1(SALU_CYCLE_1)
	s_mul_i32 s10, s3, s12
	s_sub_co_i32 s7, s7, s10
	s_delay_alu instid0(SALU_CYCLE_1) | instskip(NEXT) | instid1(SALU_CYCLE_1)
	s_mul_hi_u32 s10, s7, s13
	s_add_co_i32 s10, s7, s10
	s_delay_alu instid0(SALU_CYCLE_1) | instskip(NEXT) | instid1(SALU_CYCLE_1)
	s_lshr_b32 s11, s10, s14
	s_mul_i32 s10, s11, s15
	s_delay_alu instid0(SALU_CYCLE_1) | instskip(SKIP_2) | instid1(SALU_CYCLE_1)
	s_sub_co_i32 s12, s7, s10
	s_and_b32 s7, ttmp7, 0xffff
	s_lshl_b32 s10, s12, 4
	s_add_co_i32 s13, s10, s7
	s_lshr_b32 s10, ttmp7, 16
	s_wait_kmcnt 0x0
	s_cmp_lt_i32 s13, s8
	s_cselect_b32 s13, -1, 0
	s_add_co_i32 s14, s11, s10
	s_delay_alu instid0(SALU_CYCLE_1) | instskip(SKIP_1) | instid1(SALU_CYCLE_1)
	s_cmp_lt_i32 s14, s5
	s_cselect_b32 s14, -1, 0
	s_and_b32 s13, s13, s14
	s_delay_alu instid0(SALU_CYCLE_1)
	s_and_not1_b32 vcc_lo, exec_lo, s13
	s_cbranch_vccnz .LBB60_6
; %bb.1:
	s_mul_i32 s2, s2, s8
	s_mul_i32 s5, s3, s5
	s_add_co_i32 s2, s2, s7
	s_delay_alu instid0(SALU_CYCLE_1) | instskip(NEXT) | instid1(SALU_CYCLE_1)
	s_mul_i32 s2, s2, s9
	s_add_co_i32 s8, s2, s10
	s_load_b128 s[0:3], s[0:1], 0x0
	s_add_co_i32 s5, s8, s5
	s_mul_i32 s8, s9, s12
	s_add_co_i32 s5, s5, s11
	s_lshl_b32 s8, s8, 10
	s_lshl_b32 s5, s5, 6
	s_add_co_i32 s9, s7, s10
	s_add_co_i32 s8, s8, s5
	s_delay_alu instid0(SALU_CYCLE_1) | instskip(SKIP_3) | instid1(SALU_CYCLE_1)
	v_or_b32_e32 v1, s8, v0
	s_mul_i32 s8, s6, ttmp9
	s_wait_alu 0xfffe
	s_add_co_i32 s5, s8, s6
	s_add_co_i32 s7, s5, -2
	v_ashrrev_i32_e32 v2, 31, v1
	s_delay_alu instid0(VALU_DEP_1) | instskip(SKIP_1) | instid1(VALU_DEP_1)
	v_lshlrev_b64_e32 v[1:2], 2, v[1:2]
	s_wait_kmcnt 0x0
	v_add_co_u32 v1, vcc_lo, s0, v1
	s_delay_alu instid0(VALU_DEP_1)
	v_add_co_ci_u32_e64 v2, null, s1, v2, vcc_lo
	s_lshl_b32 s0, s5, 4
	s_wait_alu 0xfffe
	s_add_co_i32 s0, s9, s0
	global_load_b32 v5, v[1:2], off
	s_wait_alu 0xfffe
	s_add_co_i32 s0, s0, -16
	s_wait_alu 0xfffe
	s_ashr_i32 s1, s0, 31
	s_wait_alu 0xfffe
	s_lshl_b64 s[0:1], s[0:1], 3
	s_cmp_lt_i32 s7, s8
	s_wait_alu 0xfffe
	s_add_nc_u64 s[0:1], s[2:3], s[0:1]
	s_load_b32 s10, s[0:1], 0x4
	s_cbranch_scc1 .LBB60_4
; %bb.2:
	s_load_b32 s0, s[0:1], 0x0
	s_add_co_i32 s7, ttmp9, 1
	s_wait_kmcnt 0x0
	v_mov_b32_e32 v6, s10
	s_mul_i32 s1, s6, s7
	s_lshl_b32 s7, s9, 6
	s_wait_alu 0xfffe
	s_lshl_b32 s11, s1, 10
	s_lshl_b32 s6, s4, 6
	s_wait_alu 0xfffe
	s_add_co_i32 s11, s7, s11
	s_lshl_b32 s1, s1, 4
	s_wait_alu 0xfffe
	v_or_b32_e32 v0, s11, v0
	s_ashr_i32 s7, s6, 31
	s_add_co_i32 s1, s9, s1
	s_lshl_b32 s4, s4, 4
	s_lshl_b64 s[6:7], s[6:7], 2
	v_add_nc_u32_e32 v3, 0xfffff800, v0
	s_wait_alu 0xfffe
	s_add_co_i32 s4, s1, s4
	s_add_nc_u64 s[6:7], s[2:3], s[6:7]
	s_add_co_i32 s1, s5, -1
	s_sub_co_i32 s4, s4, 32
.LBB60_3:                               ; =>This Inner Loop Header: Depth=1
	v_ashrrev_i32_e32 v4, 31, v3
	s_ashr_i32 s5, s4, 31
	v_mov_b32_e32 v10, v6
	s_lshl_b64 s[10:11], s[4:5], 3
	s_wait_loadcnt 0x0
	v_mov_b32_e32 v9, v5
	v_lshlrev_b64_e32 v[7:8], 2, v[3:4]
	s_wait_alu 0xfffe
	s_add_nc_u64 s[10:11], s[2:3], s[10:11]
	v_max_num_f32_e64 v4, s0, s0
	s_load_b64 s[10:11], s[10:11], 0x0
	v_add_nc_u32_e32 v3, 0xfffffc00, v3
	v_add_co_u32 v7, vcc_lo, s6, v7
	s_wait_alu 0xfffd
	v_add_co_ci_u32_e64 v8, null, s7, v8, vcc_lo
	v_readfirstlane_b32 s5, v4
	global_load_b32 v0, v[7:8], off
	s_wait_kmcnt 0x0
	v_max_num_f32_e64 v4, s10, s10
	s_delay_alu instid0(VALU_DEP_1) | instskip(SKIP_1) | instid1(SALU_CYCLE_3)
	v_readfirstlane_b32 s9, v4
	s_max_num_f32 s5, s5, s9
	s_sub_f32 s0, s0, s5
	s_sub_f32 s9, s10, s5
	s_wait_alu 0xfffe
	s_delay_alu instid0(SALU_CYCLE_1) | instskip(NEXT) | instid1(SALU_CYCLE_1)
	s_mul_f32 s10, s0, 0x3fb8aa3b
	s_mul_f32 s12, s9, 0x3fb8aa3b
	s_wait_alu 0xfffe
	s_delay_alu instid0(SALU_CYCLE_1)
	s_xor_b32 s13, s10, 0x80000000
	s_rndne_f32 s14, s10
	s_fmamk_f32 s13, s0, 0x3fb8aa3b, s13
	s_cmp_nlt_f32 s0, 0xc2ce8ed0
	s_rndne_f32 s15, s12
	s_wait_alu 0xfffe
	s_sub_f32 s10, s10, s14
	s_fmamk_f32 s13, s0, 0x32a5705f, s13
	s_cvt_i32_f32 s14, s14
	s_cselect_b32 vcc_lo, -1, 0
	s_cmp_ngt_f32 s0, 0x42b17218
	s_wait_alu 0xfffe
	s_add_f32 s10, s10, s13
	s_sub_f32 s13, s12, s15
	s_wait_alu 0xfffe
	s_delay_alu instid0(SALU_CYCLE_1) | instskip(SKIP_1) | instid1(TRANS32_DEP_1)
	v_s_exp_f32 s10, s10
	s_wait_alu 0xf1ff
	v_ldexp_f32 v4, s10, s14
	s_cvt_i32_f32 s10, s15
	s_delay_alu instid0(VALU_DEP_1) | instskip(SKIP_3) | instid1(VALU_DEP_1)
	v_cndmask_b32_e32 v4, 0, v4, vcc_lo
	s_cselect_b32 vcc_lo, -1, 0
	s_cmp_ge_f32 s0, 0xc1a00000
	s_wait_alu 0xfffe
	v_cndmask_b32_e32 v4, 0x7f800000, v4, vcc_lo
	s_cselect_b32 vcc_lo, -1, 0
	s_xor_b32 s0, s12, 0x80000000
	s_cmp_nlt_f32 s9, 0xc2ce8ed0
	s_wait_alu 0xfffe
	s_fmamk_f32 s0, s9, 0x3fb8aa3b, s0
	s_wait_alu 0xfffe
	s_delay_alu instid0(SALU_CYCLE_2) | instskip(SKIP_1) | instid1(SALU_CYCLE_2)
	s_fmamk_f32 s0, s9, 0x32a5705f, s0
	s_wait_alu 0xfffe
	s_add_f32 s0, s13, s0
	s_wait_alu 0xfffe
	s_delay_alu instid0(SALU_CYCLE_2) | instskip(SKIP_1) | instid1(TRANS32_DEP_1)
	v_s_exp_f32 s0, s0
	s_wait_alu 0xf1ff
	v_ldexp_f32 v7, s0, s10
	s_cselect_b32 s0, -1, 0
	s_cmp_ngt_f32 s9, 0x42b17218
	s_wait_alu 0xfffe
	s_delay_alu instid0(VALU_DEP_1) | instskip(SKIP_3) | instid1(VALU_DEP_1)
	v_cndmask_b32_e64 v7, 0, v7, s0
	s_cselect_b32 s0, -1, 0
	s_cmp_ge_f32 s9, 0xc1a00000
	s_wait_alu 0xfffe
	v_cndmask_b32_e64 v7, 0x7f800000, v7, s0
	s_cselect_b32 s0, -1, 0
	s_add_co_i32 s1, s1, -1
	s_add_co_i32 s4, s4, -16
	s_wait_alu 0xfffe
	s_cmp_le_i32 s1, s8
	v_cndmask_b32_e64 v7, 0, v7, s0
	s_mov_b32 s0, s5
	s_wait_loadcnt 0x0
	s_delay_alu instid0(VALU_DEP_1) | instskip(NEXT) | instid1(VALU_DEP_1)
	v_dual_mul_f32 v5, v0, v7 :: v_dual_cndmask_b32 v4, 0, v4
	v_dual_mul_f32 v8, s11, v7 :: v_dual_fmac_f32 v5, v9, v4
	s_delay_alu instid0(VALU_DEP_1) | instskip(NEXT) | instid1(VALU_DEP_1)
	v_mov_b32_e32 v6, v8
	v_fmac_f32_e32 v6, v10, v4
	s_cbranch_scc0 .LBB60_3
	s_branch .LBB60_5
.LBB60_4:
	s_wait_kmcnt 0x0
	v_mov_b32_e32 v6, s10
.LBB60_5:
	s_wait_loadcnt 0x0
	s_delay_alu instid0(VALU_DEP_1) | instskip(NEXT) | instid1(VALU_DEP_1)
	v_div_scale_f32 v0, null, v6, v6, v5
	v_rcp_f32_e32 v3, v0
	s_delay_alu instid0(TRANS32_DEP_1) | instskip(NEXT) | instid1(VALU_DEP_1)
	v_fma_f32 v4, -v0, v3, 1.0
	v_fmac_f32_e32 v3, v4, v3
	v_div_scale_f32 v4, vcc_lo, v5, v6, v5
	s_delay_alu instid0(VALU_DEP_1) | instskip(NEXT) | instid1(VALU_DEP_1)
	v_mul_f32_e32 v7, v4, v3
	v_fma_f32 v8, -v0, v7, v4
	s_delay_alu instid0(VALU_DEP_1) | instskip(NEXT) | instid1(VALU_DEP_1)
	v_fmac_f32_e32 v7, v8, v3
	v_fma_f32 v0, -v0, v7, v4
	s_wait_alu 0xfffd
	s_delay_alu instid0(VALU_DEP_1) | instskip(NEXT) | instid1(VALU_DEP_1)
	v_div_fmas_f32 v0, v0, v3, v7
	v_div_fixup_f32 v0, v0, v6, v5
	global_store_b32 v[1:2], v0, off
.LBB60_6:
	s_endpgm
	.section	.rodata,"a",@progbits
	.p2align	6, 0x0
	.amdhsa_kernel _ZL33flash_attn_stream_k_fixup_uniformILi64ELi16ELi1EEvPfPK15HIP_vector_typeIfLj2EEiiiiiiS1_IjLj3EES5_S5_
		.amdhsa_group_segment_fixed_size 0
		.amdhsa_private_segment_fixed_size 0
		.amdhsa_kernarg_size 76
		.amdhsa_user_sgpr_count 2
		.amdhsa_user_sgpr_dispatch_ptr 0
		.amdhsa_user_sgpr_queue_ptr 0
		.amdhsa_user_sgpr_kernarg_segment_ptr 1
		.amdhsa_user_sgpr_dispatch_id 0
		.amdhsa_user_sgpr_private_segment_size 0
		.amdhsa_wavefront_size32 1
		.amdhsa_uses_dynamic_stack 0
		.amdhsa_enable_private_segment 0
		.amdhsa_system_sgpr_workgroup_id_x 1
		.amdhsa_system_sgpr_workgroup_id_y 1
		.amdhsa_system_sgpr_workgroup_id_z 1
		.amdhsa_system_sgpr_workgroup_info 0
		.amdhsa_system_vgpr_workitem_id 0
		.amdhsa_next_free_vgpr 11
		.amdhsa_next_free_sgpr 16
		.amdhsa_reserve_vcc 1
		.amdhsa_float_round_mode_32 0
		.amdhsa_float_round_mode_16_64 0
		.amdhsa_float_denorm_mode_32 3
		.amdhsa_float_denorm_mode_16_64 3
		.amdhsa_fp16_overflow 0
		.amdhsa_workgroup_processor_mode 1
		.amdhsa_memory_ordered 1
		.amdhsa_forward_progress 1
		.amdhsa_inst_pref_size 9
		.amdhsa_round_robin_scheduling 0
		.amdhsa_exception_fp_ieee_invalid_op 0
		.amdhsa_exception_fp_denorm_src 0
		.amdhsa_exception_fp_ieee_div_zero 0
		.amdhsa_exception_fp_ieee_overflow 0
		.amdhsa_exception_fp_ieee_underflow 0
		.amdhsa_exception_fp_ieee_inexact 0
		.amdhsa_exception_int_div_zero 0
	.end_amdhsa_kernel
	.section	.text._ZL33flash_attn_stream_k_fixup_uniformILi64ELi16ELi1EEvPfPK15HIP_vector_typeIfLj2EEiiiiiiS1_IjLj3EES5_S5_,"axG",@progbits,_ZL33flash_attn_stream_k_fixup_uniformILi64ELi16ELi1EEvPfPK15HIP_vector_typeIfLj2EEiiiiiiS1_IjLj3EES5_S5_,comdat
.Lfunc_end60:
	.size	_ZL33flash_attn_stream_k_fixup_uniformILi64ELi16ELi1EEvPfPK15HIP_vector_typeIfLj2EEiiiiiiS1_IjLj3EES5_S5_, .Lfunc_end60-_ZL33flash_attn_stream_k_fixup_uniformILi64ELi16ELi1EEvPfPK15HIP_vector_typeIfLj2EEiiiiiiS1_IjLj3EES5_S5_
                                        ; -- End function
	.set _ZL33flash_attn_stream_k_fixup_uniformILi64ELi16ELi1EEvPfPK15HIP_vector_typeIfLj2EEiiiiiiS1_IjLj3EES5_S5_.num_vgpr, 11
	.set _ZL33flash_attn_stream_k_fixup_uniformILi64ELi16ELi1EEvPfPK15HIP_vector_typeIfLj2EEiiiiiiS1_IjLj3EES5_S5_.num_agpr, 0
	.set _ZL33flash_attn_stream_k_fixup_uniformILi64ELi16ELi1EEvPfPK15HIP_vector_typeIfLj2EEiiiiiiS1_IjLj3EES5_S5_.numbered_sgpr, 16
	.set _ZL33flash_attn_stream_k_fixup_uniformILi64ELi16ELi1EEvPfPK15HIP_vector_typeIfLj2EEiiiiiiS1_IjLj3EES5_S5_.num_named_barrier, 0
	.set _ZL33flash_attn_stream_k_fixup_uniformILi64ELi16ELi1EEvPfPK15HIP_vector_typeIfLj2EEiiiiiiS1_IjLj3EES5_S5_.private_seg_size, 0
	.set _ZL33flash_attn_stream_k_fixup_uniformILi64ELi16ELi1EEvPfPK15HIP_vector_typeIfLj2EEiiiiiiS1_IjLj3EES5_S5_.uses_vcc, 1
	.set _ZL33flash_attn_stream_k_fixup_uniformILi64ELi16ELi1EEvPfPK15HIP_vector_typeIfLj2EEiiiiiiS1_IjLj3EES5_S5_.uses_flat_scratch, 0
	.set _ZL33flash_attn_stream_k_fixup_uniformILi64ELi16ELi1EEvPfPK15HIP_vector_typeIfLj2EEiiiiiiS1_IjLj3EES5_S5_.has_dyn_sized_stack, 0
	.set _ZL33flash_attn_stream_k_fixup_uniformILi64ELi16ELi1EEvPfPK15HIP_vector_typeIfLj2EEiiiiiiS1_IjLj3EES5_S5_.has_recursion, 0
	.set _ZL33flash_attn_stream_k_fixup_uniformILi64ELi16ELi1EEvPfPK15HIP_vector_typeIfLj2EEiiiiiiS1_IjLj3EES5_S5_.has_indirect_call, 0
	.section	.AMDGPU.csdata,"",@progbits
; Kernel info:
; codeLenInByte = 1120
; TotalNumSgprs: 18
; NumVgprs: 11
; ScratchSize: 0
; MemoryBound: 0
; FloatMode: 240
; IeeeMode: 1
; LDSByteSize: 0 bytes/workgroup (compile time only)
; SGPRBlocks: 0
; VGPRBlocks: 1
; NumSGPRsForWavesPerEU: 18
; NumVGPRsForWavesPerEU: 11
; Occupancy: 16
; WaveLimiterHint : 0
; COMPUTE_PGM_RSRC2:SCRATCH_EN: 0
; COMPUTE_PGM_RSRC2:USER_SGPR: 2
; COMPUTE_PGM_RSRC2:TRAP_HANDLER: 0
; COMPUTE_PGM_RSRC2:TGID_X_EN: 1
; COMPUTE_PGM_RSRC2:TGID_Y_EN: 1
; COMPUTE_PGM_RSRC2:TGID_Z_EN: 1
; COMPUTE_PGM_RSRC2:TIDIG_COMP_CNT: 0
	.section	.text._ZL33flash_attn_stream_k_fixup_generalILi64ELi16ELi1EEvPfPK15HIP_vector_typeIfLj2EEiiiiS1_IjLj3EES5_S5_S5_,"axG",@progbits,_ZL33flash_attn_stream_k_fixup_generalILi64ELi16ELi1EEvPfPK15HIP_vector_typeIfLj2EEiiiiS1_IjLj3EES5_S5_S5_,comdat
	.globl	_ZL33flash_attn_stream_k_fixup_generalILi64ELi16ELi1EEvPfPK15HIP_vector_typeIfLj2EEiiiiS1_IjLj3EES5_S5_S5_ ; -- Begin function _ZL33flash_attn_stream_k_fixup_generalILi64ELi16ELi1EEvPfPK15HIP_vector_typeIfLj2EEiiiiS1_IjLj3EES5_S5_S5_
	.p2align	8
	.type	_ZL33flash_attn_stream_k_fixup_generalILi64ELi16ELi1EEvPfPK15HIP_vector_typeIfLj2EEiiiiS1_IjLj3EES5_S5_S5_,@function
_ZL33flash_attn_stream_k_fixup_generalILi64ELi16ELi1EEvPfPK15HIP_vector_typeIfLj2EEiiiiS1_IjLj3EES5_S5_S5_: ; @_ZL33flash_attn_stream_k_fixup_generalILi64ELi16ELi1EEvPfPK15HIP_vector_typeIfLj2EEiiiiS1_IjLj3EES5_S5_S5_
; %bb.0:
	s_clause 0x1
	s_load_b128 s[4:7], s[0:1], 0x10
	s_load_b32 s16, s[0:1], 0x50
	s_mov_b32 s2, ttmp9
	s_ashr_i32 s3, ttmp9, 31
	s_mov_b32 s17, 0
	s_delay_alu instid0(SALU_CYCLE_1) | instskip(SKIP_3) | instid1(SALU_CYCLE_1)
	s_mov_b32 s8, s17
	s_wait_kmcnt 0x0
	s_ashr_i32 s19, s7, 31
	s_mov_b32 s18, s7
	s_mul_u64 s[2:3], s[18:19], s[2:3]
	s_delay_alu instid0(SALU_CYCLE_1) | instskip(NEXT) | instid1(SALU_CYCLE_1)
	s_mov_b32 s9, s3
	s_cmp_lg_u64 s[8:9], 0
	s_cbranch_scc0 .LBB61_21
; %bb.1:
	s_add_nc_u64 s[8:9], s[16:17], 0
	s_mov_b32 s15, s17
	s_xor_b64 s[8:9], s[8:9], 0
	s_mov_b32 s23, s17
	s_cvt_f32_u32 s7, s8
	s_cvt_f32_u32 s10, s9
	s_sub_nc_u64 s[12:13], 0, s[8:9]
	s_delay_alu instid0(SALU_CYCLE_2) | instskip(NEXT) | instid1(SALU_CYCLE_3)
	s_fmamk_f32 s7, s10, 0x4f800000, s7
	v_s_rcp_f32 s7, s7
	s_delay_alu instid0(TRANS32_DEP_1) | instskip(SKIP_1) | instid1(SALU_CYCLE_2)
	s_mul_f32 s7, s7, 0x5f7ffffc
	s_wait_alu 0xfffe
	s_mul_f32 s10, s7, 0x2f800000
	s_delay_alu instid0(SALU_CYCLE_3) | instskip(NEXT) | instid1(SALU_CYCLE_3)
	s_trunc_f32 s10, s10
	s_fmamk_f32 s7, s10, 0xcf800000, s7
	s_cvt_u32_f32 s11, s10
	s_wait_alu 0xfffe
	s_delay_alu instid0(SALU_CYCLE_1) | instskip(NEXT) | instid1(SALU_CYCLE_3)
	s_cvt_u32_f32 s10, s7
	s_mul_u64 s[20:21], s[12:13], s[10:11]
	s_delay_alu instid0(SALU_CYCLE_1)
	s_mul_hi_u32 s25, s10, s21
	s_mul_i32 s24, s10, s21
	s_mul_hi_u32 s14, s10, s20
	s_mul_i32 s22, s11, s20
	s_add_nc_u64 s[14:15], s[14:15], s[24:25]
	s_mul_hi_u32 s7, s11, s20
	s_mul_hi_u32 s26, s11, s21
	s_add_co_u32 s14, s14, s22
	s_wait_alu 0xfffe
	s_add_co_ci_u32 s22, s15, s7
	s_mul_i32 s20, s11, s21
	s_add_co_ci_u32 s21, s26, 0
	s_delay_alu instid0(SALU_CYCLE_1)
	s_add_nc_u64 s[14:15], s[22:23], s[20:21]
	s_mov_b32 s21, s17
	s_add_co_u32 s10, s10, s14
	s_cselect_b32 s7, -1, 0
	s_wait_alu 0xfffe
	s_cmp_lg_u32 s7, 0
	s_add_co_ci_u32 s11, s11, s15
	s_mov_b32 s15, s17
	s_mul_u64 s[12:13], s[12:13], s[10:11]
	s_delay_alu instid0(SALU_CYCLE_1)
	s_mul_hi_u32 s23, s10, s13
	s_mul_i32 s22, s10, s13
	s_mul_hi_u32 s14, s10, s12
	s_mul_i32 s20, s11, s12
	s_add_nc_u64 s[14:15], s[14:15], s[22:23]
	s_mul_hi_u32 s7, s11, s12
	s_mul_hi_u32 s24, s11, s13
	s_mul_i32 s12, s11, s13
	s_add_co_u32 s13, s14, s20
	s_wait_alu 0xfffe
	s_add_co_ci_u32 s20, s15, s7
	s_add_co_ci_u32 s13, s24, 0
	s_mov_b32 s15, s17
	s_add_nc_u64 s[12:13], s[20:21], s[12:13]
	s_delay_alu instid0(SALU_CYCLE_1) | instskip(SKIP_1) | instid1(SALU_CYCLE_1)
	s_add_co_u32 s7, s10, s12
	s_cselect_b32 s10, -1, 0
	s_cmp_lg_u32 s10, 0
	s_add_co_ci_u32 s20, s11, s13
	s_ashr_i32 s10, s3, 31
	s_delay_alu instid0(SALU_CYCLE_1) | instskip(NEXT) | instid1(SALU_CYCLE_1)
	s_mov_b32 s11, s10
	s_add_nc_u64 s[12:13], s[2:3], s[10:11]
	s_delay_alu instid0(SALU_CYCLE_1) | instskip(NEXT) | instid1(SALU_CYCLE_1)
	s_xor_b64 s[12:13], s[12:13], s[10:11]
	s_mul_hi_u32 s23, s12, s20
	s_mul_i32 s22, s12, s20
	s_wait_alu 0xfffe
	s_mul_hi_u32 s14, s12, s7
	s_mul_hi_u32 s24, s13, s7
	s_mul_i32 s7, s13, s7
	s_add_nc_u64 s[14:15], s[14:15], s[22:23]
	s_mul_hi_u32 s3, s13, s20
	s_wait_alu 0xfffe
	s_add_co_u32 s7, s14, s7
	s_mul_i32 s22, s13, s20
	s_add_co_ci_u32 s20, s15, s24
	s_add_co_ci_u32 s23, s3, 0
	s_delay_alu instid0(SALU_CYCLE_1) | instskip(NEXT) | instid1(SALU_CYCLE_1)
	s_add_nc_u64 s[14:15], s[20:21], s[22:23]
	s_mul_u64 s[20:21], s[8:9], s[14:15]
	s_delay_alu instid0(SALU_CYCLE_1)
	s_sub_co_u32 s3, s12, s20
	s_cselect_b32 s7, -1, 0
	s_sub_co_i32 s12, s13, s21
	s_wait_alu 0xfffe
	s_cmp_lg_u32 s7, 0
	s_sub_co_ci_u32 s12, s12, s9
	s_sub_co_u32 s20, s3, s8
	s_cselect_b32 s22, -1, 0
	s_delay_alu instid0(SALU_CYCLE_1) | instskip(SKIP_2) | instid1(SALU_CYCLE_1)
	s_cmp_lg_u32 s22, 0
	s_add_nc_u64 s[22:23], s[14:15], 1
	s_sub_co_ci_u32 s12, s12, 0
	s_cmp_ge_u32 s12, s9
	s_cselect_b32 s24, -1, 0
	s_cmp_ge_u32 s20, s8
	s_cselect_b32 s20, -1, 0
	s_cmp_eq_u32 s12, s9
	s_cselect_b32 s12, s20, s24
	s_add_nc_u64 s[24:25], s[14:15], 2
	s_cmp_lg_u32 s12, 0
	s_cselect_b32 s12, s24, s22
	s_cselect_b32 s20, s25, s23
	s_cmp_lg_u32 s7, 0
	s_sub_co_ci_u32 s7, s13, s21
	s_wait_alu 0xfffe
	s_cmp_ge_u32 s7, s9
	s_cselect_b32 s13, -1, 0
	s_cmp_ge_u32 s3, s8
	s_cselect_b32 s3, -1, 0
	s_cmp_eq_u32 s7, s9
	s_cselect_b32 s3, s3, s13
	s_delay_alu instid0(SALU_CYCLE_1) | instskip(SKIP_4) | instid1(SALU_CYCLE_1)
	s_cmp_lg_u32 s3, 0
	s_mov_b32 s3, s17
	s_cselect_b32 s9, s20, s15
	s_cselect_b32 s8, s12, s14
	s_xor_b64 s[10:11], s[10:11], 0
	s_xor_b64 s[8:9], s[8:9], s[10:11]
	s_delay_alu instid0(SALU_CYCLE_1)
	s_sub_nc_u64 s[20:21], s[8:9], s[10:11]
	s_and_not1_b32 vcc_lo, exec_lo, s3
	s_cbranch_vccnz .LBB61_3
.LBB61_2:
	v_cvt_f32_u32_e32 v1, s16
	s_sub_co_i32 s7, 0, s16
	s_delay_alu instid0(VALU_DEP_1) | instskip(NEXT) | instid1(TRANS32_DEP_1)
	v_rcp_iflag_f32_e32 v1, v1
	v_mul_f32_e32 v1, 0x4f7ffffe, v1
	s_delay_alu instid0(VALU_DEP_1) | instskip(NEXT) | instid1(VALU_DEP_1)
	v_cvt_u32_f32_e32 v1, v1
	v_readfirstlane_b32 s3, v1
	s_wait_alu 0xfffe
	s_mul_i32 s7, s7, s3
	s_wait_alu 0xfffe
	s_mul_hi_u32 s7, s3, s7
	s_wait_alu 0xfffe
	s_add_co_i32 s3, s3, s7
	s_delay_alu instid0(SALU_CYCLE_1) | instskip(NEXT) | instid1(SALU_CYCLE_1)
	s_mul_hi_u32 s3, s2, s3
	s_mul_i32 s7, s3, s16
	s_wait_alu 0xfffe
	s_sub_co_i32 s2, s2, s7
	s_add_co_i32 s7, s3, 1
	s_sub_co_i32 s8, s2, s16
	s_cmp_ge_u32 s2, s16
	s_wait_alu 0xfffe
	s_cselect_b32 s3, s7, s3
	s_cselect_b32 s2, s8, s2
	s_add_co_i32 s7, s3, 1
	s_cmp_ge_u32 s2, s16
	s_wait_alu 0xfffe
	s_cselect_b32 s20, s7, s3
.LBB61_3:
	s_add_co_i32 s2, ttmp9, 1
	s_mov_b32 s8, 0
	s_ashr_i32 s3, s2, 31
	s_delay_alu instid0(SALU_CYCLE_1) | instskip(NEXT) | instid1(SALU_CYCLE_1)
	s_mul_u64 s[2:3], s[18:19], s[2:3]
	s_mov_b32 s9, s3
	s_delay_alu instid0(SALU_CYCLE_1)
	s_cmp_lg_u64 s[8:9], 0
	s_cbranch_scc0 .LBB61_22
; %bb.4:
	s_add_nc_u64 s[10:11], s[16:17], 0
	s_mov_b32 s23, s8
	s_xor_b64 s[10:11], s[10:11], 0
	s_mov_b32 s27, s8
	s_cvt_f32_u32 s7, s10
	s_cvt_f32_u32 s9, s11
	s_sub_nc_u64 s[14:15], 0, s[10:11]
	s_wait_alu 0xfffe
	s_delay_alu instid0(SALU_CYCLE_1) | instskip(SKIP_1) | instid1(SALU_CYCLE_2)
	s_fmamk_f32 s7, s9, 0x4f800000, s7
	s_wait_alu 0xfffe
	v_s_rcp_f32 s7, s7
	s_delay_alu instid0(TRANS32_DEP_1) | instskip(SKIP_1) | instid1(SALU_CYCLE_2)
	s_mul_f32 s7, s7, 0x5f7ffffc
	s_wait_alu 0xfffe
	s_mul_f32 s9, s7, 0x2f800000
	s_delay_alu instid0(SALU_CYCLE_3) | instskip(NEXT) | instid1(SALU_CYCLE_3)
	s_trunc_f32 s9, s9
	s_fmamk_f32 s7, s9, 0xcf800000, s7
	s_cvt_u32_f32 s13, s9
	s_wait_alu 0xfffe
	s_delay_alu instid0(SALU_CYCLE_1) | instskip(NEXT) | instid1(SALU_CYCLE_3)
	s_cvt_u32_f32 s12, s7
	s_mul_u64 s[24:25], s[14:15], s[12:13]
	s_delay_alu instid0(SALU_CYCLE_1)
	s_mul_hi_u32 s29, s12, s25
	s_mul_i32 s28, s12, s25
	s_mul_hi_u32 s22, s12, s24
	s_mul_i32 s9, s13, s24
	s_add_nc_u64 s[22:23], s[22:23], s[28:29]
	s_mul_hi_u32 s7, s13, s24
	s_mul_hi_u32 s21, s13, s25
	s_add_co_u32 s9, s22, s9
	s_wait_alu 0xfffe
	s_add_co_ci_u32 s26, s23, s7
	s_mul_i32 s24, s13, s25
	s_add_co_ci_u32 s25, s21, 0
	s_delay_alu instid0(SALU_CYCLE_1)
	s_add_nc_u64 s[22:23], s[26:27], s[24:25]
	s_mov_b32 s25, s8
	s_add_co_u32 s12, s12, s22
	s_cselect_b32 s7, -1, 0
	s_wait_alu 0xfffe
	s_cmp_lg_u32 s7, 0
	s_add_co_ci_u32 s13, s13, s23
	s_mov_b32 s23, s8
	s_mul_u64 s[14:15], s[14:15], s[12:13]
	s_delay_alu instid0(SALU_CYCLE_1)
	s_mul_hi_u32 s27, s12, s15
	s_mul_i32 s26, s12, s15
	s_mul_hi_u32 s22, s12, s14
	s_mul_i32 s9, s13, s14
	s_add_nc_u64 s[22:23], s[22:23], s[26:27]
	s_mul_hi_u32 s7, s13, s14
	s_mul_hi_u32 s21, s13, s15
	s_add_co_u32 s9, s22, s9
	s_wait_alu 0xfffe
	s_add_co_ci_u32 s24, s23, s7
	s_mul_i32 s14, s13, s15
	s_add_co_ci_u32 s15, s21, 0
	s_mov_b32 s23, s8
	s_add_nc_u64 s[14:15], s[24:25], s[14:15]
	s_delay_alu instid0(SALU_CYCLE_1) | instskip(SKIP_1) | instid1(SALU_CYCLE_1)
	s_add_co_u32 s7, s12, s14
	s_cselect_b32 s9, -1, 0
	s_cmp_lg_u32 s9, 0
	s_add_co_ci_u32 s9, s13, s15
	s_ashr_i32 s12, s3, 31
	s_delay_alu instid0(SALU_CYCLE_1) | instskip(NEXT) | instid1(SALU_CYCLE_1)
	s_mov_b32 s13, s12
	s_add_nc_u64 s[14:15], s[2:3], s[12:13]
	s_delay_alu instid0(SALU_CYCLE_1) | instskip(NEXT) | instid1(SALU_CYCLE_1)
	s_xor_b64 s[14:15], s[14:15], s[12:13]
	s_mul_hi_u32 s27, s14, s9
	s_mul_i32 s26, s14, s9
	s_wait_alu 0xfffe
	s_mul_hi_u32 s22, s14, s7
	s_mul_hi_u32 s21, s15, s7
	s_mul_i32 s7, s15, s7
	s_add_nc_u64 s[22:23], s[22:23], s[26:27]
	s_mul_hi_u32 s3, s15, s9
	s_wait_alu 0xfffe
	s_add_co_u32 s7, s22, s7
	s_add_co_ci_u32 s24, s23, s21
	s_mul_i32 s26, s15, s9
	s_add_co_ci_u32 s27, s3, 0
	s_delay_alu instid0(SALU_CYCLE_1) | instskip(NEXT) | instid1(SALU_CYCLE_1)
	s_add_nc_u64 s[22:23], s[24:25], s[26:27]
	s_mul_u64 s[24:25], s[10:11], s[22:23]
	s_add_nc_u64 s[26:27], s[22:23], 1
	s_sub_co_u32 s3, s14, s24
	s_cselect_b32 s7, -1, 0
	s_sub_co_i32 s9, s15, s25
	s_wait_alu 0xfffe
	s_cmp_lg_u32 s7, 0
	s_add_nc_u64 s[28:29], s[22:23], 2
	s_sub_co_ci_u32 s9, s9, s11
	s_sub_co_u32 s14, s3, s10
	s_cselect_b32 s21, -1, 0
	s_delay_alu instid0(SALU_CYCLE_1) | instskip(SKIP_1) | instid1(SALU_CYCLE_1)
	s_cmp_lg_u32 s21, 0
	s_sub_co_ci_u32 s9, s9, 0
	s_cmp_ge_u32 s9, s11
	s_cselect_b32 s21, -1, 0
	s_cmp_ge_u32 s14, s10
	s_cselect_b32 s14, -1, 0
	s_cmp_eq_u32 s9, s11
	s_cselect_b32 s9, s14, s21
	s_delay_alu instid0(SALU_CYCLE_1)
	s_cmp_lg_u32 s9, 0
	s_cselect_b32 s9, s28, s26
	s_cselect_b32 s14, s29, s27
	s_cmp_lg_u32 s7, 0
	s_sub_co_ci_u32 s7, s15, s25
	s_wait_alu 0xfffe
	s_cmp_ge_u32 s7, s11
	s_cselect_b32 s15, -1, 0
	s_cmp_ge_u32 s3, s10
	s_cselect_b32 s3, -1, 0
	s_cmp_eq_u32 s7, s11
	s_cselect_b32 s3, s3, s15
	s_delay_alu instid0(SALU_CYCLE_1) | instskip(SKIP_3) | instid1(SALU_CYCLE_1)
	s_cmp_lg_u32 s3, 0
	s_cselect_b32 s11, s14, s23
	s_cselect_b32 s10, s9, s22
	s_xor_b64 s[12:13], s[12:13], 0
	s_xor_b64 s[10:11], s[10:11], s[12:13]
	s_delay_alu instid0(SALU_CYCLE_1)
	s_sub_nc_u64 s[10:11], s[10:11], s[12:13]
	s_load_b96 s[12:14], s[0:1], 0x44
	s_and_not1_b32 vcc_lo, exec_lo, s8
	s_cbranch_vccnz .LBB61_6
.LBB61_5:
	v_cvt_f32_u32_e32 v1, s16
	s_sub_co_i32 s7, 0, s16
	s_delay_alu instid0(VALU_DEP_1) | instskip(NEXT) | instid1(TRANS32_DEP_1)
	v_rcp_iflag_f32_e32 v1, v1
	v_mul_f32_e32 v1, 0x4f7ffffe, v1
	s_delay_alu instid0(VALU_DEP_1) | instskip(NEXT) | instid1(VALU_DEP_1)
	v_cvt_u32_f32_e32 v1, v1
	v_readfirstlane_b32 s3, v1
	s_wait_alu 0xfffe
	s_mul_i32 s7, s7, s3
	s_wait_alu 0xfffe
	s_mul_hi_u32 s7, s3, s7
	s_wait_alu 0xfffe
	s_add_co_i32 s3, s3, s7
	s_delay_alu instid0(SALU_CYCLE_1) | instskip(NEXT) | instid1(SALU_CYCLE_1)
	s_mul_hi_u32 s3, s2, s3
	s_mul_i32 s7, s3, s16
	s_wait_alu 0xfffe
	s_sub_co_i32 s2, s2, s7
	s_add_co_i32 s7, s3, 1
	s_sub_co_i32 s8, s2, s16
	s_cmp_ge_u32 s2, s16
	s_wait_alu 0xfffe
	s_cselect_b32 s3, s7, s3
	s_cselect_b32 s2, s8, s2
	s_add_co_i32 s7, s3, 1
	s_cmp_ge_u32 s2, s16
	s_wait_alu 0xfffe
	s_cselect_b32 s10, s7, s3
.LBB61_6:
	s_mov_b32 s21, 0
	s_wait_kmcnt 0x0
	s_mov_b32 s22, s12
	s_mov_b32 s23, s21
	s_cmp_eq_u32 s20, s10
	s_mul_u64 s[2:3], s[20:21], s[22:23]
	s_cselect_b32 s7, -1, 0
	s_add_co_i32 s2, s3, s20
	s_mov_b32 s11, s21
	s_lshr_b32 s12, s2, s13
	s_mul_u64 s[2:3], s[10:11], s[22:23]
	s_mul_i32 s2, s12, s14
	s_delay_alu instid0(SALU_CYCLE_1) | instskip(SKIP_2) | instid1(SALU_CYCLE_1)
	s_cmp_eq_u32 s2, s20
	s_cselect_b32 s2, -1, 0
	s_add_co_i32 s3, s3, s10
	s_lshr_b32 s3, s3, s13
	s_delay_alu instid0(SALU_CYCLE_1)
	s_cmp_eq_u32 s12, s3
	s_mul_i32 s3, s3, s14
	s_cselect_b32 s8, -1, 0
	s_cmp_lg_u32 s3, s10
	s_cselect_b32 s3, -1, 0
	s_wait_alu 0xfffe
	s_or_b32 s2, s7, s2
	s_and_b32 s3, s8, s3
	s_delay_alu instid0(SALU_CYCLE_1) | instskip(NEXT) | instid1(SALU_CYCLE_1)
	s_or_b32 s2, s2, s3
	s_and_b32 vcc_lo, exec_lo, s2
	s_cbranch_vccnz .LBB61_24
; %bb.7:
	s_load_b256 s[24:31], s[0:1], 0x20
	s_mov_b32 s3, s21
	s_and_b32 s15, ttmp7, 0xffff
	s_wait_kmcnt 0x0
	s_mov_b32 s2, s24
	s_delay_alu instid0(SALU_CYCLE_1) | instskip(NEXT) | instid1(SALU_CYCLE_1)
	s_mul_u64 s[2:3], s[20:21], s[2:3]
	s_add_co_i32 s2, s3, s20
	s_delay_alu instid0(SALU_CYCLE_1) | instskip(SKIP_4) | instid1(SALU_CYCLE_1)
	s_lshr_b32 s3, s2, s25
	s_load_b32 s2, s[0:1], 0x40
	s_mul_i32 s7, s3, s26
	s_wait_alu 0xfffe
	s_sub_co_i32 s8, s20, s7
	s_mul_hi_u32 s7, s8, s27
	s_wait_alu 0xfffe
	s_add_co_i32 s7, s8, s7
	s_wait_alu 0xfffe
	s_lshr_b32 s7, s7, s28
	s_wait_alu 0xfffe
	s_mul_i32 s9, s7, s29
	s_delay_alu instid0(SALU_CYCLE_1) | instskip(NEXT) | instid1(SALU_CYCLE_1)
	s_sub_co_i32 s8, s8, s9
	s_mul_hi_u32 s9, s8, s30
	s_delay_alu instid0(SALU_CYCLE_1) | instskip(NEXT) | instid1(SALU_CYCLE_1)
	s_add_co_i32 s9, s8, s9
	s_lshr_b32 s24, s9, s31
	s_mov_b32 s9, s21
	s_wait_kmcnt 0x0
	s_mul_i32 s2, s24, s2
	s_delay_alu instid0(SALU_CYCLE_1) | instskip(NEXT) | instid1(SALU_CYCLE_1)
	s_sub_co_i32 s8, s8, s2
	s_mul_u64 s[10:11], s[8:9], s[22:23]
	s_delay_alu instid0(SALU_CYCLE_1) | instskip(NEXT) | instid1(SALU_CYCLE_1)
	s_add_co_i32 s2, s8, s11
	s_lshr_b32 s21, s2, s13
	s_delay_alu instid0(SALU_CYCLE_1) | instskip(NEXT) | instid1(SALU_CYCLE_1)
	s_lshl_b32 s2, s21, 4
	s_add_co_i32 s8, s2, s15
	s_lshr_b32 s2, ttmp7, 16
	s_cmp_lt_i32 s8, s4
	s_cselect_b32 s8, -1, 0
	s_add_co_i32 s9, s24, s2
	s_delay_alu instid0(SALU_CYCLE_1) | instskip(SKIP_1) | instid1(SALU_CYCLE_1)
	s_cmp_lt_i32 s9, s6
	s_cselect_b32 s9, -1, 0
	s_and_b32 s8, s8, s9
	s_delay_alu instid0(SALU_CYCLE_1)
	s_and_not1_b32 vcc_lo, exec_lo, s8
	s_cbranch_vccnz .LBB61_24
; %bb.8:
	s_mul_i32 s3, s3, s4
	s_mul_i32 s7, s7, s6
	s_add_co_i32 s3, s3, s15
	s_load_b128 s[8:11], s[0:1], 0x0
	s_mul_i32 s3, s3, s5
	s_mul_i32 s1, s5, s21
	s_add_co_i32 s3, s3, s2
	s_lshl_b32 s1, s1, 10
	s_add_co_i32 s0, s3, s7
	s_add_co_i32 s15, s15, s2
	;; [unrolled: 1-line block ×3, first 2 shown]
	v_cvt_f32_u32_e32 v4, s16
	s_lshl_b32 s0, s0, 6
	s_add_co_i32 s34, ttmp9, -1
	s_add_co_i32 s1, s1, s0
	s_delay_alu instid0(VALU_DEP_1)
	v_rcp_iflag_f32_e32 v4, v4
	v_or_b32_e32 v1, s1, v0
	s_add_nc_u64 s[0:1], s[16:17], 0
	v_lshl_or_b32 v0, s15, 6, v0
	s_wait_alu 0xfffe
	s_xor_b64 s[6:7], s[0:1], 0
	s_lshl_b32 s0, ttmp9, 4
	v_ashrrev_i32_e32 v2, 31, v1
	s_wait_alu 0xfffe
	s_cvt_f32_u32 s1, s6
	s_cvt_f32_u32 s2, s7
	s_add_co_i32 s0, s0, s15
	s_sub_nc_u64 s[30:31], 0, s[6:7]
	v_lshlrev_b64_e32 v[1:2], 2, v[1:2]
	s_wait_alu 0xfffe
	s_fmamk_f32 s2, s2, 0x4f800000, s1
	s_ashr_i32 s1, s0, 31
	s_wait_alu 0xfffe
	s_lshl_b64 s[0:1], s[0:1], 3
	v_s_rcp_f32 s2, s2
	s_wait_kmcnt 0x0
	v_add_co_u32 v1, vcc_lo, s8, v1
	s_delay_alu instid0(VALU_DEP_1)
	v_add_co_ci_u32_e64 v2, null, s9, v2, vcc_lo
	s_wait_alu 0xfffe
	s_add_nc_u64 s[0:1], s[10:11], s[0:1]
	s_mov_b32 s8, 0
	s_load_b64 s[26:27], s[0:1], 0x0
	global_load_b32 v3, v[1:2], off
	s_mul_f32 s2, s2, 0x5f7ffffc
	v_mul_f32_e32 v4, 0x4f7ffffe, v4
	s_lshl_b32 s0, s16, 6
	s_wait_alu 0xfffe
	s_mul_f32 s1, s2, 0x2f800000
	s_wait_alu 0xfffe
	s_delay_alu instid0(SALU_CYCLE_2)
	s_trunc_f32 s3, s1
	s_mov_b32 s1, s8
	s_wait_alu 0xfffe
	s_lshl_b64 s[0:1], s[0:1], 2
	s_fmamk_f32 s2, s3, 0xcf800000, s2
	s_cvt_u32_f32 s29, s3
	s_wait_alu 0xfffe
	s_add_nc_u64 s[24:25], s[10:11], s[0:1]
	s_cvt_u32_f32 s28, s2
	s_wait_kmcnt 0x0
	v_mov_b32_e32 v5, s27
	v_cvt_u32_f32_e32 v4, v4
.LBB61_9:                               ; =>This Inner Loop Header: Depth=1
	s_wait_alu 0xfffe
	s_ashr_i32 s35, s34, 31
	s_mov_b32 s2, -1
	s_wait_alu 0xfffe
	s_mul_u64 s[0:1], s[34:35], s[18:19]
                                        ; implicit-def: $sgpr38_sgpr39
	s_wait_alu 0xfffe
	s_mov_b32 s9, s1
	s_wait_alu 0xfffe
	s_cmp_lg_u64 s[8:9], 0
	s_cbranch_scc0 .LBB61_11
; %bb.10:                               ;   in Loop: Header=BB61_9 Depth=1
	s_mul_u64 s[2:3], s[30:31], s[28:29]
	s_mov_b32 s37, s8
	s_wait_alu 0xfffe
	s_mul_hi_u32 s5, s28, s3
	s_mul_i32 s4, s28, s3
	s_mul_hi_u32 s36, s28, s2
	s_mul_hi_u32 s9, s29, s2
	s_wait_alu 0xfffe
	s_add_nc_u64 s[4:5], s[36:37], s[4:5]
	s_mul_i32 s2, s29, s2
	s_mul_hi_u32 s17, s29, s3
	s_wait_alu 0xfffe
	s_add_co_u32 s2, s4, s2
	s_add_co_ci_u32 s2, s5, s9
	s_add_co_ci_u32 s5, s17, 0
	s_mul_i32 s4, s29, s3
	s_mov_b32 s3, s8
	s_mov_b32 s39, s8
	s_wait_alu 0xfffe
	s_add_nc_u64 s[2:3], s[2:3], s[4:5]
	s_wait_alu 0xfffe
	s_add_co_u32 s2, s28, s2
	s_cselect_b32 s4, -1, 0
	s_wait_alu 0xfffe
	s_cmp_lg_u32 s4, 0
	s_add_co_ci_u32 s3, s29, s3
	s_wait_alu 0xfffe
	s_mul_u64 s[4:5], s[30:31], s[2:3]
	s_wait_alu 0xfffe
	s_mul_hi_u32 s37, s2, s5
	s_mul_i32 s36, s2, s5
	s_mul_hi_u32 s38, s2, s4
	s_mul_hi_u32 s9, s3, s4
	s_mul_i32 s4, s3, s4
	s_wait_alu 0xfffe
	s_add_nc_u64 s[36:37], s[38:39], s[36:37]
	s_mul_hi_u32 s17, s3, s5
	s_wait_alu 0xfffe
	s_add_co_u32 s4, s36, s4
	s_add_co_ci_u32 s4, s37, s9
	s_add_co_ci_u32 s37, s17, 0
	s_mul_i32 s36, s3, s5
	s_mov_b32 s5, s8
	s_wait_alu 0xfffe
	s_add_nc_u64 s[4:5], s[4:5], s[36:37]
	s_mov_b32 s37, s8
	s_wait_alu 0xfffe
	s_add_co_u32 s9, s2, s4
	s_cselect_b32 s2, -1, 0
	s_wait_alu 0xfffe
	s_cmp_lg_u32 s2, 0
	s_add_co_ci_u32 s17, s3, s5
	s_ashr_i32 s2, s1, 31
	s_wait_alu 0xfffe
	s_mov_b32 s3, s2
	s_wait_alu 0xfffe
	s_add_nc_u64 s[4:5], s[0:1], s[2:3]
	s_wait_alu 0xfffe
	s_xor_b64 s[4:5], s[4:5], s[2:3]
	s_wait_alu 0xfffe
	s_mul_hi_u32 s39, s4, s17
	s_mul_i32 s38, s4, s17
	s_mul_hi_u32 s36, s4, s9
	s_mul_i32 s21, s5, s9
	s_wait_alu 0xfffe
	s_add_nc_u64 s[36:37], s[36:37], s[38:39]
	s_mul_hi_u32 s9, s5, s9
	s_mul_hi_u32 s1, s5, s17
	s_wait_alu 0xfffe
	s_add_co_u32 s21, s36, s21
	s_add_co_ci_u32 s36, s37, s9
	s_add_co_ci_u32 s39, s1, 0
	s_mul_i32 s38, s5, s17
	s_mov_b32 s37, s8
	s_wait_alu 0xfffe
	s_add_nc_u64 s[36:37], s[36:37], s[38:39]
	s_wait_alu 0xfffe
	s_mul_u64 s[38:39], s[6:7], s[36:37]
	s_add_nc_u64 s[40:41], s[36:37], 1
	s_sub_co_u32 s1, s4, s38
	s_cselect_b32 s4, -1, 0
	s_sub_co_i32 s9, s5, s39
	s_wait_alu 0xfffe
	s_cmp_lg_u32 s4, 0
	s_add_nc_u64 s[42:43], s[36:37], 2
	s_sub_co_ci_u32 s9, s9, s7
	s_sub_co_u32 s17, s1, s6
	s_cselect_b32 s21, -1, 0
	s_delay_alu instid0(SALU_CYCLE_1)
	s_cmp_lg_u32 s21, 0
	s_wait_alu 0xfffe
	s_sub_co_ci_u32 s9, s9, 0
	s_wait_alu 0xfffe
	s_cmp_ge_u32 s9, s7
	s_cselect_b32 s21, -1, 0
	s_cmp_ge_u32 s17, s6
	s_cselect_b32 s17, -1, 0
	s_cmp_eq_u32 s9, s7
	s_wait_alu 0xfffe
	s_cselect_b32 s9, s17, s21
	s_wait_alu 0xfffe
	s_cmp_lg_u32 s9, 0
	s_cselect_b32 s9, s42, s40
	s_cselect_b32 s17, s43, s41
	s_cmp_lg_u32 s4, 0
	s_sub_co_ci_u32 s4, s5, s39
	s_wait_alu 0xfffe
	s_cmp_ge_u32 s4, s7
	s_cselect_b32 s5, -1, 0
	s_cmp_ge_u32 s1, s6
	s_cselect_b32 s1, -1, 0
	s_cmp_eq_u32 s4, s7
	s_wait_alu 0xfffe
	s_cselect_b32 s1, s1, s5
	s_wait_alu 0xfffe
	s_cmp_lg_u32 s1, 0
	s_cselect_b32 s5, s17, s37
	s_cselect_b32 s4, s9, s36
	s_xor_b64 s[2:3], s[2:3], 0
	s_wait_alu 0xfffe
	s_xor_b64 s[4:5], s[4:5], s[2:3]
	s_wait_alu 0xfffe
	s_sub_nc_u64 s[38:39], s[4:5], s[2:3]
	s_mov_b32 s2, 0
.LBB61_11:                              ;   in Loop: Header=BB61_9 Depth=1
	s_wait_alu 0xfffe
	s_and_not1_b32 vcc_lo, exec_lo, s2
	s_wait_alu 0xfffe
	s_cbranch_vccnz .LBB61_13
; %bb.12:                               ;   in Loop: Header=BB61_9 Depth=1
	v_readfirstlane_b32 s1, v4
	s_sub_co_i32 s2, 0, s16
	s_wait_alu 0xfffe
	s_mul_i32 s2, s2, s1
	s_wait_alu 0xfffe
	s_mul_hi_u32 s2, s1, s2
	s_wait_alu 0xfffe
	s_add_co_i32 s1, s1, s2
	s_wait_alu 0xfffe
	s_mul_hi_u32 s1, s0, s1
	s_wait_alu 0xfffe
	s_mul_i32 s2, s1, s16
	s_wait_alu 0xfffe
	s_sub_co_i32 s0, s0, s2
	s_add_co_i32 s2, s1, 1
	s_wait_alu 0xfffe
	s_sub_co_i32 s3, s0, s16
	s_cmp_ge_u32 s0, s16
	s_cselect_b32 s1, s2, s1
	s_wait_alu 0xfffe
	s_cselect_b32 s0, s3, s0
	s_add_co_i32 s2, s1, 1
	s_wait_alu 0xfffe
	s_cmp_ge_u32 s0, s16
	s_cselect_b32 s38, s2, s1
.LBB61_13:                              ;   in Loop: Header=BB61_9 Depth=1
	v_readfirstlane_b32 s9, v0
	s_cmp_lg_u32 s20, s38
	s_mov_b32 s0, -1
                                        ; implicit-def: $sgpr21
                                        ; implicit-def: $vgpr6
                                        ; implicit-def: $vgpr7
                                        ; implicit-def: $sgpr17
                                        ; implicit-def: $sgpr27
	s_cbranch_scc1 .LBB61_16
; %bb.14:                               ;   in Loop: Header=BB61_9 Depth=1
	s_wait_alu 0xfffe
	s_and_not1_b32 vcc_lo, exec_lo, s0
	s_wait_alu 0xfffe
	s_cbranch_vccz .LBB61_19
.LBB61_15:                              ;   in Loop: Header=BB61_9 Depth=1
	s_and_not1_b32 vcc_lo, exec_lo, s21
	s_wait_alu 0xfffe
	s_cbranch_vccnz .LBB61_20
	s_branch .LBB61_23
.LBB61_16:                              ;   in Loop: Header=BB61_9 Depth=1
	s_add_co_i32 s0, s34, s16
	s_mov_b32 s1, s8
	s_wait_alu 0xfffe
	s_lshl_b32 s0, s0, 4
	v_max_num_f32_e64 v6, s26, s26
	s_wait_alu 0xfffe
	s_add_co_i32 s0, s0, s15
	s_mov_b32 s39, s8
	s_wait_alu 0xfffe
	s_lshl_b64 s[0:1], s[0:1], 3
	s_mul_u64 s[40:41], s[38:39], s[22:23]
	s_wait_alu 0xfffe
	s_add_nc_u64 s[0:1], s[10:11], s[0:1]
	s_mov_b32 s27, s20
	s_load_b64 s[36:37], s[0:1], 0x0
	v_readfirstlane_b32 s0, v6
	s_wait_kmcnt 0x0
	v_max_num_f32_e64 v7, s36, s36
	s_delay_alu instid0(VALU_DEP_1) | instskip(SKIP_2) | instid1(SALU_CYCLE_2)
	v_readfirstlane_b32 s1, v7
	s_max_num_f32 s9, s0, s1
	s_wait_alu 0xfffe
	s_sub_f32 s33, s26, s9
	s_sub_f32 s35, s36, s9
	s_wait_alu 0xfffe
	s_delay_alu instid0(SALU_CYCLE_1)
	s_cmp_nlt_f32 s33, 0xc2ce8ed0
	s_cselect_b32 s0, -1, 0
	s_cmp_ngt_f32 s33, 0x42b17218
	s_cselect_b32 s1, -1, 0
	s_cmp_ge_f32 s33, 0xc1a00000
	s_cselect_b32 s2, -1, 0
	s_cmp_nlt_f32 s35, 0xc2ce8ed0
	s_cselect_b32 s3, -1, 0
	s_cmp_ngt_f32 s35, 0x42b17218
	s_cselect_b32 s4, -1, 0
	s_cmp_ge_f32 s35, 0xc1a00000
	s_cselect_b32 s5, -1, 0
	s_add_co_i32 s17, s41, s38
	s_wait_alu 0xfffe
	s_lshr_b32 s17, s17, s13
	s_wait_alu 0xfffe
	s_mul_i32 s21, s17, s14
	s_delay_alu instid0(SALU_CYCLE_1)
	s_cmp_eq_u32 s21, s38
	s_cselect_b32 s21, -1, 0
	s_cmp_lt_u32 s17, s12
	s_cselect_b32 s17, -1, 0
	s_wait_alu 0xfffe
	s_or_b32 s17, s17, s21
	s_mov_b32 s21, -1
	s_wait_alu 0xfffe
	s_and_b32 vcc_lo, exec_lo, s17
	s_mov_b32 s17, s34
	s_wait_alu 0xfffe
	s_cbranch_vccnz .LBB61_18
; %bb.17:                               ;   in Loop: Header=BB61_9 Depth=1
	s_add_co_i32 s17, s34, -1
	s_mov_b32 s21, 0
	s_mov_b32 s27, s38
.LBB61_18:                              ;   in Loop: Header=BB61_9 Depth=1
	v_lshl_add_u32 v6, s34, 10, v0
	s_mul_f32 s36, s35, 0x3fb8aa3b
	s_mul_f32 s38, s33, 0x3fb8aa3b
	s_wait_alu 0xfffe
	s_delay_alu instid0(SALU_CYCLE_1)
	s_xor_b32 s39, s36, 0x80000000
	v_ashrrev_i32_e32 v7, 31, v6
	s_rndne_f32 s40, s36
	s_fmamk_f32 s39, s35, 0x3fb8aa3b, s39
	s_xor_b32 s41, s38, 0x80000000
	s_rndne_f32 s42, s38
	v_lshlrev_b64_e32 v[6:7], 2, v[6:7]
	s_sub_f32 s36, s36, s40
	s_fmamk_f32 s35, s35, 0x32a5705f, s39
	s_fmamk_f32 s39, s33, 0x3fb8aa3b, s41
	s_sub_f32 s38, s38, s42
	s_delay_alu instid0(VALU_DEP_1)
	v_add_co_u32 v6, vcc_lo, s24, v6
	s_wait_alu 0xfffd
	v_add_co_ci_u32_e64 v7, null, s25, v7, vcc_lo
	s_wait_alu 0xfffe
	s_add_f32 s35, s36, s35
	s_fmamk_f32 s33, s33, 0x32a5705f, s39
	s_cvt_i32_f32 s36, s40
	global_load_b32 v6, v[6:7], off
	s_wait_alu 0xfffe
	v_s_exp_f32 s35, s35
	s_add_f32 s33, s38, s33
	s_wait_alu 0xfffe
	s_delay_alu instid0(SALU_CYCLE_2) | instskip(NEXT) | instid1(TRANS32_DEP_2)
	v_s_exp_f32 s33, s33
	v_ldexp_f32 v7, s35, s36
	s_cvt_i32_f32 s35, s42
	s_wait_alu 0xf1fe
	s_delay_alu instid0(TRANS32_DEP_1) | instid1(SALU_CYCLE_2)
	v_ldexp_f32 v8, s33, s35
	s_delay_alu instid0(VALU_DEP_2) | instskip(NEXT) | instid1(VALU_DEP_2)
	v_cndmask_b32_e64 v7, 0, v7, s3
	v_cndmask_b32_e64 v8, 0, v8, s0
	s_delay_alu instid0(VALU_DEP_2) | instskip(NEXT) | instid1(VALU_DEP_2)
	v_cndmask_b32_e64 v7, 0x7f800000, v7, s4
	v_cndmask_b32_e64 v8, 0x7f800000, v8, s1
	;; [unrolled: 3-line block ×3, first 2 shown]
	s_wait_loadcnt 0x0
	s_delay_alu instid0(VALU_DEP_2) | instskip(SKIP_1) | instid1(VALU_DEP_1)
	v_mul_f32_e32 v6, v6, v7
	v_mul_f32_e32 v7, s37, v7
	v_fmac_f32_e32 v7, v5, v8
	s_delay_alu instid0(VALU_DEP_3)
	v_fmac_f32_e32 v6, v3, v8
	s_cbranch_execnz .LBB61_15
.LBB61_19:                              ;   in Loop: Header=BB61_9 Depth=1
	s_wait_loadcnt 0x0
	v_dual_mov_b32 v7, v5 :: v_dual_mov_b32 v6, v3
	s_add_co_i32 s17, s34, -1
	s_mov_b32 s27, s20
	s_mov_b32 s9, s26
	s_cbranch_execz .LBB61_23
.LBB61_20:                              ;   in Loop: Header=BB61_9 Depth=1
	v_mov_b32_e32 v5, v7
	s_wait_loadcnt 0x0
	v_mov_b32_e32 v3, v6
	s_wait_alu 0xfffe
	s_mov_b32 s20, s27
	s_mov_b32 s34, s17
	;; [unrolled: 1-line block ×3, first 2 shown]
	s_branch .LBB61_9
.LBB61_21:
                                        ; implicit-def: $sgpr20_sgpr21
	s_branch .LBB61_2
.LBB61_22:
                                        ; implicit-def: $sgpr10_sgpr11
	s_load_b96 s[12:14], s[0:1], 0x44
	s_branch .LBB61_5
.LBB61_23:
	v_div_scale_f32 v0, null, v7, v7, v6
	s_wait_loadcnt 0x0
	s_delay_alu instid0(VALU_DEP_1) | instskip(NEXT) | instid1(TRANS32_DEP_1)
	v_rcp_f32_e32 v3, v0
	v_fma_f32 v4, -v0, v3, 1.0
	s_delay_alu instid0(VALU_DEP_1) | instskip(SKIP_1) | instid1(VALU_DEP_1)
	v_fmac_f32_e32 v3, v4, v3
	v_div_scale_f32 v4, vcc_lo, v6, v7, v6
	v_mul_f32_e32 v5, v4, v3
	s_delay_alu instid0(VALU_DEP_1) | instskip(NEXT) | instid1(VALU_DEP_1)
	v_fma_f32 v8, -v0, v5, v4
	v_fmac_f32_e32 v5, v8, v3
	s_delay_alu instid0(VALU_DEP_1) | instskip(SKIP_1) | instid1(VALU_DEP_1)
	v_fma_f32 v0, -v0, v5, v4
	s_wait_alu 0xfffd
	v_div_fmas_f32 v0, v0, v3, v5
	s_delay_alu instid0(VALU_DEP_1)
	v_div_fixup_f32 v0, v0, v7, v6
	global_store_b32 v[1:2], v0, off
.LBB61_24:
	s_endpgm
	.section	.rodata,"a",@progbits
	.p2align	6, 0x0
	.amdhsa_kernel _ZL33flash_attn_stream_k_fixup_generalILi64ELi16ELi1EEvPfPK15HIP_vector_typeIfLj2EEiiiiS1_IjLj3EES5_S5_S5_
		.amdhsa_group_segment_fixed_size 0
		.amdhsa_private_segment_fixed_size 0
		.amdhsa_kernarg_size 336
		.amdhsa_user_sgpr_count 2
		.amdhsa_user_sgpr_dispatch_ptr 0
		.amdhsa_user_sgpr_queue_ptr 0
		.amdhsa_user_sgpr_kernarg_segment_ptr 1
		.amdhsa_user_sgpr_dispatch_id 0
		.amdhsa_user_sgpr_private_segment_size 0
		.amdhsa_wavefront_size32 1
		.amdhsa_uses_dynamic_stack 0
		.amdhsa_enable_private_segment 0
		.amdhsa_system_sgpr_workgroup_id_x 1
		.amdhsa_system_sgpr_workgroup_id_y 1
		.amdhsa_system_sgpr_workgroup_id_z 1
		.amdhsa_system_sgpr_workgroup_info 0
		.amdhsa_system_vgpr_workitem_id 0
		.amdhsa_next_free_vgpr 9
		.amdhsa_next_free_sgpr 44
		.amdhsa_reserve_vcc 1
		.amdhsa_float_round_mode_32 0
		.amdhsa_float_round_mode_16_64 0
		.amdhsa_float_denorm_mode_32 3
		.amdhsa_float_denorm_mode_16_64 3
		.amdhsa_fp16_overflow 0
		.amdhsa_workgroup_processor_mode 1
		.amdhsa_memory_ordered 1
		.amdhsa_forward_progress 1
		.amdhsa_inst_pref_size 28
		.amdhsa_round_robin_scheduling 0
		.amdhsa_exception_fp_ieee_invalid_op 0
		.amdhsa_exception_fp_denorm_src 0
		.amdhsa_exception_fp_ieee_div_zero 0
		.amdhsa_exception_fp_ieee_overflow 0
		.amdhsa_exception_fp_ieee_underflow 0
		.amdhsa_exception_fp_ieee_inexact 0
		.amdhsa_exception_int_div_zero 0
	.end_amdhsa_kernel
	.section	.text._ZL33flash_attn_stream_k_fixup_generalILi64ELi16ELi1EEvPfPK15HIP_vector_typeIfLj2EEiiiiS1_IjLj3EES5_S5_S5_,"axG",@progbits,_ZL33flash_attn_stream_k_fixup_generalILi64ELi16ELi1EEvPfPK15HIP_vector_typeIfLj2EEiiiiS1_IjLj3EES5_S5_S5_,comdat
.Lfunc_end61:
	.size	_ZL33flash_attn_stream_k_fixup_generalILi64ELi16ELi1EEvPfPK15HIP_vector_typeIfLj2EEiiiiS1_IjLj3EES5_S5_S5_, .Lfunc_end61-_ZL33flash_attn_stream_k_fixup_generalILi64ELi16ELi1EEvPfPK15HIP_vector_typeIfLj2EEiiiiS1_IjLj3EES5_S5_S5_
                                        ; -- End function
	.set _ZL33flash_attn_stream_k_fixup_generalILi64ELi16ELi1EEvPfPK15HIP_vector_typeIfLj2EEiiiiS1_IjLj3EES5_S5_S5_.num_vgpr, 9
	.set _ZL33flash_attn_stream_k_fixup_generalILi64ELi16ELi1EEvPfPK15HIP_vector_typeIfLj2EEiiiiS1_IjLj3EES5_S5_S5_.num_agpr, 0
	.set _ZL33flash_attn_stream_k_fixup_generalILi64ELi16ELi1EEvPfPK15HIP_vector_typeIfLj2EEiiiiS1_IjLj3EES5_S5_S5_.numbered_sgpr, 44
	.set _ZL33flash_attn_stream_k_fixup_generalILi64ELi16ELi1EEvPfPK15HIP_vector_typeIfLj2EEiiiiS1_IjLj3EES5_S5_S5_.num_named_barrier, 0
	.set _ZL33flash_attn_stream_k_fixup_generalILi64ELi16ELi1EEvPfPK15HIP_vector_typeIfLj2EEiiiiS1_IjLj3EES5_S5_S5_.private_seg_size, 0
	.set _ZL33flash_attn_stream_k_fixup_generalILi64ELi16ELi1EEvPfPK15HIP_vector_typeIfLj2EEiiiiS1_IjLj3EES5_S5_S5_.uses_vcc, 1
	.set _ZL33flash_attn_stream_k_fixup_generalILi64ELi16ELi1EEvPfPK15HIP_vector_typeIfLj2EEiiiiS1_IjLj3EES5_S5_S5_.uses_flat_scratch, 0
	.set _ZL33flash_attn_stream_k_fixup_generalILi64ELi16ELi1EEvPfPK15HIP_vector_typeIfLj2EEiiiiS1_IjLj3EES5_S5_S5_.has_dyn_sized_stack, 0
	.set _ZL33flash_attn_stream_k_fixup_generalILi64ELi16ELi1EEvPfPK15HIP_vector_typeIfLj2EEiiiiS1_IjLj3EES5_S5_S5_.has_recursion, 0
	.set _ZL33flash_attn_stream_k_fixup_generalILi64ELi16ELi1EEvPfPK15HIP_vector_typeIfLj2EEiiiiS1_IjLj3EES5_S5_S5_.has_indirect_call, 0
	.section	.AMDGPU.csdata,"",@progbits
; Kernel info:
; codeLenInByte = 3556
; TotalNumSgprs: 46
; NumVgprs: 9
; ScratchSize: 0
; MemoryBound: 0
; FloatMode: 240
; IeeeMode: 1
; LDSByteSize: 0 bytes/workgroup (compile time only)
; SGPRBlocks: 0
; VGPRBlocks: 1
; NumSGPRsForWavesPerEU: 46
; NumVGPRsForWavesPerEU: 9
; Occupancy: 16
; WaveLimiterHint : 0
; COMPUTE_PGM_RSRC2:SCRATCH_EN: 0
; COMPUTE_PGM_RSRC2:USER_SGPR: 2
; COMPUTE_PGM_RSRC2:TRAP_HANDLER: 0
; COMPUTE_PGM_RSRC2:TGID_X_EN: 1
; COMPUTE_PGM_RSRC2:TGID_Y_EN: 1
; COMPUTE_PGM_RSRC2:TGID_Z_EN: 1
; COMPUTE_PGM_RSRC2:TIDIG_COMP_CNT: 0
	.section	.text._ZL15flash_attn_tileILi64ELi64ELi8ELi1ELb0EEvPKcS1_S1_S1_S1_PKiPfP15HIP_vector_typeIfLj2EEffffjfiS5_IjLj3EEiiiiiiiiiiiliiliiiiil,"axG",@progbits,_ZL15flash_attn_tileILi64ELi64ELi8ELi1ELb0EEvPKcS1_S1_S1_S1_PKiPfP15HIP_vector_typeIfLj2EEffffjfiS5_IjLj3EEiiiiiiiiiiiliiliiiiil,comdat
	.globl	_ZL15flash_attn_tileILi64ELi64ELi8ELi1ELb0EEvPKcS1_S1_S1_S1_PKiPfP15HIP_vector_typeIfLj2EEffffjfiS5_IjLj3EEiiiiiiiiiiiliiliiiiil ; -- Begin function _ZL15flash_attn_tileILi64ELi64ELi8ELi1ELb0EEvPKcS1_S1_S1_S1_PKiPfP15HIP_vector_typeIfLj2EEffffjfiS5_IjLj3EEiiiiiiiiiiiliiliiiiil
	.p2align	8
	.type	_ZL15flash_attn_tileILi64ELi64ELi8ELi1ELb0EEvPKcS1_S1_S1_S1_PKiPfP15HIP_vector_typeIfLj2EEffffjfiS5_IjLj3EEiiiiiiiiiiiliiliiiiil,@function
_ZL15flash_attn_tileILi64ELi64ELi8ELi1ELb0EEvPKcS1_S1_S1_S1_PKiPfP15HIP_vector_typeIfLj2EEffffjfiS5_IjLj3EEiiiiiiiiiiiliiliiiiil: ; @_ZL15flash_attn_tileILi64ELi64ELi8ELi1ELb0EEvPKcS1_S1_S1_S1_PKiPfP15HIP_vector_typeIfLj2EEffffjfiS5_IjLj3EEiiiiiiiiiiiliiliiiiil
; %bb.0:
	s_clause 0x1
	s_load_b128 s[36:39], s[0:1], 0x5c
	s_load_b64 s[2:3], s[0:1], 0x80
	s_lshr_b32 s6, ttmp7, 16
	s_clause 0x1
	s_load_b512 s[16:31], s[0:1], 0x0
	s_load_b64 s[10:11], s[0:1], 0xb8
	s_mov_b64 s[14:15], 0
	s_wait_kmcnt 0x0
	s_cvt_f32_u32 s4, s39
	s_sub_co_i32 s5, 0, s39
	s_delay_alu instid0(SALU_CYCLE_2) | instskip(NEXT) | instid1(TRANS32_DEP_1)
	v_rcp_iflag_f32_e32 v1, s4
	v_readfirstlane_b32 s4, v1
	s_mul_f32 s4, s4, 0x4f7ffffe
	s_wait_alu 0xfffe
	s_delay_alu instid0(SALU_CYCLE_2) | instskip(SKIP_1) | instid1(SALU_CYCLE_2)
	s_cvt_u32_f32 s4, s4
	s_wait_alu 0xfffe
	s_mul_i32 s5, s5, s4
	s_wait_alu 0xfffe
	s_mul_hi_u32 s5, s4, s5
	s_wait_alu 0xfffe
	s_add_co_i32 s4, s4, s5
	s_wait_alu 0xfffe
	s_mul_hi_u32 s4, s6, s4
	s_wait_alu 0xfffe
	s_mul_i32 s5, s4, s39
	s_add_co_i32 s7, s4, 1
	s_wait_alu 0xfffe
	s_sub_co_i32 s5, s6, s5
	s_wait_alu 0xfffe
	s_sub_co_i32 s8, s5, s39
	s_cmp_ge_u32 s5, s39
	s_cselect_b32 s4, s7, s4
	s_cselect_b32 s5, s8, s5
	s_wait_alu 0xfffe
	s_add_co_i32 s7, s4, 1
	s_cmp_ge_u32 s5, s39
	s_cselect_b32 s40, s7, s4
	s_abs_i32 s4, s3
	s_abs_i32 s9, s39
	s_wait_alu 0xfffe
	s_cvt_f32_u32 s5, s4
	s_sub_co_i32 s7, 0, s4
	s_mul_i32 s8, s40, s39
	s_xor_b32 s3, s39, s3
	s_wait_alu 0xfffe
	v_rcp_iflag_f32_e32 v1, s5
	s_sub_co_i32 s34, s6, s8
	s_ashr_i32 s3, s3, 31
	s_delay_alu instid0(TRANS32_DEP_1) | instskip(SKIP_2) | instid1(SALU_CYCLE_2)
	v_readfirstlane_b32 s5, v1
	s_mul_f32 s5, s5, 0x4f7ffffe
	s_wait_alu 0xfffe
	s_cvt_u32_f32 s5, s5
	s_wait_alu 0xfffe
	s_delay_alu instid0(SALU_CYCLE_2) | instskip(NEXT) | instid1(SALU_CYCLE_1)
	s_mul_i32 s7, s7, s5
	s_mul_hi_u32 s7, s5, s7
	s_delay_alu instid0(SALU_CYCLE_1)
	s_add_co_i32 s5, s5, s7
	s_wait_alu 0xfffe
	s_mul_hi_u32 s5, s9, s5
	s_wait_alu 0xfffe
	s_mul_i32 s6, s5, s4
	s_add_co_i32 s7, s5, 1
	s_sub_co_i32 s6, s9, s6
	s_mov_b32 s9, 0
	s_sub_co_i32 s8, s6, s4
	s_cmp_ge_u32 s6, s4
	s_cselect_b32 s5, s7, s5
	s_cselect_b32 s6, s8, s6
	s_wait_alu 0xfffe
	s_add_co_i32 s7, s5, 1
	s_cmp_ge_u32 s6, s4
	s_cselect_b32 s4, s7, s5
	s_abs_i32 s8, s34
	s_wait_alu 0xfffe
	s_xor_b32 s4, s4, s3
	s_wait_alu 0xfffe
	s_sub_co_i32 s33, s4, s3
	s_delay_alu instid0(SALU_CYCLE_1) | instskip(NEXT) | instid1(SALU_CYCLE_1)
	s_abs_i32 s3, s33
	s_cvt_f32_u32 s4, s3
	s_sub_co_i32 s5, 0, s3
	s_wait_alu 0xfffe
	s_delay_alu instid0(SALU_CYCLE_1) | instskip(NEXT) | instid1(TRANS32_DEP_1)
	v_rcp_iflag_f32_e32 v1, s4
	v_readfirstlane_b32 s4, v1
	s_mul_f32 s4, s4, 0x4f7ffffe
	s_wait_alu 0xfffe
	s_delay_alu instid0(SALU_CYCLE_2) | instskip(SKIP_1) | instid1(SALU_CYCLE_2)
	s_cvt_u32_f32 s4, s4
	s_wait_alu 0xfffe
	s_mul_i32 s5, s5, s4
	s_wait_alu 0xfffe
	s_mul_hi_u32 s5, s4, s5
	s_wait_alu 0xfffe
	s_add_co_i32 s12, s4, s5
	s_cmp_eq_u64 s[22:23], 0
	s_cbranch_scc1 .LBB62_2
; %bb.1:
	s_abs_i32 s6, s10
	s_delay_alu instid0(SALU_CYCLE_1) | instskip(SKIP_1) | instid1(SALU_CYCLE_2)
	s_cvt_f32_u32 s4, s6
	s_wait_alu 0xfffe
	v_rcp_iflag_f32_e32 v1, s4
	s_delay_alu instid0(TRANS32_DEP_1) | instskip(SKIP_2) | instid1(SALU_CYCLE_2)
	v_readfirstlane_b32 s4, v1
	s_mul_f32 s4, s4, 0x4f7ffffe
	s_wait_alu 0xfffe
	s_cvt_u32_f32 s7, s4
	s_sub_co_i32 s4, 0, s6
	s_wait_alu 0xfffe
	s_delay_alu instid0(SALU_CYCLE_1) | instskip(SKIP_4) | instid1(SALU_CYCLE_1)
	s_mul_i32 s4, s4, s7
	s_wait_alu 0xfffe
	s_mul_hi_u32 s10, s7, s4
	s_load_b64 s[4:5], s[0:1], 0xc8
	s_add_co_i32 s7, s7, s10
	s_mul_hi_u32 s7, s40, s7
	s_delay_alu instid0(SALU_CYCLE_1) | instskip(NEXT) | instid1(SALU_CYCLE_1)
	s_mul_i32 s7, s7, s6
	s_sub_co_i32 s7, s40, s7
	s_delay_alu instid0(SALU_CYCLE_1) | instskip(SKIP_2) | instid1(SALU_CYCLE_1)
	s_sub_co_i32 s10, s7, s6
	s_cmp_ge_u32 s7, s6
	s_cselect_b32 s7, s10, s7
	s_sub_co_i32 s10, s7, s6
	s_cmp_ge_u32 s7, s6
	s_cselect_b32 s6, s10, s7
	s_delay_alu instid0(SALU_CYCLE_1)
	s_ashr_i32 s7, s6, 31
	s_wait_kmcnt 0x0
	s_mul_u64 s[4:5], s[4:5], s[6:7]
	s_wait_alu 0xfffe
	s_add_nc_u64 s[14:15], s[22:23], s[4:5]
.LBB62_2:
	s_clause 0x1
	s_load_b128 s[4:7], s[0:1], 0x40
	s_load_b32 s10, s[0:1], 0x50
	v_mov_b32_e32 v36, 1.0
	s_mov_b32 s13, s9
	s_wait_kmcnt 0x0
	s_cmp_le_f32 s5, 0
	s_cbranch_scc1 .LBB62_4
; %bb.3:
	v_sub_co_u32 v1, s5, s34, s10
	s_and_b32 s22, s5, exec_lo
	s_cselect_b32 s7, s6, s7
	v_readfirstlane_b32 s10, v1
	s_lshl_b32 s6, s10, 1
	s_add_co_i32 s10, s34, 1
	s_or_b32 s6, s6, 1
	s_and_b32 s5, s5, exec_lo
	s_wait_alu 0xfffe
	s_cselect_b32 s5, s10, s6
	s_cmp_neq_f32 s7, 1.0
	s_wait_alu 0xfffe
	s_cvt_f32_i32 s5, s5
	s_wait_alu 0xfffe
	s_delay_alu instid0(SALU_CYCLE_2) | instskip(NEXT) | instid1(SALU_CYCLE_1)
	s_cselect_b32 s6, s5, 1.0
	s_cmp_neq_f32 s6, 0
	s_cselect_b32 s5, s7, 1.0
	s_wait_alu 0xfffe
	v_frexp_mant_f32_e64 v1, |s5|
	s_delay_alu instid0(VALU_DEP_1)
	v_readfirstlane_b32 s7, v1
	v_cvt_f64_f32_e64 v[1:2], |s5|
	s_cmp_lt_f32 s7, 0x3f2aaaab
	s_cselect_b32 s10, -1, 0
	s_wait_alu 0xfffe
	s_and_b32 s22, s10, exec_lo
	s_cselect_b32 s22, 2.0, 1.0
	s_delay_alu instid0(SALU_CYCLE_1) | instskip(NEXT) | instid1(SALU_CYCLE_3)
	s_mul_f32 s7, s7, s22
	s_add_f32 s22, s7, 1.0
	s_add_f32 s35, s7, -1.0
	s_delay_alu instid0(SALU_CYCLE_2) | instskip(SKIP_1) | instid1(SALU_CYCLE_3)
	v_s_rcp_f32 s23, s22
	s_add_f32 s43, s22, -1.0
	s_sub_f32 s7, s7, s43
	s_wait_alu 0xfffe
	s_delay_alu instid0(TRANS32_DEP_1) | instskip(NEXT) | instid1(SALU_CYCLE_3)
	s_mul_f32 s41, s35, s23
	s_mul_f32 s42, s22, s41
	s_delay_alu instid0(SALU_CYCLE_3) | instskip(NEXT) | instid1(VALU_DEP_1)
	s_xor_b32 s44, s42, 0x80000000
	v_frexp_exp_i32_f64_e32 v1, v[1:2]
	s_fmac_f32 s44, s41, s22
	s_delay_alu instid0(SALU_CYCLE_3) | instskip(NEXT) | instid1(SALU_CYCLE_3)
	s_fmac_f32 s44, s41, s7
	s_add_f32 s7, s42, s44
	s_delay_alu instid0(SALU_CYCLE_3) | instskip(SKIP_2) | instid1(SALU_CYCLE_1)
	s_sub_f32 s22, s35, s7
	s_sub_f32 s42, s7, s42
	s_wait_alu 0xfffe
	s_sub_f32 s35, s35, s22
	s_delay_alu instid0(SALU_CYCLE_1) | instskip(SKIP_1) | instid1(SALU_CYCLE_1)
	s_sub_f32 s42, s42, s44
	s_wait_alu 0xfffe
	s_sub_f32 s7, s35, s7
	s_delay_alu instid0(SALU_CYCLE_3) | instskip(SKIP_1) | instid1(SALU_CYCLE_2)
	s_add_f32 s7, s42, s7
	s_mov_b32 s42, 0x3e76c4e1
	s_add_f32 s7, s22, s7
	s_delay_alu instid0(SALU_CYCLE_3) | instskip(NEXT) | instid1(SALU_CYCLE_3)
	s_mul_f32 s7, s23, s7
	s_add_f32 s22, s41, s7
	s_wait_alu 0xfffe
	s_delay_alu instid0(SALU_CYCLE_2) | instskip(SKIP_2) | instid1(SALU_CYCLE_1)
	s_sub_f32 s23, s22, s41
	s_mul_f32 s35, s22, s22
	s_wait_alu 0xfffe
	s_sub_f32 s7, s7, s23
	s_delay_alu instid0(SALU_CYCLE_1) | instskip(SKIP_4) | instid1(SALU_CYCLE_2)
	s_xor_b32 s23, s35, 0x80000000
	s_wait_alu 0xfffe
	s_fmac_f32 s23, s22, s22
	s_add_f32 s41, s7, s7
	s_wait_alu 0xfffe
	s_fmac_f32 s23, s22, s41
	s_wait_alu 0xfffe
	s_delay_alu instid0(SALU_CYCLE_2) | instskip(NEXT) | instid1(SALU_CYCLE_3)
	s_add_f32 s41, s35, s23
	s_fmaak_f32 s42, s41, s42, 0x3e91f4c4
	s_sub_f32 s35, s41, s35
	s_delay_alu instid0(SALU_CYCLE_2) | instskip(SKIP_1) | instid1(SALU_CYCLE_1)
	s_fmaak_f32 s42, s41, s42, 0x3ecccdef
	s_wait_alu 0xfffe
	s_sub_f32 s23, s23, s35
	s_mul_f32 s35, s22, s41
	s_mul_f32 s43, s41, s42
	s_wait_alu 0xfffe
	s_delay_alu instid0(SALU_CYCLE_1) | instskip(NEXT) | instid1(SALU_CYCLE_1)
	s_xor_b32 s45, s35, 0x80000000
	s_xor_b32 s44, s43, 0x80000000
	s_fmac_f32 s45, s41, s22
	s_fmac_f32 s44, s41, s42
	s_delay_alu instid0(SALU_CYCLE_2) | instskip(NEXT) | instid1(SALU_CYCLE_2)
	s_fmac_f32 s45, s41, s7
	s_fmac_f32 s44, s23, s42
	s_delay_alu instid0(SALU_CYCLE_2) | instskip(NEXT) | instid1(SALU_CYCLE_2)
	s_fmac_f32 s45, s23, s22
	s_add_f32 s42, s43, s44
	s_delay_alu instid0(SALU_CYCLE_3) | instskip(SKIP_1) | instid1(SALU_CYCLE_2)
	s_sub_f32 s43, s42, s43
	s_add_f32 s46, s42, 0x3f2aaaaa
	s_sub_f32 s43, s44, s43
	s_delay_alu instid0(SALU_CYCLE_2) | instskip(NEXT) | instid1(SALU_CYCLE_2)
	s_add_f32 s44, s46, 0xbf2aaaaa
	s_add_f32 s41, s43, 0x31739010
	s_delay_alu instid0(SALU_CYCLE_2) | instskip(NEXT) | instid1(SALU_CYCLE_3)
	s_sub_f32 s42, s42, s44
	s_add_f32 s23, s41, s42
	s_add_f32 s41, s35, s45
	s_wait_alu 0xfffe
	s_delay_alu instid0(SALU_CYCLE_1) | instskip(NEXT) | instid1(SALU_CYCLE_1)
	s_add_f32 s42, s46, s23
	s_sub_f32 s35, s41, s35
	s_delay_alu instid0(SALU_CYCLE_2)
	s_mul_f32 s43, s41, s42
	s_sub_f32 s44, s46, s42
	s_wait_alu 0xfffe
	s_sub_f32 s35, s45, s35
	s_xor_b32 s46, s43, 0x80000000
	s_add_f32 s23, s23, s44
	s_fmac_f32 s46, s41, s42
	v_readfirstlane_b32 s44, v1
	v_ldexp_f32 v1, s22, 1
	s_cmp_lg_u32 s10, 0
	s_wait_alu 0xfffe
	s_fmac_f32 s46, s41, s23
	s_sub_co_ci_u32 s10, s44, 0
	v_readfirstlane_b32 s22, v1
	s_delay_alu instid0(SALU_CYCLE_1)
	s_fmac_f32 s46, s35, s42
	s_wait_alu 0xfffe
	s_cvt_f32_i32 s10, s10
	v_ldexp_f32 v1, s7, 1
	s_add_f32 s23, s43, s46
	s_wait_alu 0xfffe
	s_mul_f32 s7, s10, 0x3f317218
	s_delay_alu instid0(VALU_DEP_1)
	v_readfirstlane_b32 s42, v1
	s_add_f32 s35, s22, s23
	s_sub_f32 s41, s23, s43
	s_wait_alu 0xfffe
	s_xor_b32 s43, s7, 0x80000000
	s_sub_f32 s22, s35, s22
	s_sub_f32 s41, s46, s41
	s_fmamk_f32 s43, s10, 0x3f317218, s43
	s_wait_alu 0xfffe
	s_sub_f32 s22, s23, s22
	s_add_f32 s23, s42, s41
	s_fmamk_f32 s10, s10, 0xb102e308, s43
	s_wait_alu 0xfffe
	s_delay_alu instid0(SALU_CYCLE_1) | instskip(NEXT) | instid1(SALU_CYCLE_1)
	s_add_f32 s22, s23, s22
	s_add_f32 s23, s7, s10
	s_wait_alu 0xfffe
	s_delay_alu instid0(SALU_CYCLE_1) | instskip(NEXT) | instid1(SALU_CYCLE_1)
	s_add_f32 s41, s35, s22
	s_sub_f32 s7, s23, s7
	s_delay_alu instid0(SALU_CYCLE_2)
	s_add_f32 s42, s23, s41
	s_sub_f32 s35, s41, s35
	s_wait_alu 0xfffe
	s_sub_f32 s7, s10, s7
	s_sub_f32 s43, s42, s23
	s_sub_f32 s10, s22, s35
	s_delay_alu instid0(SALU_CYCLE_2)
	s_sub_f32 s44, s42, s43
	s_sub_f32 s22, s41, s43
	s_wait_alu 0xfffe
	s_add_f32 s35, s7, s10
	s_sub_f32 s23, s23, s44
	s_wait_alu 0xfffe
	s_delay_alu instid0(SALU_CYCLE_2) | instskip(SKIP_2) | instid1(SALU_CYCLE_1)
	s_add_f32 s22, s22, s23
	s_sub_f32 s23, s35, s7
	s_wait_alu 0xfffe
	s_add_f32 s22, s35, s22
	s_delay_alu instid0(SALU_CYCLE_1) | instskip(SKIP_4) | instid1(SALU_CYCLE_2)
	s_sub_f32 s35, s35, s23
	s_sub_f32 s10, s10, s23
	s_wait_alu 0xfffe
	s_add_f32 s41, s42, s22
	s_sub_f32 s7, s7, s35
	s_sub_f32 s23, s41, s42
	s_wait_alu 0xfffe
	s_delay_alu instid0(SALU_CYCLE_1) | instskip(NEXT) | instid1(SALU_CYCLE_1)
	s_add_f32 s7, s10, s7
	s_sub_f32 s10, s22, s23
	s_wait_alu 0xfffe
	s_delay_alu instid0(SALU_CYCLE_2) | instskip(SKIP_1) | instid1(SALU_CYCLE_2)
	s_add_f32 s7, s7, s10
	s_wait_alu 0xfffe
	s_add_f32 s10, s41, s7
	s_wait_alu 0xfffe
	s_delay_alu instid0(SALU_CYCLE_2) | instskip(SKIP_2) | instid1(SALU_CYCLE_1)
	s_mul_f32 s22, s6, s10
	s_sub_f32 s23, s10, s41
	s_wait_alu 0xfffe
	s_xor_b32 s35, s22, 0x80000000
	s_delay_alu instid0(SALU_CYCLE_1) | instskip(SKIP_3) | instid1(SALU_CYCLE_2)
	s_sub_f32 s7, s7, s23
	s_wait_alu 0xfffe
	s_fmac_f32 s35, s6, s10
	s_wait_alu 0xfffe
	s_fmac_f32 s35, s6, s7
	v_cmp_class_f32_e64 s7, s22, 0x204
	s_wait_alu 0xfffe
	s_delay_alu instid0(SALU_CYCLE_1) | instskip(SKIP_2) | instid1(SALU_CYCLE_1)
	s_add_f32 s10, s22, s35
	s_and_b32 s7, s7, exec_lo
	s_wait_alu 0xfffe
	s_sub_f32 s7, s10, s22
	s_cselect_b32 s10, s22, s10
	s_wait_alu 0xfffe
	s_and_b32 s22, s10, 0x7fffffff
	s_sub_f32 s7, s35, s7
	s_wait_alu 0xfffe
	s_cmp_neq_f32 s22, 0x7f800000
	s_delay_alu instid0(SALU_CYCLE_1)
	s_cselect_b32 s7, s7, 0
	s_cmp_eq_f32 s10, 0x42b17218
	s_cselect_b32 s22, 0x37000000, 0
	s_wait_alu 0xfffe
	s_sub_f32 s10, s10, s22
	s_add_f32 s7, s22, s7
	s_wait_alu 0xfffe
	s_delay_alu instid0(SALU_CYCLE_1) | instskip(SKIP_1) | instid1(SALU_CYCLE_2)
	s_mul_f32 s23, s10, 0x3fb8aa3b
	s_wait_alu 0xfffe
	s_xor_b32 s35, s23, 0x80000000
	s_rndne_f32 s41, s23
	s_wait_alu 0xfffe
	s_fmamk_f32 s35, s10, 0x3fb8aa3b, s35
	s_cmp_nlt_f32 s10, 0xc2ce8ed0
	s_sub_f32 s23, s23, s41
	s_wait_alu 0xfffe
	s_fmamk_f32 s35, s10, 0x32a5705f, s35
	s_cselect_b32 vcc_lo, -1, 0
	s_cmp_ngt_f32 s10, 0x42b17218
	s_trunc_f32 s10, s6
	s_wait_alu 0xfffe
	s_add_f32 s23, s23, s35
	s_cvt_i32_f32 s35, s41
	s_wait_alu 0xfffe
	s_delay_alu instid0(SALU_CYCLE_1) | instskip(SKIP_1) | instid1(TRANS32_DEP_1)
	v_s_exp_f32 s23, s23
	s_wait_alu 0xf1ff
	v_ldexp_f32 v1, s23, s35
	s_mul_f32 s23, s6, 0.5
	s_delay_alu instid0(VALU_DEP_1)
	v_cndmask_b32_e32 v1, 0, v1, vcc_lo
	s_cselect_b32 vcc_lo, -1, 0
	s_cmp_eq_f32 s10, s6
	s_wait_alu 0xfffe
	s_trunc_f32 s35, s23
	v_cndmask_b32_e32 v1, 0x7f800000, v1, vcc_lo
	s_cselect_b32 s41, -1, 0
	s_wait_alu 0xfffe
	s_cmp_neq_f32 s35, s23
	s_delay_alu instid0(VALU_DEP_1)
	v_fma_f32 v2, s7, v1, v1
	v_cmp_class_f32_e64 vcc_lo, v1, 0x204
	s_cselect_b32 s22, -1, 0
	s_wait_alu 0xfffe
	s_and_b32 s7, s41, s22
	s_wait_alu 0xfffd
	v_cndmask_b32_e32 v1, v2, v1, vcc_lo
	s_wait_alu 0xfffe
	s_and_b32 s22, s7, exec_lo
	s_cselect_b32 s22, s5, 1.0
	s_cmp_eq_f32 s10, s6
	v_cmp_class_f32_e64 s10, s5, 0x204
	s_wait_alu 0xfffe
	v_bfi_b32 v1, 0x7fffffff, v1, s22
	s_cselect_b32 vcc_lo, -1, 0
	s_cmp_lt_f32 s5, 0
	s_wait_alu 0xfffe
	s_delay_alu instid0(VALU_DEP_1) | instskip(SKIP_3) | instid1(VALU_DEP_1)
	v_cndmask_b32_e32 v2, 0x7fc00000, v1, vcc_lo
	s_cselect_b32 vcc_lo, -1, 0
	s_cmp_eq_f32 s5, 0
	s_wait_alu 0xfffe
	v_cndmask_b32_e32 v1, v1, v2, vcc_lo
	s_cselect_b32 s22, -1, 0
	s_wait_alu 0xfffe
	s_or_b32 vcc_lo, s22, s10
	s_cmp_lt_f32 s6, 0
	s_cselect_b32 s6, -1, 0
	s_wait_alu 0xfffe
	s_xor_b32 s6, s6, s22
	s_wait_alu 0xfffe
	s_and_b32 s6, s6, exec_lo
	s_cselect_b32 s6, 0, 0x7f800000
	s_and_b32 s7, s7, exec_lo
	s_cselect_b32 s7, s5, 0
	s_cmp_o_f32 s5, s5
	s_wait_alu 0xfffe
	v_mov_b32_e32 v2, s7
	s_delay_alu instid0(VALU_DEP_1) | instskip(NEXT) | instid1(VALU_DEP_1)
	v_bfi_b32 v2, 0x7fffffff, s6, v2
	v_cndmask_b32_e32 v1, v1, v2, vcc_lo
	s_cselect_b32 vcc_lo, -1, 0
	s_wait_alu 0xfffe
	s_delay_alu instid0(VALU_DEP_1)
	v_cndmask_b32_e32 v36, 0x7fc00000, v1, vcc_lo
.LBB62_4:
	v_bfe_u32 v35, v0, 10, 10
	s_lshl_b32 s23, ttmp9, 3
	s_load_b96 s[44:46], s[0:1], 0x70
	s_ashr_i32 s35, s34, 31
	s_ashr_i32 s10, s33, 31
	v_dual_mov_b32 v139, 0 :: v_dual_lshlrev_b32 v134, 1, v35
	v_lshlrev_b32_e32 v40, 8, v35
	s_mul_u64 s[12:13], s[8:9], s[12:13]
	s_mov_b32 s41, 0
	s_delay_alu instid0(VALU_DEP_2) | instskip(SKIP_1) | instid1(VALU_DEP_2)
	v_or_b32_e32 v132, 1, v134
	v_add_nc_u32_e32 v136, s23, v134
	v_add_nc_u32_e32 v133, s23, v132
	s_delay_alu instid0(VALU_DEP_2) | instskip(NEXT) | instid1(VALU_DEP_2)
	v_mul_hi_u32 v1, v136, s36
	v_mul_hi_u32 v2, v133, s36
	s_wait_kmcnt 0x0
	s_mul_i32 s6, s34, s45
	s_ashr_i32 s45, s44, 31
	s_delay_alu instid0(VALU_DEP_2)
	v_add_nc_u32_e32 v1, v136, v1
	s_lshr_b64 s[42:43], s[44:45], 2
	s_lshr_b32 s5, s45, 2
	s_wait_alu 0xfffe
	s_ashr_i32 s7, s6, 31
	v_add_nc_u32_e32 v2, v133, v2
	v_lshrrev_b32_e32 v1, s37, v1
	s_delay_alu instid0(VALU_DEP_2) | instskip(NEXT) | instid1(VALU_DEP_2)
	v_lshrrev_b32_e32 v2, s37, v2
	v_mul_lo_u32 v1, v1, s38
	s_delay_alu instid0(VALU_DEP_2) | instskip(NEXT) | instid1(VALU_DEP_2)
	v_mul_lo_u32 v3, v2, s38
	v_sub_nc_u32_e32 v38, v136, v1
	s_delay_alu instid0(VALU_DEP_2) | instskip(NEXT) | instid1(VALU_DEP_2)
	v_sub_nc_u32_e32 v7, v133, v3
	v_mad_co_u64_u32 v[1:2], null, s42, v38, 0
	s_delay_alu instid0(VALU_DEP_2)
	v_mad_co_u64_u32 v[3:4], null, s42, v7, 0
	s_mul_i32 s42, s40, s46
	s_wait_alu 0xfffe
	s_ashr_i32 s43, s42, 31
	s_cmp_eq_u64 s[26:27], 0
	s_wait_alu 0xfffe
	s_add_nc_u64 s[16:17], s[16:17], s[42:43]
	s_delay_alu instid0(SALU_CYCLE_1) | instskip(SKIP_2) | instid1(VALU_DEP_1)
	s_add_nc_u64 s[6:7], s[16:17], s[6:7]
	v_mad_co_u64_u32 v[5:6], null, s5, v38, v[2:3]
	v_mov_b32_e32 v2, v4
	v_mad_co_u64_u32 v[6:7], null, s5, v7, v[2:3]
	s_delay_alu instid0(VALU_DEP_3) | instskip(NEXT) | instid1(VALU_DEP_1)
	v_dual_mov_b32 v2, v5 :: v_dual_and_b32 v135, 0x3ff, v0
	v_dual_mov_b32 v4, v6 :: v_dual_lshlrev_b32 v5, 3, v135
	s_delay_alu instid0(VALU_DEP_2) | instskip(NEXT) | instid1(VALU_DEP_2)
	v_lshlrev_b64_e32 v[0:1], 2, v[1:2]
	v_lshlrev_b64_e32 v[2:3], 2, v[3:4]
	s_wait_alu 0xfffe
	s_delay_alu instid0(VALU_DEP_3) | instskip(SKIP_3) | instid1(VALU_DEP_3)
	v_add_co_u32 v5, s5, s6, v5
	s_wait_alu 0xf1ff
	v_add_co_ci_u32_e64 v6, null, s7, 0, s5
	v_lshl_or_b32 v4, v135, 2, 0x5000
	v_add_co_u32 v0, vcc_lo, v5, v0
	s_wait_alu 0xfffd
	s_delay_alu instid0(VALU_DEP_3)
	v_add_co_ci_u32_e64 v1, null, v6, v1, vcc_lo
	v_add_co_u32 v2, vcc_lo, v5, v2
	s_wait_alu 0xfffd
	v_add_co_ci_u32_e64 v3, null, v6, v3, vcc_lo
	s_clause 0x1
	global_load_b64 v[0:1], v[0:1], off
	global_load_b64 v[2:3], v[2:3], off
	v_add_nc_u32_e32 v5, v4, v40
	v_lshl_add_u32 v4, v132, 7, v4
	s_wait_loadcnt 0x1
	v_fma_mixlo_f16 v1, s4, v1, 0
	v_fma_mixlo_f16 v0, s4, v0, 0
	s_wait_loadcnt 0x0
	v_fma_mixlo_f16 v3, s4, v3, 0
	v_fma_mixlo_f16 v2, s4, v2, 0
	v_lshlrev_b32_e32 v1, 16, v1
	v_and_b32_e32 v0, 0xffff, v0
	s_delay_alu instid0(VALU_DEP_4) | instskip(NEXT) | instid1(VALU_DEP_4)
	v_lshlrev_b32_e32 v3, 16, v3
	v_and_b32_e32 v2, 0xffff, v2
	s_delay_alu instid0(VALU_DEP_3) | instskip(NEXT) | instid1(VALU_DEP_2)
	v_or_b32_e32 v0, v1, v0
	v_or_b32_e32 v1, v3, v2
	ds_store_b32 v5, v0
	ds_store_b32 v4, v1
	s_wait_dscnt 0x0
	s_barrier_signal -1
	s_barrier_wait -1
	global_inv scope:SCOPE_SE
	s_cbranch_scc1 .LBB62_6
; %bb.5:
	s_load_b32 s2, s[0:1], 0xd0
	s_mov_b32 s5, s41
	s_wait_kmcnt 0x0
	s_mul_i32 s2, s2, s40
	s_delay_alu instid0(SALU_CYCLE_1)
	s_add_co_i32 s4, s2, ttmp9
	s_wait_alu 0xfffe
	s_lshl_b64 s[4:5], s[4:5], 2
	s_wait_alu 0xfffe
	s_add_nc_u64 s[4:5], s[26:27], s[4:5]
	s_load_b32 s2, s[4:5], 0x0
.LBB62_6:
	s_clause 0x2
	s_load_b64 s[26:27], s[0:1], 0x8c
	s_load_b128 s[4:7], s[0:1], 0x98
	s_load_b64 s[42:43], s[0:1], 0xa8
	s_xor_b32 s9, s35, s10
	s_mul_i32 s10, s13, s3
	s_ashr_i32 s16, s11, 1
	s_wait_alu 0xfffe
	s_sub_co_i32 s17, s8, s10
	s_add_co_i32 s12, s13, 1
	s_sub_co_i32 s22, s17, s3
	v_lshrrev_b32_e32 v41, 3, v135
	v_lshlrev_b32_e32 v34, 2, v135
	v_mul_u32_u24_e32 v39, 0x90, v135
	v_or_b32_e32 v37, 1, v136
	v_mbcnt_lo_u32_b32 v137, -1, 0
	s_wait_kmcnt 0x0
	s_ashr_i32 s8, s26, 2
	s_ashr_i32 s26, s6, 2
	s_cmp_ge_u32 s17, s3
	s_mul_u64 s[4:5], s[4:5], s[40:41]
	s_cselect_b32 s6, s12, s13
	s_wait_alu 0xfffe
	s_cselect_b32 s12, s22, s17
	s_add_co_i32 s13, s6, 1
	s_cmp_ge_u32 s12, s3
	s_mul_u64 s[10:11], s[42:43], s[40:41]
	s_cselect_b32 s3, s13, s6
	s_and_b32 s22, ttmp7, 0xffff
	s_xor_b32 s6, s3, s9
	s_add_nc_u64 s[4:5], s[18:19], s[4:5]
	s_wait_alu 0xfffe
	s_sub_co_i32 s9, s6, s9
	s_add_nc_u64 s[10:11], s[20:21], s[10:11]
	s_mul_i32 s6, s9, s27
	s_mul_i32 s12, s9, s7
	s_add_co_i32 s3, s2, 0xffffff80
	s_lshl_b32 s20, s22, 7
	s_wait_alu 0xfffe
	s_ashr_i32 s7, s6, 31
	s_ashr_i32 s13, s12, 31
	s_cmp_ge_i32 s20, s3
	s_wait_alu 0xfffe
	s_add_nc_u64 s[4:5], s[4:5], s[6:7]
	s_add_nc_u64 s[42:43], s[10:11], s[12:13]
	s_cbranch_scc1 .LBB62_27
; %bb.7:
	v_lshl_add_u32 v1, v35, 2, v41
	s_ashr_i32 s9, s8, 31
	s_lshl_b32 s6, s8, 4
	s_cmp_lg_u64 s[14:15], 0
	v_mul_hi_u32 v3, s36, v37
	v_mul_lo_u32 v0, s8, v1
	v_mul_lo_u32 v4, s26, v1
	s_cselect_b32 s10, -1, 0
	s_lshl_b32 s7, s26, 4
	v_mov_b32_e32 v66, 0
	v_dual_mov_b32 v69, 0xfeffffff :: v_dual_and_b32 v18, 28, v34
	v_add_nc_u32_e32 v3, v37, v3
	s_wait_alu 0xfffe
	v_dual_mov_b32 v81, 0 :: v_dual_add_nc_u32 v2, s6, v0
	v_add_nc_u32_e32 v20, s7, v4
	v_dual_mov_b32 v68, 0xfeffffff :: v_dual_lshlrev_b32 v5, 2, v18
	s_delay_alu instid0(VALU_DEP_3) | instskip(NEXT) | instid1(VALU_DEP_3)
	v_dual_mov_b32 v67, 0 :: v_dual_add_nc_u32 v6, s6, v2
	v_add_nc_u32_e32 v22, s7, v20
	v_lshrrev_b32_e32 v3, s37, v3
	s_delay_alu instid0(VALU_DEP_4) | instskip(NEXT) | instid1(VALU_DEP_4)
	v_mad_u32_u24 v46, 0x90, v1, v5
	v_add_nc_u32_e32 v8, s6, v6
	v_lshl_or_b32 v47, v1, 7, v5
	v_add_nc_u32_e32 v24, s7, v22
	v_mul_lo_u32 v7, v3, s38
	v_ashrrev_i32_e32 v1, 31, v0
	v_add_nc_u32_e32 v10, s6, v8
	v_ashrrev_i32_e32 v5, 31, v4
	v_add_nc_u32_e32 v26, s7, v24
	v_ashrrev_i32_e32 v3, 31, v2
	v_ashrrev_i32_e32 v9, 31, v8
	v_add_nc_u32_e32 v12, s6, v10
	v_sub_nc_u32_e32 v11, v37, v7
	v_add_nc_u32_e32 v28, s7, v26
	v_ashrrev_i32_e32 v7, 31, v6
	v_ashrrev_i32_e32 v21, 31, v20
	v_add_nc_u32_e32 v14, s6, v12
	v_mul_lo_u32 v55, v11, s16
	v_add_nc_u32_e32 v30, s7, v28
	v_ashrrev_i32_e32 v11, 31, v10
	v_ashrrev_i32_e32 v13, 31, v12
	v_add_nc_u32_e32 v16, s6, v14
	v_ashrrev_i32_e32 v15, 31, v14
	v_add_nc_u32_e32 v32, s7, v30
	v_ashrrev_i32_e32 v23, 31, v22
	v_ashrrev_i32_e32 v25, 31, v24
	;; [unrolled: 1-line block ×7, first 2 shown]
	v_lshl_add_u32 v45, v35, 9, 0x4800
	v_mul_lo_u32 v44, v38, s16
	v_lshlrev_b64_e32 v[0:1], 2, v[0:1]
	v_lshlrev_b32_e32 v63, 2, v18
	v_lshlrev_b64_e32 v[2:3], 2, v[2:3]
	v_lshlrev_b64_e32 v[6:7], 2, v[6:7]
	;; [unrolled: 1-line block ×15, first 2 shown]
	v_dual_mov_b32 v80, 0 :: v_dual_add_nc_u32 v43, 0x5000, v40
	v_add_nc_u32_e32 v48, 0x900, v46
	v_add_nc_u32_e32 v49, 0x1200, v46
	;; [unrolled: 1-line block ×15, first 2 shown]
	v_mbcnt_lo_u32_b32 v65, -1, 0
	s_ashr_i32 s27, s26, 31
	s_add_nc_u64 s[6:7], s[0:1], 0xd0
.LBB62_8:                               ; =>This Inner Loop Header: Depth=1
	s_ashr_i32 s21, s20, 31
	s_wait_alu 0xfffe
	s_mul_u64 s[12:13], s[20:21], s[8:9]
	s_wait_alu 0xfffe
	s_lshl_b64 s[12:13], s[12:13], 2
	s_wait_alu 0xfffe
	s_add_nc_u64 s[12:13], s[4:5], s[12:13]
	s_wait_alu 0xfffe
	v_add_co_u32 v4, vcc_lo, s12, v0
	s_wait_alu 0xfffd
	v_add_co_ci_u32_e64 v5, null, s13, v1, vcc_lo
	v_add_co_u32 v42, vcc_lo, s12, v2
	s_wait_alu 0xfffd
	v_add_co_ci_u32_e64 v70, null, s13, v3, vcc_lo
	;; [unrolled: 3-line block ×4, first 2 shown]
	s_clause 0x1
	global_load_b128 v[70:73], v[4:5], off
	global_load_b128 v[74:77], v[74:75], off
	v_add_co_u32 v4, vcc_lo, s12, v6
	s_wait_alu 0xfffd
	v_add_co_ci_u32_e64 v5, null, s13, v7, vcc_lo
	v_add_co_u32 v42, vcc_lo, s12, v8
	s_wait_alu 0xfffd
	v_add_co_ci_u32_e64 v79, null, s13, v9, vcc_lo
	;; [unrolled: 3-line block ×12, first 2 shown]
	s_clause 0x5
	global_load_b128 v[82:85], v[4:5], off
	global_load_b128 v[86:89], v[78:79], off
	;; [unrolled: 1-line block ×6, first 2 shown]
	s_and_not1_b32 vcc_lo, exec_lo, s10
	s_wait_loadcnt 0x7
	ds_store_b128 v46, v[70:73]
	s_wait_loadcnt 0x6
	ds_store_b128 v48, v[74:77]
	;; [unrolled: 2-line block ×8, first 2 shown]
	s_wait_dscnt 0x0
	s_barrier_signal -1
	s_barrier_wait -1
	global_inv scope:SCOPE_SE
	ds_load_b128 v[82:85], v39
	ds_load_b128 v[86:89], v43
	ds_load_b128 v[90:93], v43 offset:128
	ds_load_b128 v[94:97], v39 offset:4608
	v_dual_mov_b32 v73, 0 :: v_dual_mov_b32 v42, 0
	ds_load_b128 v[98:101], v39 offset:9216
	ds_load_b128 v[102:105], v39 offset:13824
	s_wait_dscnt 0x4
	;;#ASMSTART
	v_dot2_f32_f16 v73, v82, v86, v73
	;;#ASMEND
	;;#ASMSTART
	v_dot2_f32_f16 v73, v83, v87, v73
	;;#ASMEND
	;;#ASMSTART
	v_dot2_f32_f16 v73, v84, v88, v73
	;;#ASMEND
	;;#ASMSTART
	v_dot2_f32_f16 v73, v85, v89, v73
	;;#ASMEND
	s_wait_dscnt 0x3
	;;#ASMSTART
	v_dot2_f32_f16 v42, v82, v90, v42
	;;#ASMEND
	;;#ASMSTART
	v_dot2_f32_f16 v42, v83, v91, v42
	;;#ASMEND
	v_dual_mov_b32 v74, 0 :: v_dual_mov_b32 v75, 0
	;;#ASMSTART
	v_dot2_f32_f16 v42, v84, v92, v42
	;;#ASMEND
	;;#ASMSTART
	v_dot2_f32_f16 v42, v85, v93, v42
	;;#ASMEND
	s_wait_dscnt 0x2
	;;#ASMSTART
	v_dot2_f32_f16 v74, v94, v86, v74
	;;#ASMEND
	;;#ASMSTART
	v_dot2_f32_f16 v74, v95, v87, v74
	;;#ASMEND
	v_dual_mov_b32 v70, 0 :: v_dual_mov_b32 v71, 0
	;;#ASMSTART
	v_dot2_f32_f16 v74, v96, v88, v74
	;;#ASMEND
	;;#ASMSTART
	v_dot2_f32_f16 v74, v97, v89, v74
	;;#ASMEND
	;; [unrolled: 3-line block ×6, first 2 shown]
	s_wait_dscnt 0x1
	;;#ASMSTART
	v_dot2_f32_f16 v75, v98, v86, v75
	;;#ASMEND
	;;#ASMSTART
	v_dot2_f32_f16 v75, v99, v87, v75
	;;#ASMEND
	;; [unrolled: 3-line block ×6, first 2 shown]
	v_mov_b32_e32 v76, 0
	;;#ASMSTART
	v_dot2_f32_f16 v71, v100, v92, v71
	;;#ASMEND
	;;#ASMSTART
	v_dot2_f32_f16 v71, v101, v93, v71
	;;#ASMEND
	s_wait_dscnt 0x0
	;;#ASMSTART
	v_dot2_f32_f16 v76, v102, v86, v76
	;;#ASMEND
	;;#ASMSTART
	v_dot2_f32_f16 v76, v103, v87, v76
	;;#ASMEND
	v_dual_mov_b32 v72, 0 :: v_dual_mov_b32 v77, 0
	;;#ASMSTART
	v_dot2_f32_f16 v76, v104, v88, v76
	;;#ASMEND
	;;#ASMSTART
	v_dot2_f32_f16 v76, v105, v89, v76
	;;#ASMEND
	;; [unrolled: 3-line block ×6, first 2 shown]
	ds_load_b128 v[82:85], v39 offset:16
	ds_load_b128 v[86:89], v43 offset:16
	;; [unrolled: 1-line block ×6, first 2 shown]
	s_wait_dscnt 0x4
	;;#ASMSTART
	v_dot2_f32_f16 v73, v82, v86, v73
	;;#ASMEND
	;;#ASMSTART
	v_dot2_f32_f16 v73, v83, v87, v73
	;;#ASMEND
	;;#ASMSTART
	v_dot2_f32_f16 v73, v84, v88, v73
	;;#ASMEND
	;;#ASMSTART
	v_dot2_f32_f16 v73, v85, v89, v73
	;;#ASMEND
	s_wait_dscnt 0x3
	;;#ASMSTART
	v_dot2_f32_f16 v42, v82, v90, v42
	;;#ASMEND
	;;#ASMSTART
	v_dot2_f32_f16 v42, v83, v91, v42
	;;#ASMEND
	;;#ASMSTART
	v_dot2_f32_f16 v42, v84, v92, v42
	;;#ASMEND
	;;#ASMSTART
	v_dot2_f32_f16 v42, v85, v93, v42
	;;#ASMEND
	;; [unrolled: 13-line block ×3, first 2 shown]
	;;#ASMSTART
	v_dot2_f32_f16 v70, v94, v90, v70
	;;#ASMEND
	;;#ASMSTART
	v_dot2_f32_f16 v70, v95, v91, v70
	;;#ASMEND
	;; [unrolled: 3-line block ×4, first 2 shown]
	s_wait_dscnt 0x1
	;;#ASMSTART
	v_dot2_f32_f16 v75, v98, v86, v75
	;;#ASMEND
	;;#ASMSTART
	v_dot2_f32_f16 v75, v99, v87, v75
	;;#ASMEND
	;;#ASMSTART
	v_dot2_f32_f16 v75, v100, v88, v75
	;;#ASMEND
	;;#ASMSTART
	v_dot2_f32_f16 v75, v101, v89, v75
	;;#ASMEND
	;;#ASMSTART
	v_dot2_f32_f16 v71, v98, v90, v71
	;;#ASMEND
	;;#ASMSTART
	v_dot2_f32_f16 v71, v99, v91, v71
	;;#ASMEND
	;;#ASMSTART
	v_dot2_f32_f16 v71, v100, v92, v71
	;;#ASMEND
	;;#ASMSTART
	v_dot2_f32_f16 v71, v101, v93, v71
	;;#ASMEND
	s_wait_dscnt 0x0
	;;#ASMSTART
	v_dot2_f32_f16 v76, v102, v86, v76
	;;#ASMEND
	;;#ASMSTART
	v_dot2_f32_f16 v76, v103, v87, v76
	;;#ASMEND
	;; [unrolled: 3-line block ×8, first 2 shown]
	ds_load_b128 v[82:85], v39 offset:32
	ds_load_b128 v[86:89], v43 offset:32
	;; [unrolled: 1-line block ×6, first 2 shown]
	s_wait_dscnt 0x4
	;;#ASMSTART
	v_dot2_f32_f16 v73, v82, v86, v73
	;;#ASMEND
	;;#ASMSTART
	v_dot2_f32_f16 v73, v83, v87, v73
	;;#ASMEND
	;;#ASMSTART
	v_dot2_f32_f16 v73, v84, v88, v73
	;;#ASMEND
	;;#ASMSTART
	v_dot2_f32_f16 v73, v85, v89, v73
	;;#ASMEND
	s_wait_dscnt 0x3
	;;#ASMSTART
	v_dot2_f32_f16 v42, v82, v90, v42
	;;#ASMEND
	;;#ASMSTART
	v_dot2_f32_f16 v42, v83, v91, v42
	;;#ASMEND
	;;#ASMSTART
	v_dot2_f32_f16 v42, v84, v92, v42
	;;#ASMEND
	;;#ASMSTART
	v_dot2_f32_f16 v42, v85, v93, v42
	;;#ASMEND
	;; [unrolled: 13-line block ×3, first 2 shown]
	;;#ASMSTART
	v_dot2_f32_f16 v70, v94, v90, v70
	;;#ASMEND
	;;#ASMSTART
	v_dot2_f32_f16 v70, v95, v91, v70
	;;#ASMEND
	;; [unrolled: 3-line block ×4, first 2 shown]
	s_wait_dscnt 0x1
	;;#ASMSTART
	v_dot2_f32_f16 v75, v98, v86, v75
	;;#ASMEND
	;;#ASMSTART
	v_dot2_f32_f16 v75, v99, v87, v75
	;;#ASMEND
	;; [unrolled: 3-line block ×8, first 2 shown]
	s_wait_dscnt 0x0
	;;#ASMSTART
	v_dot2_f32_f16 v76, v102, v86, v76
	;;#ASMEND
	;;#ASMSTART
	v_dot2_f32_f16 v76, v103, v87, v76
	;;#ASMEND
	;; [unrolled: 3-line block ×8, first 2 shown]
	ds_load_b128 v[82:85], v39 offset:48
	ds_load_b128 v[86:89], v43 offset:48
	;; [unrolled: 1-line block ×6, first 2 shown]
	s_wait_dscnt 0x4
	;;#ASMSTART
	v_dot2_f32_f16 v73, v82, v86, v73
	;;#ASMEND
	;;#ASMSTART
	v_dot2_f32_f16 v73, v83, v87, v73
	;;#ASMEND
	;;#ASMSTART
	v_dot2_f32_f16 v73, v84, v88, v73
	;;#ASMEND
	;;#ASMSTART
	v_dot2_f32_f16 v73, v85, v89, v73
	;;#ASMEND
	s_wait_dscnt 0x3
	;;#ASMSTART
	v_dot2_f32_f16 v42, v82, v90, v42
	;;#ASMEND
	;;#ASMSTART
	v_dot2_f32_f16 v42, v83, v91, v42
	;;#ASMEND
	;;#ASMSTART
	v_dot2_f32_f16 v42, v84, v92, v42
	;;#ASMEND
	;;#ASMSTART
	v_dot2_f32_f16 v42, v85, v93, v42
	;;#ASMEND
	;; [unrolled: 13-line block ×3, first 2 shown]
	;;#ASMSTART
	v_dot2_f32_f16 v70, v94, v90, v70
	;;#ASMEND
	;;#ASMSTART
	v_dot2_f32_f16 v70, v95, v91, v70
	;;#ASMEND
	;; [unrolled: 3-line block ×4, first 2 shown]
	s_wait_dscnt 0x1
	;;#ASMSTART
	v_dot2_f32_f16 v75, v98, v86, v75
	;;#ASMEND
	;;#ASMSTART
	v_dot2_f32_f16 v75, v99, v87, v75
	;;#ASMEND
	;; [unrolled: 3-line block ×8, first 2 shown]
	s_wait_dscnt 0x0
	;;#ASMSTART
	v_dot2_f32_f16 v76, v102, v86, v76
	;;#ASMEND
	;;#ASMSTART
	v_dot2_f32_f16 v76, v103, v87, v76
	;;#ASMEND
	;; [unrolled: 3-line block ×8, first 2 shown]
	ds_load_b128 v[82:85], v39 offset:64
	ds_load_b128 v[86:89], v43 offset:64
	;; [unrolled: 1-line block ×6, first 2 shown]
	s_wait_dscnt 0x4
	;;#ASMSTART
	v_dot2_f32_f16 v73, v82, v86, v73
	;;#ASMEND
	;;#ASMSTART
	v_dot2_f32_f16 v73, v83, v87, v73
	;;#ASMEND
	;;#ASMSTART
	v_dot2_f32_f16 v73, v84, v88, v73
	;;#ASMEND
	;;#ASMSTART
	v_dot2_f32_f16 v73, v85, v89, v73
	;;#ASMEND
	s_wait_dscnt 0x3
	;;#ASMSTART
	v_dot2_f32_f16 v42, v82, v90, v42
	;;#ASMEND
	;;#ASMSTART
	v_dot2_f32_f16 v42, v83, v91, v42
	;;#ASMEND
	;;#ASMSTART
	v_dot2_f32_f16 v42, v84, v92, v42
	;;#ASMEND
	;;#ASMSTART
	v_dot2_f32_f16 v42, v85, v93, v42
	;;#ASMEND
	s_wait_dscnt 0x2
	;;#ASMSTART
	v_dot2_f32_f16 v74, v94, v86, v74
	;;#ASMEND
	;;#ASMSTART
	v_dot2_f32_f16 v74, v95, v87, v74
	;;#ASMEND
	;;#ASMSTART
	v_dot2_f32_f16 v74, v96, v88, v74
	;;#ASMEND
	;;#ASMSTART
	v_dot2_f32_f16 v74, v97, v89, v74
	;;#ASMEND
	;;#ASMSTART
	v_dot2_f32_f16 v70, v94, v90, v70
	;;#ASMEND
	;;#ASMSTART
	v_dot2_f32_f16 v70, v95, v91, v70
	;;#ASMEND
	;; [unrolled: 3-line block ×4, first 2 shown]
	s_wait_dscnt 0x1
	;;#ASMSTART
	v_dot2_f32_f16 v75, v98, v86, v75
	;;#ASMEND
	;;#ASMSTART
	v_dot2_f32_f16 v75, v99, v87, v75
	;;#ASMEND
	;; [unrolled: 3-line block ×8, first 2 shown]
	s_wait_dscnt 0x0
	;;#ASMSTART
	v_dot2_f32_f16 v76, v102, v86, v76
	;;#ASMEND
	;;#ASMSTART
	v_dot2_f32_f16 v76, v103, v87, v76
	;;#ASMEND
	;;#ASMSTART
	v_dot2_f32_f16 v76, v104, v88, v76
	;;#ASMEND
	;;#ASMSTART
	v_dot2_f32_f16 v76, v105, v89, v76
	;;#ASMEND
	;;#ASMSTART
	v_dot2_f32_f16 v72, v102, v90, v72
	;;#ASMEND
	;;#ASMSTART
	v_dot2_f32_f16 v72, v103, v91, v72
	;;#ASMEND
	;;#ASMSTART
	v_dot2_f32_f16 v72, v104, v92, v72
	;;#ASMEND
	;;#ASMSTART
	v_dot2_f32_f16 v72, v105, v93, v72
	;;#ASMEND
	ds_load_b128 v[82:85], v39 offset:80
	ds_load_b128 v[86:89], v43 offset:80
	;; [unrolled: 1-line block ×6, first 2 shown]
	s_wait_dscnt 0x4
	;;#ASMSTART
	v_dot2_f32_f16 v73, v82, v86, v73
	;;#ASMEND
	;;#ASMSTART
	v_dot2_f32_f16 v73, v83, v87, v73
	;;#ASMEND
	;;#ASMSTART
	v_dot2_f32_f16 v73, v84, v88, v73
	;;#ASMEND
	;;#ASMSTART
	v_dot2_f32_f16 v73, v85, v89, v73
	;;#ASMEND
	s_wait_dscnt 0x3
	;;#ASMSTART
	v_dot2_f32_f16 v42, v82, v90, v42
	;;#ASMEND
	;;#ASMSTART
	v_dot2_f32_f16 v42, v83, v91, v42
	;;#ASMEND
	;;#ASMSTART
	v_dot2_f32_f16 v42, v84, v92, v42
	;;#ASMEND
	;;#ASMSTART
	v_dot2_f32_f16 v42, v85, v93, v42
	;;#ASMEND
	;; [unrolled: 13-line block ×3, first 2 shown]
	;;#ASMSTART
	v_dot2_f32_f16 v70, v94, v90, v70
	;;#ASMEND
	;;#ASMSTART
	v_dot2_f32_f16 v70, v95, v91, v70
	;;#ASMEND
	;; [unrolled: 3-line block ×4, first 2 shown]
	s_wait_dscnt 0x1
	;;#ASMSTART
	v_dot2_f32_f16 v75, v98, v86, v75
	;;#ASMEND
	;;#ASMSTART
	v_dot2_f32_f16 v75, v99, v87, v75
	;;#ASMEND
	;; [unrolled: 3-line block ×8, first 2 shown]
	s_wait_dscnt 0x0
	;;#ASMSTART
	v_dot2_f32_f16 v76, v102, v86, v76
	;;#ASMEND
	;;#ASMSTART
	v_dot2_f32_f16 v76, v103, v87, v76
	;;#ASMEND
	;;#ASMSTART
	v_dot2_f32_f16 v76, v104, v88, v76
	;;#ASMEND
	;;#ASMSTART
	v_dot2_f32_f16 v76, v105, v89, v76
	;;#ASMEND
	;;#ASMSTART
	v_dot2_f32_f16 v72, v102, v90, v72
	;;#ASMEND
	;;#ASMSTART
	v_dot2_f32_f16 v72, v103, v91, v72
	;;#ASMEND
	;;#ASMSTART
	v_dot2_f32_f16 v72, v104, v92, v72
	;;#ASMEND
	;;#ASMSTART
	v_dot2_f32_f16 v72, v105, v93, v72
	;;#ASMEND
	ds_load_b128 v[82:85], v39 offset:96
	ds_load_b128 v[86:89], v43 offset:96
	;; [unrolled: 1-line block ×6, first 2 shown]
	s_wait_dscnt 0x4
	;;#ASMSTART
	v_dot2_f32_f16 v73, v82, v86, v73
	;;#ASMEND
	;;#ASMSTART
	v_dot2_f32_f16 v73, v83, v87, v73
	;;#ASMEND
	;;#ASMSTART
	v_dot2_f32_f16 v73, v84, v88, v73
	;;#ASMEND
	;;#ASMSTART
	v_dot2_f32_f16 v73, v85, v89, v73
	;;#ASMEND
	s_wait_dscnt 0x3
	;;#ASMSTART
	v_dot2_f32_f16 v42, v82, v90, v42
	;;#ASMEND
	;;#ASMSTART
	v_dot2_f32_f16 v42, v83, v91, v42
	;;#ASMEND
	;;#ASMSTART
	v_dot2_f32_f16 v42, v84, v92, v42
	;;#ASMEND
	;;#ASMSTART
	v_dot2_f32_f16 v42, v85, v93, v42
	;;#ASMEND
	;; [unrolled: 13-line block ×3, first 2 shown]
	;;#ASMSTART
	v_dot2_f32_f16 v70, v94, v90, v70
	;;#ASMEND
	;;#ASMSTART
	v_dot2_f32_f16 v70, v95, v91, v70
	;;#ASMEND
	;; [unrolled: 3-line block ×4, first 2 shown]
	s_wait_dscnt 0x1
	;;#ASMSTART
	v_dot2_f32_f16 v75, v98, v86, v75
	;;#ASMEND
	;;#ASMSTART
	v_dot2_f32_f16 v75, v99, v87, v75
	;;#ASMEND
	;; [unrolled: 3-line block ×8, first 2 shown]
	s_wait_dscnt 0x0
	;;#ASMSTART
	v_dot2_f32_f16 v76, v102, v86, v76
	;;#ASMEND
	;;#ASMSTART
	v_dot2_f32_f16 v76, v103, v87, v76
	;;#ASMEND
	;; [unrolled: 3-line block ×8, first 2 shown]
	ds_load_b128 v[82:85], v39 offset:112
	ds_load_b128 v[88:91], v43 offset:112
	;; [unrolled: 1-line block ×6, first 2 shown]
	s_wait_dscnt 0x4
	;;#ASMSTART
	v_dot2_f32_f16 v73, v82, v88, v73
	;;#ASMEND
	;;#ASMSTART
	v_dot2_f32_f16 v73, v83, v89, v73
	;;#ASMEND
	;;#ASMSTART
	v_dot2_f32_f16 v73, v84, v90, v73
	;;#ASMEND
	;;#ASMSTART
	v_dot2_f32_f16 v73, v85, v91, v73
	;;#ASMEND
	s_wait_dscnt 0x3
	;;#ASMSTART
	v_dot2_f32_f16 v42, v82, v92, v42
	;;#ASMEND
	;;#ASMSTART
	v_dot2_f32_f16 v42, v83, v93, v42
	;;#ASMEND
	;; [unrolled: 3-line block ×4, first 2 shown]
	s_wait_dscnt 0x2
	;;#ASMSTART
	v_dot2_f32_f16 v74, v96, v88, v74
	;;#ASMEND
	;;#ASMSTART
	v_dot2_f32_f16 v74, v97, v89, v74
	;;#ASMEND
	;; [unrolled: 3-line block ×3, first 2 shown]
	v_add_nc_u32_e32 v87, s20, v135
	;;#ASMSTART
	v_dot2_f32_f16 v74, v99, v91, v74
	;;#ASMEND
	;;#ASMSTART
	v_dot2_f32_f16 v70, v96, v92, v70
	;;#ASMEND
	;; [unrolled: 3-line block ×5, first 2 shown]
	s_wait_dscnt 0x1
	;;#ASMSTART
	v_dot2_f32_f16 v75, v100, v88, v75
	;;#ASMEND
	;;#ASMSTART
	v_dot2_f32_f16 v75, v101, v89, v75
	;;#ASMEND
	v_add_nc_u32_e32 v4, v87, v44
	;;#ASMSTART
	v_dot2_f32_f16 v75, v102, v90, v75
	;;#ASMEND
	;;#ASMSTART
	v_dot2_f32_f16 v75, v103, v91, v75
	;;#ASMEND
	;; [unrolled: 3-line block ×6, first 2 shown]
	s_wait_dscnt 0x0
	;;#ASMSTART
	v_dot2_f32_f16 v76, v104, v88, v76
	;;#ASMEND
	v_ashrrev_i32_e32 v5, 31, v4
	;;#ASMSTART
	v_dot2_f32_f16 v76, v105, v89, v76
	;;#ASMEND
	;;#ASMSTART
	v_dot2_f32_f16 v76, v106, v90, v76
	;;#ASMEND
	;; [unrolled: 3-line block ×7, first 2 shown]
	s_wait_alu 0xfffe
	s_cbranch_vccnz .LBB62_10
; %bb.9:                                ;   in Loop: Header=BB62_8 Depth=1
	v_lshlrev_b64_e32 v[77:78], 1, v[4:5]
	s_delay_alu instid0(VALU_DEP_1) | instskip(SKIP_1) | instid1(VALU_DEP_2)
	v_add_co_u32 v77, vcc_lo, s14, v77
	s_wait_alu 0xfffd
	v_add_co_ci_u32_e64 v78, null, s15, v78, vcc_lo
	global_load_u16 v77, v[77:78], off
	s_wait_loadcnt 0x0
	v_cvt_f32_f16_e32 v77, v77
	s_delay_alu instid0(VALU_DEP_1)
	v_mul_f32_e32 v77, v36, v77
.LBB62_10:                              ;   in Loop: Header=BB62_8 Depth=1
	v_mov_b32_e32 v78, 0
	v_mov_b32_e32 v82, 0
	s_and_not1_b32 vcc_lo, exec_lo, s10
	s_wait_alu 0xfffe
	s_cbranch_vccnz .LBB62_12
; %bb.11:                               ;   in Loop: Header=BB62_8 Depth=1
	v_lshlrev_b64_e32 v[82:83], 1, v[4:5]
	s_delay_alu instid0(VALU_DEP_1) | instskip(SKIP_1) | instid1(VALU_DEP_2)
	v_add_co_u32 v82, vcc_lo, s14, v82
	s_wait_alu 0xfffd
	v_add_co_ci_u32_e64 v83, null, s15, v83, vcc_lo
	global_load_u16 v79, v[82:83], off offset:64
	s_wait_loadcnt 0x0
	v_cvt_f32_f16_e32 v79, v79
	s_delay_alu instid0(VALU_DEP_1)
	v_mul_f32_e32 v82, v36, v79
.LBB62_12:                              ;   in Loop: Header=BB62_8 Depth=1
	s_and_not1_b32 vcc_lo, exec_lo, s10
	s_wait_alu 0xfffe
	s_cbranch_vccnz .LBB62_14
; %bb.13:                               ;   in Loop: Header=BB62_8 Depth=1
	v_lshlrev_b64_e32 v[78:79], 1, v[4:5]
	s_delay_alu instid0(VALU_DEP_1) | instskip(SKIP_1) | instid1(VALU_DEP_2)
	v_add_co_u32 v78, vcc_lo, s14, v78
	s_wait_alu 0xfffd
	v_add_co_ci_u32_e64 v79, null, s15, v79, vcc_lo
	global_load_u16 v78, v[78:79], off offset:128
	s_wait_loadcnt 0x0
	v_cvt_f32_f16_e32 v78, v78
	s_delay_alu instid0(VALU_DEP_1)
	v_mul_f32_e32 v78, v36, v78
.LBB62_14:                              ;   in Loop: Header=BB62_8 Depth=1
	v_mov_b32_e32 v79, 0
	v_mov_b32_e32 v83, 0
	s_and_not1_b32 vcc_lo, exec_lo, s10
	s_wait_alu 0xfffe
	s_cbranch_vccnz .LBB62_16
; %bb.15:                               ;   in Loop: Header=BB62_8 Depth=1
	v_lshlrev_b64_e32 v[4:5], 1, v[4:5]
	s_delay_alu instid0(VALU_DEP_1) | instskip(SKIP_1) | instid1(VALU_DEP_2)
	v_add_co_u32 v4, vcc_lo, s14, v4
	s_wait_alu 0xfffd
	v_add_co_ci_u32_e64 v5, null, s15, v5, vcc_lo
	global_load_u16 v4, v[4:5], off offset:192
	s_wait_loadcnt 0x0
	v_cvt_f32_f16_e32 v4, v4
	s_delay_alu instid0(VALU_DEP_1)
	v_mul_f32_e32 v83, v36, v4
.LBB62_16:                              ;   in Loop: Header=BB62_8 Depth=1
	v_xor_b32_e32 v4, 16, v65
	v_dual_add_f32 v73, v73, v77 :: v_dual_add_f32 v74, v74, v82
	s_delay_alu instid0(VALU_DEP_2) | instskip(SKIP_1) | instid1(VALU_DEP_3)
	v_cmp_gt_i32_e32 vcc_lo, 32, v4
	v_add_f32_e32 v75, v75, v78
	v_dual_add_f32 v5, 0x40051340, v73 :: v_dual_add_f32 v78, 0x40051340, v74
	s_wait_alu 0xfffd
	v_dual_cndmask_b32 v4, v65, v4 :: v_dual_add_f32 v77, v76, v83
	s_delay_alu instid0(VALU_DEP_3) | instskip(NEXT) | instid1(VALU_DEP_3)
	v_add_f32_e32 v76, 0x40051340, v75
	v_max3_num_f32 v5, v69, v5, v78
	s_delay_alu instid0(VALU_DEP_3) | instskip(NEXT) | instid1(VALU_DEP_4)
	v_lshlrev_b32_e32 v82, 2, v4
	v_add_f32_e32 v78, 0x40051340, v77
	s_delay_alu instid0(VALU_DEP_1)
	v_max3_num_f32 v4, v5, v76, v78
	v_xor_b32_e32 v76, 8, v65
	ds_bpermute_b32 v5, v82, v4
	v_cmp_gt_i32_e32 vcc_lo, 32, v76
	s_wait_alu 0xfffd
	v_cndmask_b32_e32 v76, v65, v76, vcc_lo
	s_delay_alu instid0(VALU_DEP_1) | instskip(SKIP_1) | instid1(VALU_DEP_1)
	v_lshlrev_b32_e32 v83, 2, v76
	v_xor_b32_e32 v76, 4, v65
	v_cmp_gt_i32_e32 vcc_lo, 32, v76
	s_wait_dscnt 0x0
	v_max_num_f32_e32 v5, v5, v5
	s_wait_alu 0xfffd
	v_cndmask_b32_e32 v76, v65, v76, vcc_lo
	s_delay_alu instid0(VALU_DEP_2) | instskip(NEXT) | instid1(VALU_DEP_2)
	v_max_num_f32_e32 v4, v4, v5
	v_lshlrev_b32_e32 v84, 2, v76
	v_xor_b32_e32 v76, 2, v65
	ds_bpermute_b32 v5, v83, v4
	v_cmp_gt_i32_e32 vcc_lo, 32, v76
	s_wait_alu 0xfffd
	v_cndmask_b32_e32 v76, v65, v76, vcc_lo
	s_delay_alu instid0(VALU_DEP_1) | instskip(SKIP_1) | instid1(VALU_DEP_1)
	v_lshlrev_b32_e32 v78, 2, v76
	v_xor_b32_e32 v76, 1, v65
	v_cmp_gt_i32_e32 vcc_lo, 32, v76
	s_wait_dscnt 0x0
	v_max_num_f32_e32 v5, v5, v5
	s_wait_alu 0xfffd
	v_cndmask_b32_e32 v76, v65, v76, vcc_lo
	s_delay_alu instid0(VALU_DEP_2) | instskip(SKIP_1) | instid1(VALU_DEP_2)
	v_max_num_f32_e32 v4, v4, v5
	s_and_not1_b32 vcc_lo, exec_lo, s10
	v_lshlrev_b32_e32 v76, 2, v76
	ds_bpermute_b32 v5, v84, v4
	s_wait_dscnt 0x0
	v_max_num_f32_e32 v5, v5, v5
	s_delay_alu instid0(VALU_DEP_1) | instskip(SKIP_3) | instid1(VALU_DEP_1)
	v_max_num_f32_e32 v4, v4, v5
	ds_bpermute_b32 v5, v78, v4
	s_wait_dscnt 0x0
	v_max_num_f32_e32 v5, v5, v5
	v_dual_max_num_f32 v85, v4, v5 :: v_dual_add_nc_u32 v4, v87, v55
	ds_bpermute_b32 v86, v76, v85
	v_ashrrev_i32_e32 v5, 31, v4
	s_wait_alu 0xfffe
	s_cbranch_vccnz .LBB62_18
; %bb.17:                               ;   in Loop: Header=BB62_8 Depth=1
	s_delay_alu instid0(VALU_DEP_1) | instskip(NEXT) | instid1(VALU_DEP_1)
	v_lshlrev_b64_e32 v[87:88], 1, v[4:5]
	v_add_co_u32 v87, vcc_lo, s14, v87
	s_wait_alu 0xfffd
	s_delay_alu instid0(VALU_DEP_2) | instskip(SKIP_3) | instid1(VALU_DEP_1)
	v_add_co_ci_u32_e64 v88, null, s15, v88, vcc_lo
	global_load_u16 v79, v[87:88], off
	s_wait_loadcnt 0x0
	v_cvt_f32_f16_e32 v79, v79
	v_mul_f32_e32 v79, v36, v79
.LBB62_18:                              ;   in Loop: Header=BB62_8 Depth=1
	v_dual_mov_b32 v87, 0 :: v_dual_mov_b32 v88, 0
	s_and_not1_b32 vcc_lo, exec_lo, s10
	s_wait_alu 0xfffe
	s_cbranch_vccnz .LBB62_20
; %bb.19:                               ;   in Loop: Header=BB62_8 Depth=1
	v_lshlrev_b64_e32 v[88:89], 1, v[4:5]
	s_delay_alu instid0(VALU_DEP_1) | instskip(SKIP_1) | instid1(VALU_DEP_2)
	v_add_co_u32 v88, vcc_lo, s14, v88
	s_wait_alu 0xfffd
	v_add_co_ci_u32_e64 v89, null, s15, v89, vcc_lo
	global_load_u16 v88, v[88:89], off offset:64
	s_wait_loadcnt 0x0
	v_cvt_f32_f16_e32 v88, v88
	s_delay_alu instid0(VALU_DEP_1)
	v_mul_f32_e32 v88, v36, v88
.LBB62_20:                              ;   in Loop: Header=BB62_8 Depth=1
	s_and_not1_b32 vcc_lo, exec_lo, s10
	s_wait_alu 0xfffe
	s_cbranch_vccnz .LBB62_22
; %bb.21:                               ;   in Loop: Header=BB62_8 Depth=1
	v_lshlrev_b64_e32 v[89:90], 1, v[4:5]
	s_delay_alu instid0(VALU_DEP_1) | instskip(SKIP_1) | instid1(VALU_DEP_2)
	v_add_co_u32 v89, vcc_lo, s14, v89
	s_wait_alu 0xfffd
	v_add_co_ci_u32_e64 v90, null, s15, v90, vcc_lo
	global_load_u16 v87, v[89:90], off offset:128
	s_wait_loadcnt 0x0
	v_cvt_f32_f16_e32 v87, v87
	s_delay_alu instid0(VALU_DEP_1)
	v_mul_f32_e32 v87, v36, v87
.LBB62_22:                              ;   in Loop: Header=BB62_8 Depth=1
	s_and_not1_b32 vcc_lo, exec_lo, s10
	s_wait_alu 0xfffe
	s_cbranch_vccnz .LBB62_24
; %bb.23:                               ;   in Loop: Header=BB62_8 Depth=1
	v_lshlrev_b64_e32 v[4:5], 1, v[4:5]
	s_delay_alu instid0(VALU_DEP_1) | instskip(SKIP_1) | instid1(VALU_DEP_2)
	v_add_co_u32 v4, vcc_lo, s14, v4
	s_wait_alu 0xfffd
	v_add_co_ci_u32_e64 v5, null, s15, v5, vcc_lo
	global_load_u16 v4, v[4:5], off offset:192
	s_wait_loadcnt 0x0
	v_cvt_f32_f16_e32 v4, v4
	s_delay_alu instid0(VALU_DEP_1)
	v_mul_f32_e32 v4, v36, v4
	s_branch .LBB62_25
.LBB62_24:                              ;   in Loop: Header=BB62_8 Depth=1
	v_mov_b32_e32 v4, 0
.LBB62_25:                              ;   in Loop: Header=BB62_8 Depth=1
	s_mul_u64 s[12:13], s[20:21], s[26:27]
	v_dual_add_f32 v88, v70, v88 :: v_dual_add_f32 v87, v71, v87
	s_wait_alu 0xfffe
	s_lshl_b64 s[12:13], s[12:13], 2
	v_add_f32_e32 v121, v72, v4
	s_wait_alu 0xfffe
	s_add_nc_u64 s[12:13], s[42:43], s[12:13]
	v_add_f32_e32 v79, v42, v79
	s_wait_alu 0xfffe
	v_add_co_u32 v5, vcc_lo, s12, v18
	s_wait_alu 0xfffd
	v_add_co_ci_u32_e64 v90, null, s13, v19, vcc_lo
	v_add_co_u32 v91, vcc_lo, s12, v20
	s_wait_alu 0xfffd
	v_add_co_ci_u32_e64 v92, null, s13, v21, vcc_lo
	;; [unrolled: 3-line block ×14, first 2 shown]
	v_add_co_u32 v113, vcc_lo, v5, v63
	v_dual_add_f32 v5, 0x40051340, v88 :: v_dual_add_f32 v42, 0x40051340, v87
	v_add_f32_e32 v70, 0x40051340, v121
	v_add_f32_e32 v4, 0x40051340, v79
	s_wait_alu 0xfffd
	v_add_co_ci_u32_e64 v114, null, 0, v91, vcc_lo
	v_add_co_u32 v117, vcc_lo, v92, v63
	s_delay_alu instid0(VALU_DEP_3)
	v_max3_num_f32 v4, v68, v4, v5
	s_wait_alu 0xfffd
	v_add_co_ci_u32_e64 v118, null, 0, v95, vcc_lo
	s_wait_loadcnt_dscnt 0x0
	s_barrier_signal -1
	s_barrier_wait -1
	global_inv scope:SCOPE_SE
	s_clause 0x7
	global_load_b128 v[89:92], v[89:90], off
	global_load_b128 v[93:96], v[93:94], off
	;; [unrolled: 1-line block ×8, first 2 shown]
	v_max3_num_f32 v4, v4, v42, v70
	v_max_num_f32_e32 v42, v86, v86
	v_add_nc_u32_e32 v123, 0x800, v34
	v_add_nc_u32_e32 v122, 0x400, v34
	v_add_nc_u32_e32 v125, 0x1000, v34
	ds_bpermute_b32 v5, v82, v4
	s_wait_dscnt 0x0
	v_dual_max_num_f32 v5, v5, v5 :: v_dual_add_nc_u32 v180, 0x1400, v34
	s_delay_alu instid0(VALU_DEP_1) | instskip(SKIP_3) | instid1(VALU_DEP_1)
	v_max_num_f32_e32 v4, v4, v5
	ds_bpermute_b32 v5, v83, v4
	s_wait_dscnt 0x0
	v_max_num_f32_e32 v5, v5, v5
	v_max_num_f32_e32 v5, v4, v5
	;; [unrolled: 1-line block ×3, first 2 shown]
	ds_bpermute_b32 v70, v84, v5
	v_max_num_f32_e32 v4, v4, v42
	v_add_nc_u32_e32 v124, 0xc00, v34
	s_delay_alu instid0(VALU_DEP_2) | instskip(SKIP_3) | instid1(VALU_DEP_2)
	v_sub_f32_e32 v42, v73, v4
	v_sub_f32_e32 v72, v74, v4
	;; [unrolled: 1-line block ×4, first 2 shown]
	v_dual_sub_f32 v74, v77, v4 :: v_dual_mul_f32 v77, 0x3fb8aa3b, v73
	v_mul_f32_e32 v71, 0x3fb8aa3b, v42
	v_mul_f32_e32 v75, 0x3fb8aa3b, v72
	s_delay_alu instid0(VALU_DEP_3) | instskip(NEXT) | instid1(VALU_DEP_4)
	v_dual_mul_f32 v83, 0x3fb8aa3b, v69 :: v_dual_mul_f32 v82, 0x3fb8aa3b, v74
	v_fma_f32 v127, 0x3fb8aa3b, v73, -v77
	s_delay_alu instid0(VALU_DEP_4)
	v_fma_f32 v84, 0x3fb8aa3b, v42, -v71
	s_wait_dscnt 0x0
	v_max_num_f32_e32 v70, v70, v70
	v_fma_f32 v86, 0x3fb8aa3b, v72, -v75
	v_rndne_f32_e32 v85, v71
	v_rndne_f32_e32 v126, v75
	;; [unrolled: 1-line block ×3, first 2 shown]
	s_delay_alu instid0(VALU_DEP_4)
	v_dual_max_num_f32 v5, v5, v70 :: v_dual_fmac_f32 v86, 0x32a5705f, v72
	v_fma_f32 v129, 0x3fb8aa3b, v74, -v82
	v_rndne_f32_e32 v130, v82
	v_fma_f32 v70, 0x3fb8aa3b, v69, -v83
	ds_bpermute_b32 v78, v78, v5
	v_rndne_f32_e32 v131, v83
	v_dual_fmac_f32 v84, 0x32a5705f, v42 :: v_dual_sub_f32 v71, v71, v85
	v_dual_sub_f32 v75, v75, v126 :: v_dual_fmac_f32 v70, 0x32a5705f, v69
	v_dual_fmac_f32 v127, 0x32a5705f, v73 :: v_dual_sub_f32 v82, v82, v130
	v_fmac_f32_e32 v129, 0x32a5705f, v74
	v_sub_f32_e32 v77, v77, v128
	v_sub_f32_e32 v83, v83, v131
	v_add_f32_e32 v71, v71, v84
	s_delay_alu instid0(VALU_DEP_4) | instskip(SKIP_2) | instid1(VALU_DEP_4)
	v_dual_add_f32 v75, v75, v86 :: v_dual_add_f32 v82, v82, v129
	v_cvt_i32_f32_e32 v85, v85
	v_cvt_i32_f32_e32 v126, v126
	v_exp_f32_e32 v71, v71
	s_delay_alu instid0(VALU_DEP_3)
	v_exp_f32_e32 v75, v75
	v_cvt_i32_f32_e32 v86, v131
	v_cmp_ngt_f32_e32 vcc_lo, 0xc2ce8ed0, v42
	s_wait_dscnt 0x0
	v_dual_max_num_f32 v78, v78, v78 :: v_dual_add_f32 v77, v77, v127
	v_add_f32_e32 v70, v83, v70
	v_exp_f32_e32 v82, v82
	v_cvt_i32_f32_e32 v83, v128
	v_cvt_i32_f32_e32 v84, v130
	v_exp_f32_e32 v77, v77
	v_exp_f32_e32 v70, v70
	v_ldexp_f32 v71, v71, v85
	v_ldexp_f32 v75, v75, v126
	s_delay_alu instid0(TRANS32_DEP_2) | instskip(NEXT) | instid1(TRANS32_DEP_1)
	v_ldexp_f32 v77, v77, v83
	v_ldexp_f32 v70, v70, v86
	s_wait_alu 0xfffd
	v_cndmask_b32_e32 v71, 0, v71, vcc_lo
	v_cmp_ngt_f32_e32 vcc_lo, 0xc2ce8ed0, v72
	s_wait_alu 0xfffd
	v_cndmask_b32_e32 v75, 0, v75, vcc_lo
	v_cmp_ngt_f32_e32 vcc_lo, 0xc2ce8ed0, v73
	v_max_num_f32_e32 v5, v5, v78
	v_ldexp_f32 v78, v82, v84
	s_wait_alu 0xfffd
	v_cndmask_b32_e32 v77, 0, v77, vcc_lo
	v_cmp_ngt_f32_e32 vcc_lo, 0xc2ce8ed0, v74
	s_wait_alu 0xfffd
	v_cndmask_b32_e32 v78, 0, v78, vcc_lo
	v_cmp_ngt_f32_e32 vcc_lo, 0xc2ce8ed0, v69
	s_wait_alu 0xfffd
	v_cndmask_b32_e32 v70, 0, v70, vcc_lo
	v_cmp_nlt_f32_e32 vcc_lo, 0x42b17218, v42
	s_wait_alu 0xfffd
	v_cndmask_b32_e32 v71, 0x7f800000, v71, vcc_lo
	v_cmp_nlt_f32_e32 vcc_lo, 0x42b17218, v72
	s_wait_alu 0xfffd
	v_cndmask_b32_e32 v72, 0x7f800000, v75, vcc_lo
	ds_bpermute_b32 v76, v76, v5
	v_cmp_nlt_f32_e32 vcc_lo, 0x42b17218, v73
	s_wait_alu 0xfffd
	v_cndmask_b32_e32 v42, 0x7f800000, v77, vcc_lo
	v_cmp_nlt_f32_e32 vcc_lo, 0x42b17218, v69
	s_delay_alu instid0(VALU_DEP_2) | instskip(SKIP_3) | instid1(VALU_DEP_2)
	v_cvt_f16_f32_e32 v82, v42
	s_wait_alu 0xfffd
	v_cndmask_b32_e32 v69, 0x7f800000, v70, vcc_lo
	v_cmp_nlt_f32_e32 vcc_lo, 0x42b17218, v74
	v_cvt_f16_f32_e32 v74, v69
	s_wait_alu 0xfffd
	v_cndmask_b32_e32 v70, 0x7f800000, v78, vcc_lo
	v_cvt_f16_f32_e32 v78, v72
	s_wait_dscnt 0x0
	v_dual_max_num_f32 v73, v76, v76 :: v_dual_and_b32 v84, 0xffff, v74
	s_delay_alu instid0(VALU_DEP_3) | instskip(NEXT) | instid1(VALU_DEP_2)
	v_cvt_f16_f32_e32 v83, v70
	v_max_num_f32_e32 v5, v5, v73
	s_delay_alu instid0(VALU_DEP_3) | instskip(NEXT) | instid1(VALU_DEP_2)
	v_mul_u32_u24_e32 v181, 0x10001, v84
	v_sub_f32_e32 v73, v79, v5
	v_sub_f32_e32 v79, v87, v5
	s_delay_alu instid0(VALU_DEP_1)
	v_mul_f32_e32 v86, 0x3fb8aa3b, v79
	v_sub_f32_e32 v74, v88, v5
	v_sub_f32_e32 v68, v68, v5
	v_cvt_f16_f32_e32 v77, v71
	v_add_f32_e32 v71, v71, v72
	v_fma_f32 v129, 0x3fb8aa3b, v79, -v86
	v_mul_f32_e32 v76, 0x3fb8aa3b, v74
	v_mul_f32_e32 v88, 0x3fb8aa3b, v68
	v_rndne_f32_e32 v130, v86
	v_cmp_ngt_f32_e32 vcc_lo, 0xc2ce8ed0, v73
	v_add_f32_e32 v42, v42, v71
	v_fma_f32 v127, 0x3fb8aa3b, v74, -v76
	v_rndne_f32_e32 v128, v76
	v_rndne_f32_e32 v140, v88
	v_dual_sub_f32 v85, v121, v5 :: v_dual_sub_f32 v86, v86, v130
	s_delay_alu instid0(VALU_DEP_3)
	v_dual_fmac_f32 v127, 0x32a5705f, v74 :: v_dual_sub_f32 v76, v76, v128
	v_mul_f32_e32 v75, 0x3fb8aa3b, v73
	v_fmac_f32_e32 v129, 0x32a5705f, v79
	v_fma_f32 v139, 0x3fb8aa3b, v68, -v88
	v_sub_f32_e32 v88, v88, v140
	v_add_f32_e32 v76, v76, v127
	v_fma_f32 v121, 0x3fb8aa3b, v73, -v75
	v_rndne_f32_e32 v126, v75
	v_dual_add_f32 v86, v86, v129 :: v_dual_fmac_f32 v139, 0x32a5705f, v68
	s_delay_alu instid0(VALU_DEP_3) | instskip(NEXT) | instid1(VALU_DEP_3)
	v_dual_add_f32 v42, v70, v42 :: v_dual_fmac_f32 v121, 0x32a5705f, v73
	v_sub_f32_e32 v75, v75, v126
	v_exp_f32_e32 v76, v76
	s_delay_alu instid0(VALU_DEP_3) | instskip(SKIP_1) | instid1(VALU_DEP_2)
	v_dual_mul_f32 v87, 0x3fb8aa3b, v85 :: v_dual_add_f32 v88, v88, v139
	v_exp_f32_e32 v86, v86
	v_add_f32_e32 v75, v75, v121
	v_cvt_i32_f32_e32 v121, v126
	v_cvt_i32_f32_e32 v126, v128
	v_fma_f32 v131, 0x3fb8aa3b, v85, -v87
	v_rndne_f32_e32 v138, v87
	v_exp_f32_e32 v75, v75
	v_cvt_i32_f32_e32 v127, v130
	v_ldexp_f32 v76, v76, v126
	v_fmac_f32_e32 v131, 0x32a5705f, v85
	v_exp_f32_e32 v88, v88
	v_cvt_i32_f32_e32 v128, v138
	v_ldexp_f32 v86, v86, v127
	v_cvt_i32_f32_e32 v129, v140
	v_fmac_f32_e32 v42, v66, v69
	s_delay_alu instid0(TRANS32_DEP_2)
	v_ldexp_f32 v75, v75, v121
	s_delay_alu instid0(TRANS32_DEP_1) | instid1(VALU_DEP_3)
	v_ldexp_f32 v88, v88, v129
	s_wait_alu 0xfffd
	s_delay_alu instid0(VALU_DEP_2)
	v_cndmask_b32_e32 v75, 0, v75, vcc_lo
	v_cmp_ngt_f32_e32 vcc_lo, 0xc2ce8ed0, v74
	s_wait_alu 0xfffd
	v_dual_cndmask_b32 v76, 0, v76 :: v_dual_sub_f32 v87, v87, v138
	v_cmp_ngt_f32_e32 vcc_lo, 0xc2ce8ed0, v79
	s_wait_alu 0xfffd
	s_delay_alu instid0(VALU_DEP_2) | instskip(SKIP_1) | instid1(VALU_DEP_2)
	v_dual_cndmask_b32 v86, 0, v86 :: v_dual_add_f32 v87, v87, v131
	v_cmp_ngt_f32_e32 vcc_lo, 0xc2ce8ed0, v85
	v_exp_f32_e32 v87, v87
	s_delay_alu instid0(TRANS32_DEP_1) | instskip(SKIP_1) | instid1(VALU_DEP_1)
	v_ldexp_f32 v87, v87, v128
	s_wait_alu 0xfffd
	v_cndmask_b32_e32 v87, 0, v87, vcc_lo
	v_cmp_ngt_f32_e32 vcc_lo, 0xc2ce8ed0, v68
	s_wait_alu 0xfffd
	v_cndmask_b32_e32 v88, 0, v88, vcc_lo
	v_cmp_nlt_f32_e32 vcc_lo, 0x42b17218, v73
	s_wait_alu 0xfffd
	v_cndmask_b32_e32 v75, 0x7f800000, v75, vcc_lo
	v_cmp_nlt_f32_e32 vcc_lo, 0x42b17218, v74
	;; [unrolled: 3-line block ×4, first 2 shown]
	s_delay_alu instid0(VALU_DEP_2)
	v_cvt_f16_f32_e32 v79, v68
	s_wait_alu 0xfffd
	v_cndmask_b32_e32 v74, 0x7f800000, v86, vcc_lo
	v_cmp_nlt_f32_e32 vcc_lo, 0x42b17218, v85
	v_cvt_f16_f32_e32 v85, v75
	v_cvt_f16_f32_e32 v86, v76
	v_and_b32_e32 v79, 0xffff, v79
	v_add_f32_e32 v75, v75, v76
	s_wait_alu 0xfffd
	v_cndmask_b32_e32 v73, 0x7f800000, v87, vcc_lo
	v_cvt_f16_f32_e32 v87, v74
	v_pack_b32_f16 v77, v77, v85
	v_pack_b32_f16 v78, v78, v86
	v_mul_u32_u24_e32 v79, 0x10001, v79
	v_cvt_f16_f32_e32 v88, v73
	v_pack_b32_f16 v82, v82, v87
	v_add_f32_e32 v74, v74, v75
	s_delay_alu instid0(VALU_DEP_3)
	v_pack_b32_f16 v83, v83, v88
	ds_store_2addr_b32 v64, v77, v78 offset1:32
	ds_store_2addr_b32 v64, v82, v83 offset0:64 offset1:96
	s_wait_loadcnt 0x7
	ds_store_b128 v47, v[89:92]
	s_wait_loadcnt 0x6
	ds_store_b128 v56, v[93:96]
	;; [unrolled: 2-line block ×8, first 2 shown]
	s_wait_dscnt 0x0
	s_barrier_signal -1
	s_barrier_wait -1
	global_inv scope:SCOPE_SE
	ds_load_2addr_b32 v[77:78], v34 offset1:32
	ds_load_2addr_b32 v[130:131], v34 offset0:64 offset1:96
	ds_load_2addr_b32 v[138:139], v34 offset0:128 offset1:160
	ds_load_b128 v[82:85], v45
	ds_load_b128 v[86:89], v45 offset:16
	ds_load_2addr_b32 v[140:141], v34 offset0:192 offset1:224
	ds_load_2addr_b32 v[142:143], v122 offset1:32
	ds_load_2addr_b32 v[144:145], v122 offset0:64 offset1:96
	ds_load_2addr_b32 v[146:147], v122 offset0:128 offset1:160
	ds_load_b128 v[90:93], v45 offset:32
	ds_load_b128 v[94:97], v45 offset:48
	ds_load_2addr_b32 v[148:149], v122 offset0:192 offset1:224
	ds_load_2addr_b32 v[150:151], v123 offset1:32
	ds_load_2addr_b32 v[152:153], v123 offset0:64 offset1:96
	ds_load_2addr_b32 v[154:155], v123 offset0:128 offset1:160
	ds_load_b128 v[98:101], v45 offset:64
	;; [unrolled: 6-line block ×5, first 2 shown]
	ds_load_b128 v[126:129], v45 offset:176
	s_wait_dscnt 0x1f
	v_lshrrev_b32_e32 v182, 16, v82
	v_and_b32_e32 v82, 0xffff, v82
	v_lshrrev_b32_e32 v183, 16, v83
	v_and_b32_e32 v83, 0xffff, v83
	s_wait_dscnt 0x1e
	v_lshrrev_b32_e32 v186, 16, v86
	v_mul_u32_u24_e32 v182, 0x10001, v182
	v_mul_u32_u24_e32 v82, 0x10001, v82
	v_and_b32_e32 v86, 0xffff, v86
	v_lshrrev_b32_e32 v184, 16, v84
	v_and_b32_e32 v84, 0xffff, v84
	v_lshrrev_b32_e32 v185, 16, v85
	v_pk_mul_f16 v82, v77, v82
	v_pk_mul_f16 v77, v77, v182
	v_and_b32_e32 v85, 0xffff, v85
	v_mul_u32_u24_e32 v83, 0x10001, v83
	v_mul_u32_u24_e32 v182, 0x10001, v183
	v_pk_fma_f16 v81, v81, v181, v82
	v_pk_fma_f16 v77, v80, v79, v77
	v_mul_u32_u24_e32 v80, 0x10001, v84
	v_mul_u32_u24_e32 v82, 0x10001, v184
	;; [unrolled: 1-line block ×3, first 2 shown]
	v_pk_fma_f16 v81, v78, v83, v81
	v_pk_fma_f16 v77, v78, v182, v77
	v_mul_u32_u24_e32 v83, 0x10001, v85
	v_lshrrev_b32_e32 v187, 16, v87
	v_and_b32_e32 v87, 0xffff, v87
	v_pk_fma_f16 v80, v130, v80, v81
	v_pk_fma_f16 v77, v130, v82, v77
	v_mul_u32_u24_e32 v82, 0x10001, v86
	v_mul_u32_u24_e32 v85, 0x10001, v186
	v_lshrrev_b32_e32 v188, 16, v88
	v_pk_fma_f16 v80, v131, v83, v80
	v_pk_fma_f16 v77, v131, v84, v77
	v_and_b32_e32 v88, 0xffff, v88
	v_mul_u32_u24_e32 v84, 0x10001, v87
	v_mul_u32_u24_e32 v86, 0x10001, v187
	v_pk_fma_f16 v80, v138, v82, v80
	v_pk_fma_f16 v77, v138, v85, v77
	v_lshrrev_b32_e32 v189, 16, v89
	v_and_b32_e32 v89, 0xffff, v89
	v_mul_u32_u24_e32 v85, 0x10001, v88
	v_mul_u32_u24_e32 v87, 0x10001, v188
	v_pk_fma_f16 v80, v139, v84, v80
	v_pk_fma_f16 v77, v139, v86, v77
	s_wait_dscnt 0x19
	v_lshrrev_b32_e32 v190, 16, v90
	v_mul_u32_u24_e32 v86, 0x10001, v89
	v_mul_u32_u24_e32 v88, 0x10001, v189
	v_pk_fma_f16 v80, v140, v85, v80
	v_pk_fma_f16 v77, v140, v87, v77
	v_add_f32_e32 v139, v73, v74
	v_and_b32_e32 v90, 0xffff, v90
	v_lshrrev_b32_e32 v191, 16, v91
	v_and_b32_e32 v91, 0xffff, v91
	v_mul_u32_u24_e32 v89, 0x10001, v190
	v_pk_fma_f16 v80, v141, v86, v80
	v_pk_fma_f16 v77, v141, v88, v77
	v_fmac_f32_e32 v139, v67, v68
	v_mul_u32_u24_e32 v87, 0x10001, v90
	v_lshrrev_b32_e32 v192, 16, v92
	v_and_b32_e32 v92, 0xffff, v92
	v_mul_u32_u24_e32 v88, 0x10001, v91
	v_mul_u32_u24_e32 v90, 0x10001, v191
	v_pk_fma_f16 v80, v142, v87, v80
	v_pk_fma_f16 v77, v142, v89, v77
	v_lshrrev_b32_e32 v193, 16, v93
	v_and_b32_e32 v93, 0xffff, v93
	v_mul_u32_u24_e32 v89, 0x10001, v92
	v_mul_u32_u24_e32 v91, 0x10001, v192
	v_pk_fma_f16 v80, v143, v88, v80
	v_pk_fma_f16 v77, v143, v90, v77
	s_wait_dscnt 0x18
	v_lshrrev_b32_e32 v194, 16, v94
	v_and_b32_e32 v94, 0xffff, v94
	v_mul_u32_u24_e32 v90, 0x10001, v93
	v_mul_u32_u24_e32 v92, 0x10001, v193
	v_pk_fma_f16 v80, v144, v89, v80
	v_pk_fma_f16 v77, v144, v91, v77
	v_lshrrev_b32_e32 v195, 16, v95
	v_and_b32_e32 v95, 0xffff, v95
	v_mul_u32_u24_e32 v91, 0x10001, v94
	v_mul_u32_u24_e32 v93, 0x10001, v194
	v_pk_fma_f16 v80, v145, v90, v80
	v_pk_fma_f16 v77, v145, v92, v77
	v_lshrrev_b32_e32 v196, 16, v96
	v_and_b32_e32 v96, 0xffff, v96
	v_mul_u32_u24_e32 v92, 0x10001, v95
	v_mul_u32_u24_e32 v94, 0x10001, v195
	v_pk_fma_f16 v80, v146, v91, v80
	v_pk_fma_f16 v77, v146, v93, v77
	v_lshrrev_b32_e32 v197, 16, v97
	v_and_b32_e32 v97, 0xffff, v97
	v_mul_u32_u24_e32 v93, 0x10001, v96
	v_mul_u32_u24_e32 v95, 0x10001, v196
	v_pk_fma_f16 v80, v147, v92, v80
	v_pk_fma_f16 v77, v147, v94, v77
	s_wait_dscnt 0x13
	v_lshrrev_b32_e32 v198, 16, v98
	v_and_b32_e32 v98, 0xffff, v98
	v_mul_u32_u24_e32 v94, 0x10001, v97
	v_mul_u32_u24_e32 v96, 0x10001, v197
	v_pk_fma_f16 v80, v148, v93, v80
	v_pk_fma_f16 v77, v148, v95, v77
	v_lshrrev_b32_e32 v199, 16, v99
	v_and_b32_e32 v99, 0xffff, v99
	v_mul_u32_u24_e32 v95, 0x10001, v98
	v_mul_u32_u24_e32 v97, 0x10001, v198
	v_pk_fma_f16 v80, v149, v94, v80
	v_pk_fma_f16 v77, v149, v96, v77
	;; [unrolled: 25-line block ×8, first 2 shown]
	v_lshrrev_b32_e32 v79, 16, v124
	v_and_b32_e32 v80, 0xffff, v124
	v_mul_u32_u24_e32 v84, 0x10001, v90
	v_mul_u32_u24_e32 v86, 0x10001, v89
	v_pk_fma_f16 v78, v174, v82, v78
	v_pk_fma_f16 v77, v174, v85, v77
	v_lshrrev_b32_e32 v81, 16, v125
	v_and_b32_e32 v83, 0xffff, v125
	v_mul_u32_u24_e32 v80, 0x10001, v80
	v_mul_u32_u24_e32 v79, 0x10001, v79
	v_pk_fma_f16 v78, v175, v84, v78
	v_pk_fma_f16 v77, v175, v86, v77
	s_wait_dscnt 0x0
	v_lshrrev_b32_e32 v82, 16, v126
	v_and_b32_e32 v86, 0xffff, v126
	v_mul_u32_u24_e32 v83, 0x10001, v83
	v_mul_u32_u24_e32 v81, 0x10001, v81
	v_pk_fma_f16 v78, v176, v80, v78
	v_pk_fma_f16 v77, v176, v79, v77
	ds_load_2addr_b32 v[84:85], v180 offset0:192 offset1:224
	v_mul_u32_u24_e32 v86, 0x10001, v86
	v_mul_u32_u24_e32 v82, 0x10001, v82
	v_pk_fma_f16 v83, v177, v83, v78
	v_pk_fma_f16 v81, v177, v81, v77
	v_and_b32_e32 v87, 0xffff, v127
	v_lshrrev_b32_e32 v88, 16, v127
	ds_load_b128 v[77:80], v45 offset:192
	v_pk_fma_f16 v83, v178, v86, v83
	v_pk_fma_f16 v81, v178, v82, v81
	v_mul_u32_u24_e32 v82, 0x10001, v87
	v_mul_u32_u24_e32 v86, 0x10001, v88
	v_and_b32_e32 v87, 0xffff, v128
	v_add_nc_u32_e32 v90, 0x1800, v34
	v_lshrrev_b32_e32 v88, 16, v128
	v_pk_fma_f16 v82, v179, v82, v83
	v_pk_fma_f16 v81, v179, v86, v81
	v_mul_u32_u24_e32 v83, 0x10001, v87
	ds_load_2addr_b32 v[86:87], v90 offset1:32
	v_mul_u32_u24_e32 v88, 0x10001, v88
	v_and_b32_e32 v89, 0xffff, v129
	v_lshrrev_b32_e32 v91, 16, v129
	s_wait_dscnt 0x2
	v_pk_fma_f16 v92, v84, v83, v82
	v_pk_fma_f16 v88, v84, v88, v81
	v_mul_u32_u24_e32 v89, 0x10001, v89
	v_mul_u32_u24_e32 v91, 0x10001, v91
	ds_load_b128 v[81:84], v45 offset:208
	s_wait_dscnt 0x2
	v_and_b32_e32 v93, 0xffff, v77
	v_lshrrev_b32_e32 v77, 16, v77
	v_pk_fma_f16 v92, v85, v89, v92
	v_pk_fma_f16 v85, v85, v91, v88
	ds_load_2addr_b32 v[88:89], v90 offset0:64 offset1:96
	v_mul_u32_u24_e32 v91, 0x10001, v93
	v_mul_u32_u24_e32 v77, 0x10001, v77
	v_and_b32_e32 v93, 0xffff, v78
	v_lshrrev_b32_e32 v78, 16, v78
	s_wait_dscnt 0x2
	v_pk_fma_f16 v91, v86, v91, v92
	v_pk_fma_f16 v77, v86, v77, v85
	v_mul_u32_u24_e32 v85, 0x10001, v93
	v_mul_u32_u24_e32 v78, 0x10001, v78
	v_and_b32_e32 v92, 0xffff, v79
	v_lshrrev_b32_e32 v79, 16, v79
	s_delay_alu instid0(VALU_DEP_4)
	v_pk_fma_f16 v91, v87, v85, v91
	ds_load_2addr_b32 v[85:86], v90 offset0:128 offset1:160
	v_pk_fma_f16 v77, v87, v78, v77
	v_mul_u32_u24_e32 v78, 0x10001, v92
	v_mul_u32_u24_e32 v79, 0x10001, v79
	v_and_b32_e32 v87, 0xffff, v80
	v_lshrrev_b32_e32 v80, 16, v80
	s_wait_dscnt 0x1
	v_pk_fma_f16 v78, v88, v78, v91
	v_pk_fma_f16 v77, v88, v79, v77
	v_mul_u32_u24_e32 v79, 0x10001, v87
	v_mul_u32_u24_e32 v80, 0x10001, v80
	v_and_b32_e32 v87, 0xffff, v81
	v_lshrrev_b32_e32 v81, 16, v81
	s_delay_alu instid0(VALU_DEP_4) | instskip(NEXT) | instid1(VALU_DEP_4)
	v_pk_fma_f16 v78, v89, v79, v78
	v_pk_fma_f16 v89, v89, v80, v77
	s_delay_alu instid0(VALU_DEP_4)
	v_mul_u32_u24_e32 v77, 0x10001, v87
	ds_load_2addr_b32 v[87:88], v90 offset0:192 offset1:224
	v_mul_u32_u24_e32 v81, 0x10001, v81
	v_and_b32_e32 v90, 0xffff, v82
	v_lshrrev_b32_e32 v82, 16, v82
	s_wait_dscnt 0x1
	v_pk_fma_f16 v91, v85, v77, v78
	ds_load_b128 v[77:80], v45 offset:224
	v_pk_fma_f16 v81, v85, v81, v89
	v_mul_u32_u24_e32 v85, 0x10001, v90
	v_mul_u32_u24_e32 v82, 0x10001, v82
	v_add_nc_u32_e32 v90, 0x1c00, v34
	v_and_b32_e32 v89, 0xffff, v83
	v_lshrrev_b32_e32 v83, 16, v83
	v_pk_fma_f16 v91, v86, v85, v91
	v_pk_fma_f16 v81, v86, v82, v81
	ds_load_2addr_b32 v[85:86], v90 offset1:32
	v_mul_u32_u24_e32 v82, 0x10001, v89
	v_mul_u32_u24_e32 v83, 0x10001, v83
	v_and_b32_e32 v89, 0xffff, v84
	v_lshrrev_b32_e32 v84, 16, v84
	s_wait_dscnt 0x2
	v_pk_fma_f16 v91, v87, v82, v91
	v_pk_fma_f16 v87, v87, v83, v81
	v_mul_u32_u24_e32 v89, 0x10001, v89
	v_mul_u32_u24_e32 v92, 0x10001, v84
	ds_load_b128 v[81:84], v45 offset:240
	s_wait_dscnt 0x2
	v_and_b32_e32 v93, 0xffff, v77
	v_lshrrev_b32_e32 v77, 16, v77
	v_pk_fma_f16 v89, v88, v89, v91
	v_pk_fma_f16 v91, v88, v92, v87
	ds_load_2addr_b32 v[87:88], v90 offset0:64 offset1:96
	v_mul_u32_u24_e32 v92, 0x10001, v93
	v_mul_u32_u24_e32 v77, 0x10001, v77
	v_and_b32_e32 v93, 0xffff, v78
	v_lshrrev_b32_e32 v78, 16, v78
	s_wait_dscnt 0x2
	v_pk_fma_f16 v89, v85, v92, v89
	v_pk_fma_f16 v77, v85, v77, v91
	v_mul_u32_u24_e32 v85, 0x10001, v93
	v_mul_u32_u24_e32 v78, 0x10001, v78
	v_and_b32_e32 v91, 0xffff, v79
	v_lshrrev_b32_e32 v79, 16, v79
	s_delay_alu instid0(VALU_DEP_4) | instskip(NEXT) | instid1(VALU_DEP_4)
	v_pk_fma_f16 v89, v86, v85, v89
	v_pk_fma_f16 v77, v86, v78, v77
	ds_load_2addr_b32 v[85:86], v90 offset0:128 offset1:160
	v_mul_u32_u24_e32 v78, 0x10001, v91
	v_mul_u32_u24_e32 v79, 0x10001, v79
	v_and_b32_e32 v91, 0xffff, v80
	v_lshrrev_b32_e32 v80, 16, v80
	s_wait_dscnt 0x1
	v_pk_fma_f16 v78, v87, v78, v89
	v_pk_fma_f16 v77, v87, v79, v77
	v_mul_u32_u24_e32 v79, 0x10001, v91
	v_mul_u32_u24_e32 v80, 0x10001, v80
	v_and_b32_e32 v87, 0xffff, v81
	v_lshrrev_b32_e32 v81, 16, v81
	s_delay_alu instid0(VALU_DEP_4) | instskip(NEXT) | instid1(VALU_DEP_4)
	v_pk_fma_f16 v78, v88, v79, v78
	v_pk_fma_f16 v89, v88, v80, v77
	s_delay_alu instid0(VALU_DEP_4)
	v_mul_u32_u24_e32 v77, 0x10001, v87
	ds_load_2addr_b32 v[87:88], v90 offset0:192 offset1:224
	v_mul_u32_u24_e32 v81, 0x10001, v81
	v_and_b32_e32 v90, 0xffff, v82
	v_lshrrev_b32_e32 v82, 16, v82
	s_wait_dscnt 0x1
	v_pk_fma_f16 v91, v85, v77, v78
	ds_load_b128 v[77:80], v45 offset:256
	v_pk_fma_f16 v81, v85, v81, v89
	v_mul_u32_u24_e32 v85, 0x10001, v90
	v_mul_u32_u24_e32 v82, 0x10001, v82
	v_add_nc_u32_e32 v90, 0x2000, v34
	v_and_b32_e32 v89, 0xffff, v83
	v_lshrrev_b32_e32 v83, 16, v83
	v_pk_fma_f16 v91, v86, v85, v91
	v_pk_fma_f16 v81, v86, v82, v81
	ds_load_2addr_b32 v[85:86], v90 offset1:32
	v_mul_u32_u24_e32 v82, 0x10001, v89
	v_mul_u32_u24_e32 v83, 0x10001, v83
	v_and_b32_e32 v89, 0xffff, v84
	v_lshrrev_b32_e32 v84, 16, v84
	s_wait_dscnt 0x2
	v_pk_fma_f16 v91, v87, v82, v91
	v_pk_fma_f16 v87, v87, v83, v81
	v_mul_u32_u24_e32 v89, 0x10001, v89
	v_mul_u32_u24_e32 v92, 0x10001, v84
	ds_load_b128 v[81:84], v45 offset:272
	s_wait_dscnt 0x2
	v_and_b32_e32 v93, 0xffff, v77
	v_lshrrev_b32_e32 v77, 16, v77
	v_pk_fma_f16 v89, v88, v89, v91
	v_pk_fma_f16 v91, v88, v92, v87
	ds_load_2addr_b32 v[87:88], v90 offset0:64 offset1:96
	v_mul_u32_u24_e32 v92, 0x10001, v93
	v_mul_u32_u24_e32 v77, 0x10001, v77
	v_and_b32_e32 v93, 0xffff, v78
	v_lshrrev_b32_e32 v78, 16, v78
	s_wait_dscnt 0x2
	v_pk_fma_f16 v89, v85, v92, v89
	v_pk_fma_f16 v77, v85, v77, v91
	v_mul_u32_u24_e32 v85, 0x10001, v93
	v_mul_u32_u24_e32 v78, 0x10001, v78
	v_and_b32_e32 v91, 0xffff, v79
	v_lshrrev_b32_e32 v79, 16, v79
	s_delay_alu instid0(VALU_DEP_4) | instskip(NEXT) | instid1(VALU_DEP_4)
	v_pk_fma_f16 v89, v86, v85, v89
	v_pk_fma_f16 v77, v86, v78, v77
	ds_load_2addr_b32 v[85:86], v90 offset0:128 offset1:160
	;; [unrolled: 63-line block ×9, first 2 shown]
	v_mul_u32_u24_e32 v89, 0x10001, v91
	v_mul_u32_u24_e32 v79, 0x10001, v79
	v_and_b32_e32 v91, 0xffff, v80
	v_lshrrev_b32_e32 v80, 16, v80
	s_wait_dscnt 0x2
	v_lshrrev_b32_e32 v75, 16, v83
	s_wait_dscnt 0x1
	v_pk_fma_f16 v72, v87, v89, v85
	v_pk_fma_f16 v79, v87, v79, v86
	v_mul_u32_u24_e32 v85, 0x10001, v91
	v_mul_u32_u24_e32 v80, 0x10001, v80
	v_and_b32_e32 v86, 0xffff, v81
	v_lshrrev_b32_e32 v81, 16, v81
	v_mul_u32_u24_e32 v75, 0x10001, v75
	v_pk_fma_f16 v71, v88, v85, v72
	v_pk_fma_f16 v72, v88, v80, v79
	v_mul_u32_u24_e32 v79, 0x10001, v86
	v_mul_u32_u24_e32 v80, 0x10001, v81
	s_wait_dscnt 0x0
	s_delay_alu instid0(VALU_DEP_2)
	v_pk_fma_f16 v76, v77, v79, v71
	ds_load_2addr_b32 v[70:71], v90 offset0:192 offset1:224
	s_wait_loadcnt_dscnt 0x0
	s_barrier_signal -1
	s_barrier_wait -1
	global_inv scope:SCOPE_SE
	s_load_b32 s11, s[6:7], 0x4
	v_pk_fma_f16 v72, v77, v80, v72
	v_lshrrev_b32_e32 v77, 16, v82
	v_and_b32_e32 v79, 0xffff, v82
	v_and_b32_e32 v80, 0xffff, v83
	s_delay_alu instid0(VALU_DEP_3) | instskip(NEXT) | instid1(VALU_DEP_3)
	v_mul_u32_u24_e32 v77, 0x10001, v77
	v_mul_u32_u24_e32 v79, 0x10001, v79
	s_delay_alu instid0(VALU_DEP_2) | instskip(NEXT) | instid1(VALU_DEP_2)
	v_pk_fma_f16 v72, v78, v77, v72
	v_pk_fma_f16 v76, v78, v79, v76
	v_mul_u32_u24_e32 v77, 0x10001, v80
	v_and_b32_e32 v78, 0xffff, v84
	v_lshrrev_b32_e32 v79, 16, v84
	s_delay_alu instid0(VALU_DEP_3) | instskip(NEXT) | instid1(VALU_DEP_3)
	v_pk_fma_f16 v73, v70, v77, v76
	v_mul_u32_u24_e32 v74, 0x10001, v78
	v_pk_fma_f16 v70, v70, v75, v72
	s_delay_alu instid0(VALU_DEP_4)
	v_mul_u32_u24_e32 v72, 0x10001, v79
	s_wait_kmcnt 0x0
	s_lshl_b32 s11, s11, 7
	v_pk_fma_f16 v81, v71, v74, v73
	s_wait_alu 0xfffe
	s_add_co_i32 s20, s11, s20
	v_pk_fma_f16 v80, v71, v72, v70
	s_wait_alu 0xfffe
	s_cmp_lt_i32 s20, s3
	s_cbranch_scc0 .LBB62_28
; %bb.26:                               ;   in Loop: Header=BB62_8 Depth=1
	v_dual_mov_b32 v69, v4 :: v_dual_mov_b32 v68, v5
	v_dual_mov_b32 v66, v42 :: v_dual_mov_b32 v67, v139
	s_branch .LBB62_8
.LBB62_27:
	v_dual_mov_b32 v4, 0xfeffffff :: v_dual_mov_b32 v81, 0
	v_mov_b32_e32 v42, 0
	s_delay_alu instid0(VALU_DEP_2)
	v_dual_mov_b32 v80, 0 :: v_dual_mov_b32 v5, v4
.LBB62_28:
	v_lshlrev_b32_e32 v20, 1, v135
	s_cmp_gt_i32 s2, s20
	s_cbranch_scc1 .LBB62_31
; %bb.29:
	v_mbcnt_lo_u32_b32 v0, -1, 0
	v_mov_b32_e32 v145, 32
	s_delay_alu instid0(VALU_DEP_2)
	v_xor_b32_e32 v141, 16, v0
	v_xor_b32_e32 v168, 8, v0
	;; [unrolled: 1-line block ×5, first 2 shown]
	s_cbranch_execz .LBB62_32
; %bb.30:
	v_mov_b32_e32 v137, v0
	s_branch .LBB62_72
.LBB62_31:
                                        ; implicit-def: $vgpr0
                                        ; implicit-def: $vgpr145
                                        ; implicit-def: $vgpr141
                                        ; implicit-def: $vgpr168
                                        ; implicit-def: $vgpr142
                                        ; implicit-def: $vgpr143
                                        ; implicit-def: $vgpr144
.LBB62_32:
	v_lshl_add_u32 v7, v35, 2, v41
	s_ashr_i32 s21, s20, 31
	s_ashr_i32 s9, s8, 31
	v_dual_mov_b32 v15, 0 :: v_dual_and_b32 v2, 28, v34
	s_delay_alu instid0(VALU_DEP_2)
	v_mul_lo_u32 v8, s8, v7
	s_wait_alu 0xfffe
	s_mul_u64 s[6:7], s[20:21], s[8:9]
	s_sub_co_i32 s17, s2, s20
	s_wait_alu 0xfffe
	s_lshl_b64 s[2:3], s[6:7], 2
	s_mov_b32 s44, 0
	s_add_nc_u64 s[12:13], s[4:5], s[2:3]
	s_lshl_b32 s9, s8, 4
	s_mov_b32 s45, s44
	v_ashrrev_i32_e32 v9, 31, v8
	s_mov_b32 s46, s44
	v_lshlrev_b32_e32 v6, 2, v2
	v_dual_mov_b32 v16, s44 :: v_dual_mov_b32 v17, s45
	s_delay_alu instid0(VALU_DEP_3)
	v_lshlrev_b64_e32 v[0:1], 2, v[8:9]
	s_wait_alu 0xfffe
	v_add_nc_u32_e32 v8, s9, v8
	v_cmp_gt_i32_e64 s2, s17, v7
	s_mov_b64 s[10:11], src_private_base
	v_mov_b32_e32 v18, s46
	v_mad_u32_u24 v22, 0x90, v7, v6
	v_add_co_u32 v0, vcc_lo, s12, v0
	s_wait_alu 0xfffd
	v_add_co_ci_u32_e64 v1, null, s13, v1, vcc_lo
	v_ashrrev_i32_e32 v9, 31, v8
	s_delay_alu instid0(VALU_DEP_3) | instskip(SKIP_1) | instid1(VALU_DEP_3)
	v_add_co_u32 v0, vcc_lo, v0, v6
	s_wait_alu 0xfffd
	v_add_co_ci_u32_e64 v1, null, 0, v1, vcc_lo
	s_delay_alu instid0(VALU_DEP_3) | instskip(NEXT) | instid1(VALU_DEP_3)
	v_lshlrev_b64_e32 v[9:10], 2, v[8:9]
	v_cndmask_b32_e64 v0, 0, v0, s2
	s_cmp_lg_u64 s[14:15], 0
	s_wait_alu 0xfffe
	v_cndmask_b32_e64 v1, s11, v1, s2
	v_cmp_gt_i32_e64 s10, s17, v135
	v_add_co_u32 v11, vcc_lo, s12, v9
	v_add_nc_u32_e32 v9, 16, v7
	s_clause 0x1
	scratch_store_b32 off, v15, off
	scratch_store_b96 off, v[16:18], off offset:4
	flat_load_b128 v[0:3], v[0:1]
	s_wait_alu 0xfffd
	v_add_co_ci_u32_e64 v10, null, s13, v10, vcc_lo
	v_add_co_u32 v12, vcc_lo, v11, v6
	v_cmp_gt_i32_e64 s3, s17, v9
	s_wait_alu 0xfffd
	s_delay_alu instid0(VALU_DEP_3)
	v_add_co_ci_u32_e64 v10, null, 0, v10, vcc_lo
	s_clause 0x1
	scratch_store_b32 off, v15, off
	scratch_store_b96 off, v[16:18], off offset:4
	s_wait_alu 0xf1ff
	v_cndmask_b32_e64 v11, s11, v10, s3
	v_cndmask_b32_e64 v10, 0, v12, s3
	s_wait_loadcnt_dscnt 0x0
	ds_store_b128 v22, v[0:3]
	flat_load_b128 v[0:3], v[10:11]
	v_add_nc_u32_e32 v11, s9, v8
	v_add_nc_u32_e32 v10, 32, v7
	s_clause 0x1
	scratch_store_b32 off, v15, off
	scratch_store_b96 off, v[16:18], off offset:4
	v_ashrrev_i32_e32 v12, 31, v11
	v_cmp_gt_i32_e64 s4, s17, v10
	s_delay_alu instid0(VALU_DEP_2) | instskip(NEXT) | instid1(VALU_DEP_1)
	v_lshlrev_b64_e32 v[12:13], 2, v[11:12]
	v_add_co_u32 v8, vcc_lo, s12, v12
	s_wait_alu 0xfffd
	s_delay_alu instid0(VALU_DEP_2) | instskip(NEXT) | instid1(VALU_DEP_2)
	v_add_co_ci_u32_e64 v12, null, s13, v13, vcc_lo
	v_add_co_u32 v8, vcc_lo, v8, v6
	s_wait_alu 0xfffd
	s_delay_alu instid0(VALU_DEP_2) | instskip(SKIP_1) | instid1(VALU_DEP_1)
	v_add_co_ci_u32_e64 v12, null, 0, v12, vcc_lo
	s_wait_alu 0xf1ff
	v_cndmask_b32_e64 v13, s11, v12, s4
	v_cndmask_b32_e64 v12, 0, v8, s4
	s_wait_loadcnt_dscnt 0x0
	ds_store_b128 v22, v[0:3] offset:2304
	flat_load_b128 v[0:3], v[12:13]
	v_add_nc_u32_e32 v12, s9, v11
	v_add_nc_u32_e32 v11, 48, v7
	s_clause 0x1
	scratch_store_b32 off, v15, off
	scratch_store_b96 off, v[16:18], off offset:4
	v_ashrrev_i32_e32 v13, 31, v12
	v_cmp_gt_i32_e64 s5, s17, v11
	s_delay_alu instid0(VALU_DEP_2) | instskip(NEXT) | instid1(VALU_DEP_1)
	v_lshlrev_b64_e32 v[13:14], 2, v[12:13]
	v_add_co_u32 v8, vcc_lo, s12, v13
	s_wait_alu 0xfffd
	s_delay_alu instid0(VALU_DEP_2) | instskip(NEXT) | instid1(VALU_DEP_2)
	v_add_co_ci_u32_e64 v13, null, s13, v14, vcc_lo
	v_add_co_u32 v8, vcc_lo, v8, v6
	s_wait_alu 0xfffd
	s_delay_alu instid0(VALU_DEP_2) | instskip(SKIP_1) | instid1(VALU_DEP_1)
	v_add_co_ci_u32_e64 v13, null, 0, v13, vcc_lo
	s_wait_alu 0xf1ff
	v_cndmask_b32_e64 v14, s11, v13, s5
	v_cndmask_b32_e64 v13, 0, v8, s5
	s_wait_loadcnt_dscnt 0x0
	ds_store_b128 v22, v[0:3] offset:4608
	flat_load_b128 v[0:3], v[13:14]
	v_add_nc_u32_e32 v13, s9, v12
	v_add_nc_u32_e32 v12, 64, v7
	s_clause 0x1
	scratch_store_b32 off, v15, off
	scratch_store_b96 off, v[16:18], off offset:4
	v_ashrrev_i32_e32 v14, 31, v13
	v_cmp_gt_i32_e64 s6, s17, v12
	s_delay_alu instid0(VALU_DEP_2) | instskip(NEXT) | instid1(VALU_DEP_1)
	v_lshlrev_b64_e32 v[19:20], 2, v[13:14]
	v_add_co_u32 v8, vcc_lo, s12, v19
	s_wait_alu 0xfffd
	s_delay_alu instid0(VALU_DEP_2) | instskip(NEXT) | instid1(VALU_DEP_2)
	v_add_co_ci_u32_e64 v14, null, s13, v20, vcc_lo
	v_add_co_u32 v8, vcc_lo, v8, v6
	s_wait_alu 0xfffd
	s_delay_alu instid0(VALU_DEP_2) | instskip(SKIP_1) | instid1(VALU_DEP_2)
	v_add_co_ci_u32_e64 v14, null, 0, v14, vcc_lo
	s_wait_alu 0xf1ff
	v_cndmask_b32_e64 v19, 0, v8, s6
	s_delay_alu instid0(VALU_DEP_2)
	v_cndmask_b32_e64 v20, s11, v14, s6
	s_wait_loadcnt_dscnt 0x0
	ds_store_b128 v22, v[0:3] offset:6912
	flat_load_b128 v[0:3], v[19:20]
	v_add_nc_u32_e32 v19, s9, v13
	s_clause 0x1
	scratch_store_b32 off, v15, off
	scratch_store_b96 off, v[16:18], off offset:4
	v_ashrrev_i32_e32 v20, 31, v19
	s_delay_alu instid0(VALU_DEP_1) | instskip(SKIP_1) | instid1(VALU_DEP_2)
	v_lshlrev_b64_e32 v[13:14], 2, v[19:20]
	v_add_nc_u32_e32 v19, s9, v19
	v_add_co_u32 v8, vcc_lo, s12, v13
	s_wait_alu 0xfffd
	s_delay_alu instid0(VALU_DEP_3) | instskip(SKIP_1) | instid1(VALU_DEP_3)
	v_add_co_ci_u32_e64 v14, null, s13, v14, vcc_lo
	v_add_nc_u32_e32 v13, 0x50, v7
	v_add_co_u32 v8, vcc_lo, v8, v6
	s_wait_alu 0xfffd
	s_delay_alu instid0(VALU_DEP_3) | instskip(NEXT) | instid1(VALU_DEP_3)
	v_add_co_ci_u32_e64 v14, null, 0, v14, vcc_lo
	v_cmp_gt_i32_e64 s7, s17, v13
	s_wait_alu 0xf1ff
	s_delay_alu instid0(VALU_DEP_1) | instskip(SKIP_2) | instid1(VALU_DEP_1)
	v_cndmask_b32_e64 v21, s11, v14, s7
	v_cndmask_b32_e64 v20, 0, v8, s7
	v_add_nc_u32_e32 v14, 0x60, v7
	v_cmp_gt_i32_e64 s8, s17, v14
	s_wait_loadcnt_dscnt 0x0
	ds_store_b128 v22, v[0:3] offset:9216
	flat_load_b128 v[0:3], v[20:21]
	v_ashrrev_i32_e32 v20, 31, v19
	s_clause 0x1
	scratch_store_b32 off, v15, off
	scratch_store_b96 off, v[16:18], off offset:4
	v_lshlrev_b64_e32 v[20:21], 2, v[19:20]
	v_add_nc_u32_e32 v19, s9, v19
	s_delay_alu instid0(VALU_DEP_2) | instskip(SKIP_1) | instid1(VALU_DEP_3)
	v_add_co_u32 v8, vcc_lo, s12, v20
	s_wait_alu 0xfffd
	v_add_co_ci_u32_e64 v20, null, s13, v21, vcc_lo
	s_delay_alu instid0(VALU_DEP_2) | instskip(SKIP_1) | instid1(VALU_DEP_2)
	v_add_co_u32 v8, vcc_lo, v8, v6
	s_wait_alu 0xfffd
	v_add_co_ci_u32_e64 v20, null, 0, v20, vcc_lo
	s_wait_alu 0xf1ff
	s_delay_alu instid0(VALU_DEP_1) | instskip(SKIP_2) | instid1(VALU_DEP_1)
	v_cndmask_b32_e64 v21, s11, v20, s8
	v_cndmask_b32_e64 v20, 0, v8, s8
	v_add_nc_u32_e32 v8, 0x70, v7
	v_cmp_gt_i32_e64 s9, s17, v8
	s_wait_loadcnt_dscnt 0x0
	ds_store_b128 v22, v[0:3] offset:11520
	flat_load_b128 v[0:3], v[20:21]
	v_ashrrev_i32_e32 v20, 31, v19
	s_clause 0x1
	scratch_store_b32 off, v15, off
	scratch_store_b96 off, v[16:18], off offset:4
	v_dual_mov_b32 v16, 0 :: v_dual_mov_b32 v21, 0
	v_mov_b32_e32 v17, 0
	v_lshlrev_b64_e32 v[19:20], 2, v[19:20]
	v_mov_b32_e32 v18, 0
	s_delay_alu instid0(VALU_DEP_2) | instskip(SKIP_1) | instid1(VALU_DEP_3)
	v_add_co_u32 v19, vcc_lo, s12, v19
	s_wait_alu 0xfffd
	v_add_co_ci_u32_e64 v20, null, s13, v20, vcc_lo
	s_cselect_b32 s12, -1, 0
	v_add_co_u32 v19, vcc_lo, v19, v6
	s_wait_alu 0xfffd
	v_add_co_ci_u32_e64 v20, null, 0, v20, vcc_lo
	s_wait_alu 0xf1ff
	s_delay_alu instid0(VALU_DEP_2) | instskip(NEXT) | instid1(VALU_DEP_2)
	v_cndmask_b32_e64 v19, 0, v19, s9
	v_cndmask_b32_e64 v20, s11, v20, s9
	s_wait_loadcnt_dscnt 0x0
	ds_store_b128 v22, v[0:3] offset:13824
	flat_load_b128 v[0:3], v[19:20]
	v_dual_mov_b32 v19, 0 :: v_dual_mov_b32 v20, 0
	s_wait_loadcnt_dscnt 0x0
	ds_store_b128 v22, v[0:3] offset:16128
	s_wait_storecnt_dscnt 0x0
	s_barrier_signal -1
	s_barrier_wait -1
	global_inv scope:SCOPE_SE
	ds_load_b128 v[0:3], v39
	ds_load_b128 v[23:26], v40 offset:20480
	ds_load_b128 v[27:30], v40 offset:20608
	ds_load_b128 v[43:46], v39 offset:4608
	ds_load_b128 v[47:50], v39 offset:9216
	ds_load_b128 v[51:54], v39 offset:13824
	v_mov_b32_e32 v22, 0
	s_wait_dscnt 0x4
	;;#ASMSTART
	v_dot2_f32_f16 v19, v0, v23, v19
	;;#ASMEND
	;;#ASMSTART
	v_dot2_f32_f16 v19, v1, v24, v19
	;;#ASMEND
	;;#ASMSTART
	v_dot2_f32_f16 v19, v2, v25, v19
	;;#ASMEND
	;;#ASMSTART
	v_dot2_f32_f16 v19, v3, v26, v19
	;;#ASMEND
	s_wait_dscnt 0x3
	;;#ASMSTART
	v_dot2_f32_f16 v16, v0, v27, v16
	;;#ASMEND
	;;#ASMSTART
	v_dot2_f32_f16 v16, v1, v28, v16
	;;#ASMEND
	;;#ASMSTART
	v_dot2_f32_f16 v16, v2, v29, v16
	;;#ASMEND
	;;#ASMSTART
	v_dot2_f32_f16 v16, v3, v30, v16
	;;#ASMEND
	;; [unrolled: 13-line block ×3, first 2 shown]
	;;#ASMSTART
	v_dot2_f32_f16 v17, v43, v27, v17
	;;#ASMEND
	;;#ASMSTART
	v_dot2_f32_f16 v17, v44, v28, v17
	;;#ASMEND
	;;#ASMSTART
	v_dot2_f32_f16 v17, v45, v29, v17
	;;#ASMEND
	;;#ASMSTART
	v_dot2_f32_f16 v17, v46, v30, v17
	;;#ASMEND
	s_wait_dscnt 0x1
	;;#ASMSTART
	v_dot2_f32_f16 v20, v47, v23, v20
	;;#ASMEND
	;;#ASMSTART
	v_dot2_f32_f16 v20, v48, v24, v20
	;;#ASMEND
	;; [unrolled: 3-line block ×8, first 2 shown]
	s_wait_dscnt 0x0
	;;#ASMSTART
	v_dot2_f32_f16 v22, v51, v23, v22
	;;#ASMEND
	;;#ASMSTART
	v_dot2_f32_f16 v22, v52, v24, v22
	;;#ASMEND
	;; [unrolled: 3-line block ×8, first 2 shown]
	ds_load_b128 v[0:3], v39 offset:16
	ds_load_b128 v[23:26], v40 offset:20496
	;; [unrolled: 1-line block ×6, first 2 shown]
	s_wait_dscnt 0x4
	;;#ASMSTART
	v_dot2_f32_f16 v19, v0, v23, v19
	;;#ASMEND
	;;#ASMSTART
	v_dot2_f32_f16 v19, v1, v24, v19
	;;#ASMEND
	;;#ASMSTART
	v_dot2_f32_f16 v19, v2, v25, v19
	;;#ASMEND
	;;#ASMSTART
	v_dot2_f32_f16 v19, v3, v26, v19
	;;#ASMEND
	s_wait_dscnt 0x3
	;;#ASMSTART
	v_dot2_f32_f16 v16, v0, v27, v16
	;;#ASMEND
	;;#ASMSTART
	v_dot2_f32_f16 v16, v1, v28, v16
	;;#ASMEND
	;;#ASMSTART
	v_dot2_f32_f16 v16, v2, v29, v16
	;;#ASMEND
	;;#ASMSTART
	v_dot2_f32_f16 v16, v3, v30, v16
	;;#ASMEND
	;; [unrolled: 13-line block ×3, first 2 shown]
	;;#ASMSTART
	v_dot2_f32_f16 v17, v43, v27, v17
	;;#ASMEND
	;;#ASMSTART
	v_dot2_f32_f16 v17, v44, v28, v17
	;;#ASMEND
	;; [unrolled: 3-line block ×4, first 2 shown]
	s_wait_dscnt 0x1
	;;#ASMSTART
	v_dot2_f32_f16 v20, v47, v23, v20
	;;#ASMEND
	;;#ASMSTART
	v_dot2_f32_f16 v20, v48, v24, v20
	;;#ASMEND
	;; [unrolled: 3-line block ×8, first 2 shown]
	s_wait_dscnt 0x0
	;;#ASMSTART
	v_dot2_f32_f16 v22, v51, v23, v22
	;;#ASMEND
	;;#ASMSTART
	v_dot2_f32_f16 v22, v52, v24, v22
	;;#ASMEND
	;; [unrolled: 3-line block ×8, first 2 shown]
	ds_load_b128 v[0:3], v39 offset:32
	ds_load_b128 v[23:26], v40 offset:20512
	;; [unrolled: 1-line block ×6, first 2 shown]
	s_wait_dscnt 0x4
	;;#ASMSTART
	v_dot2_f32_f16 v19, v0, v23, v19
	;;#ASMEND
	;;#ASMSTART
	v_dot2_f32_f16 v19, v1, v24, v19
	;;#ASMEND
	;;#ASMSTART
	v_dot2_f32_f16 v19, v2, v25, v19
	;;#ASMEND
	;;#ASMSTART
	v_dot2_f32_f16 v19, v3, v26, v19
	;;#ASMEND
	s_wait_dscnt 0x3
	;;#ASMSTART
	v_dot2_f32_f16 v16, v0, v27, v16
	;;#ASMEND
	;;#ASMSTART
	v_dot2_f32_f16 v16, v1, v28, v16
	;;#ASMEND
	;;#ASMSTART
	v_dot2_f32_f16 v16, v2, v29, v16
	;;#ASMEND
	;;#ASMSTART
	v_dot2_f32_f16 v16, v3, v30, v16
	;;#ASMEND
	;; [unrolled: 13-line block ×3, first 2 shown]
	;;#ASMSTART
	v_dot2_f32_f16 v17, v43, v27, v17
	;;#ASMEND
	;;#ASMSTART
	v_dot2_f32_f16 v17, v44, v28, v17
	;;#ASMEND
	;; [unrolled: 3-line block ×4, first 2 shown]
	s_wait_dscnt 0x1
	;;#ASMSTART
	v_dot2_f32_f16 v20, v47, v23, v20
	;;#ASMEND
	;;#ASMSTART
	v_dot2_f32_f16 v20, v48, v24, v20
	;;#ASMEND
	;; [unrolled: 3-line block ×8, first 2 shown]
	s_wait_dscnt 0x0
	;;#ASMSTART
	v_dot2_f32_f16 v22, v51, v23, v22
	;;#ASMEND
	;;#ASMSTART
	v_dot2_f32_f16 v22, v52, v24, v22
	;;#ASMEND
	;; [unrolled: 3-line block ×8, first 2 shown]
	ds_load_b128 v[0:3], v39 offset:48
	ds_load_b128 v[23:26], v40 offset:20528
	;; [unrolled: 1-line block ×6, first 2 shown]
	s_wait_dscnt 0x4
	;;#ASMSTART
	v_dot2_f32_f16 v19, v0, v23, v19
	;;#ASMEND
	;;#ASMSTART
	v_dot2_f32_f16 v19, v1, v24, v19
	;;#ASMEND
	;;#ASMSTART
	v_dot2_f32_f16 v19, v2, v25, v19
	;;#ASMEND
	;;#ASMSTART
	v_dot2_f32_f16 v19, v3, v26, v19
	;;#ASMEND
	s_wait_dscnt 0x3
	;;#ASMSTART
	v_dot2_f32_f16 v16, v0, v27, v16
	;;#ASMEND
	;;#ASMSTART
	v_dot2_f32_f16 v16, v1, v28, v16
	;;#ASMEND
	;;#ASMSTART
	v_dot2_f32_f16 v16, v2, v29, v16
	;;#ASMEND
	;;#ASMSTART
	v_dot2_f32_f16 v16, v3, v30, v16
	;;#ASMEND
	;; [unrolled: 13-line block ×3, first 2 shown]
	;;#ASMSTART
	v_dot2_f32_f16 v17, v43, v27, v17
	;;#ASMEND
	;;#ASMSTART
	v_dot2_f32_f16 v17, v44, v28, v17
	;;#ASMEND
	;; [unrolled: 3-line block ×4, first 2 shown]
	s_wait_dscnt 0x1
	;;#ASMSTART
	v_dot2_f32_f16 v20, v47, v23, v20
	;;#ASMEND
	;;#ASMSTART
	v_dot2_f32_f16 v20, v48, v24, v20
	;;#ASMEND
	;; [unrolled: 3-line block ×8, first 2 shown]
	s_wait_dscnt 0x0
	;;#ASMSTART
	v_dot2_f32_f16 v22, v51, v23, v22
	;;#ASMEND
	;;#ASMSTART
	v_dot2_f32_f16 v22, v52, v24, v22
	;;#ASMEND
	;; [unrolled: 3-line block ×8, first 2 shown]
	ds_load_b128 v[0:3], v39 offset:64
	ds_load_b128 v[23:26], v40 offset:20544
	;; [unrolled: 1-line block ×6, first 2 shown]
	s_wait_dscnt 0x4
	;;#ASMSTART
	v_dot2_f32_f16 v19, v0, v23, v19
	;;#ASMEND
	;;#ASMSTART
	v_dot2_f32_f16 v19, v1, v24, v19
	;;#ASMEND
	;;#ASMSTART
	v_dot2_f32_f16 v19, v2, v25, v19
	;;#ASMEND
	;;#ASMSTART
	v_dot2_f32_f16 v19, v3, v26, v19
	;;#ASMEND
	s_wait_dscnt 0x3
	;;#ASMSTART
	v_dot2_f32_f16 v16, v0, v27, v16
	;;#ASMEND
	;;#ASMSTART
	v_dot2_f32_f16 v16, v1, v28, v16
	;;#ASMEND
	;;#ASMSTART
	v_dot2_f32_f16 v16, v2, v29, v16
	;;#ASMEND
	;;#ASMSTART
	v_dot2_f32_f16 v16, v3, v30, v16
	;;#ASMEND
	;; [unrolled: 13-line block ×3, first 2 shown]
	;;#ASMSTART
	v_dot2_f32_f16 v17, v43, v27, v17
	;;#ASMEND
	;;#ASMSTART
	v_dot2_f32_f16 v17, v44, v28, v17
	;;#ASMEND
	;; [unrolled: 3-line block ×4, first 2 shown]
	s_wait_dscnt 0x1
	;;#ASMSTART
	v_dot2_f32_f16 v20, v47, v23, v20
	;;#ASMEND
	;;#ASMSTART
	v_dot2_f32_f16 v20, v48, v24, v20
	;;#ASMEND
	;; [unrolled: 3-line block ×8, first 2 shown]
	s_wait_dscnt 0x0
	;;#ASMSTART
	v_dot2_f32_f16 v22, v51, v23, v22
	;;#ASMEND
	;;#ASMSTART
	v_dot2_f32_f16 v22, v52, v24, v22
	;;#ASMEND
	;; [unrolled: 3-line block ×8, first 2 shown]
	ds_load_b128 v[0:3], v39 offset:80
	ds_load_b128 v[23:26], v40 offset:20560
	;; [unrolled: 1-line block ×6, first 2 shown]
	s_wait_dscnt 0x4
	;;#ASMSTART
	v_dot2_f32_f16 v19, v0, v23, v19
	;;#ASMEND
	;;#ASMSTART
	v_dot2_f32_f16 v19, v1, v24, v19
	;;#ASMEND
	;;#ASMSTART
	v_dot2_f32_f16 v19, v2, v25, v19
	;;#ASMEND
	;;#ASMSTART
	v_dot2_f32_f16 v19, v3, v26, v19
	;;#ASMEND
	s_wait_dscnt 0x3
	;;#ASMSTART
	v_dot2_f32_f16 v16, v0, v27, v16
	;;#ASMEND
	;;#ASMSTART
	v_dot2_f32_f16 v16, v1, v28, v16
	;;#ASMEND
	;;#ASMSTART
	v_dot2_f32_f16 v16, v2, v29, v16
	;;#ASMEND
	;;#ASMSTART
	v_dot2_f32_f16 v16, v3, v30, v16
	;;#ASMEND
	;; [unrolled: 13-line block ×3, first 2 shown]
	;;#ASMSTART
	v_dot2_f32_f16 v17, v43, v27, v17
	;;#ASMEND
	;;#ASMSTART
	v_dot2_f32_f16 v17, v44, v28, v17
	;;#ASMEND
	;; [unrolled: 3-line block ×4, first 2 shown]
	s_wait_dscnt 0x1
	;;#ASMSTART
	v_dot2_f32_f16 v20, v47, v23, v20
	;;#ASMEND
	;;#ASMSTART
	v_dot2_f32_f16 v20, v48, v24, v20
	;;#ASMEND
	;; [unrolled: 3-line block ×8, first 2 shown]
	s_wait_dscnt 0x0
	;;#ASMSTART
	v_dot2_f32_f16 v22, v51, v23, v22
	;;#ASMEND
	;;#ASMSTART
	v_dot2_f32_f16 v22, v52, v24, v22
	;;#ASMEND
	;; [unrolled: 3-line block ×8, first 2 shown]
	ds_load_b128 v[0:3], v39 offset:96
	ds_load_b128 v[23:26], v40 offset:20576
	ds_load_b128 v[27:30], v40 offset:20704
	ds_load_b128 v[43:46], v39 offset:4704
	ds_load_b128 v[47:50], v39 offset:9312
	ds_load_b128 v[51:54], v39 offset:13920
	s_wait_dscnt 0x4
	;;#ASMSTART
	v_dot2_f32_f16 v19, v0, v23, v19
	;;#ASMEND
	;;#ASMSTART
	v_dot2_f32_f16 v19, v1, v24, v19
	;;#ASMEND
	;;#ASMSTART
	v_dot2_f32_f16 v19, v2, v25, v19
	;;#ASMEND
	;;#ASMSTART
	v_dot2_f32_f16 v19, v3, v26, v19
	;;#ASMEND
	s_wait_dscnt 0x3
	;;#ASMSTART
	v_dot2_f32_f16 v16, v0, v27, v16
	;;#ASMEND
	;;#ASMSTART
	v_dot2_f32_f16 v16, v1, v28, v16
	;;#ASMEND
	;;#ASMSTART
	v_dot2_f32_f16 v16, v2, v29, v16
	;;#ASMEND
	;;#ASMSTART
	v_dot2_f32_f16 v16, v3, v30, v16
	;;#ASMEND
	;; [unrolled: 13-line block ×3, first 2 shown]
	;;#ASMSTART
	v_dot2_f32_f16 v17, v43, v27, v17
	;;#ASMEND
	;;#ASMSTART
	v_dot2_f32_f16 v17, v44, v28, v17
	;;#ASMEND
	;; [unrolled: 3-line block ×4, first 2 shown]
	s_wait_dscnt 0x1
	;;#ASMSTART
	v_dot2_f32_f16 v20, v47, v23, v20
	;;#ASMEND
	;;#ASMSTART
	v_dot2_f32_f16 v20, v48, v24, v20
	;;#ASMEND
	;; [unrolled: 3-line block ×8, first 2 shown]
	s_wait_dscnt 0x0
	;;#ASMSTART
	v_dot2_f32_f16 v22, v51, v23, v22
	;;#ASMEND
	;;#ASMSTART
	v_dot2_f32_f16 v22, v52, v24, v22
	;;#ASMEND
	;; [unrolled: 3-line block ×8, first 2 shown]
	ds_load_b128 v[24:27], v39 offset:112
	ds_load_b128 v[30:33], v40 offset:20592
	;; [unrolled: 1-line block ×4, first 2 shown]
	v_mad_co_u64_u32 v[2:3], null, v38, s16, s[20:21]
	ds_load_b128 v[51:54], v39 offset:9328
	ds_load_b128 v[38:41], v39 offset:13936
	s_wait_dscnt 0x4
	;;#ASMSTART
	v_dot2_f32_f16 v19, v24, v30, v19
	;;#ASMEND
	;;#ASMSTART
	v_dot2_f32_f16 v19, v25, v31, v19
	;;#ASMEND
	;;#ASMSTART
	v_dot2_f32_f16 v19, v26, v32, v19
	;;#ASMEND
	;;#ASMSTART
	v_dot2_f32_f16 v19, v27, v33, v19
	;;#ASMEND
	s_wait_dscnt 0x3
	;;#ASMSTART
	v_dot2_f32_f16 v16, v24, v43, v16
	;;#ASMEND
	;;#ASMSTART
	v_dot2_f32_f16 v16, v25, v44, v16
	;;#ASMEND
	;;#ASMSTART
	v_dot2_f32_f16 v16, v26, v45, v16
	;;#ASMEND
	;;#ASMSTART
	v_dot2_f32_f16 v16, v27, v46, v16
	;;#ASMEND
	;; [unrolled: 13-line block ×3, first 2 shown]
	;;#ASMSTART
	v_dot2_f32_f16 v17, v47, v43, v17
	;;#ASMEND
	;;#ASMSTART
	v_dot2_f32_f16 v17, v48, v44, v17
	;;#ASMEND
	;; [unrolled: 3-line block ×4, first 2 shown]
	s_wait_dscnt 0x1
	;;#ASMSTART
	v_dot2_f32_f16 v20, v51, v30, v20
	;;#ASMEND
	;;#ASMSTART
	v_dot2_f32_f16 v20, v52, v31, v20
	;;#ASMEND
	;; [unrolled: 3-line block ×7, first 2 shown]
	v_mov_b32_e32 v0, v4
	;;#ASMSTART
	v_dot2_f32_f16 v18, v54, v46, v18
	;;#ASMEND
	s_wait_dscnt 0x0
	;;#ASMSTART
	v_dot2_f32_f16 v22, v38, v30, v22
	;;#ASMEND
	v_mov_b32_e32 v23, 0
	v_mov_b32_e32 v1, v5
	s_wait_alu 0xfffe
	v_cndmask_b32_e64 v29, 0, 1, s12
	;;#ASMSTART
	v_dot2_f32_f16 v22, v39, v31, v22
	;;#ASMEND
	;;#ASMSTART
	v_dot2_f32_f16 v22, v40, v32, v22
	;;#ASMEND
	;;#ASMSTART
	v_dot2_f32_f16 v22, v41, v33, v22
	;;#ASMEND
	;;#ASMSTART
	v_dot2_f32_f16 v15, v38, v43, v15
	;;#ASMEND
	;;#ASMSTART
	v_dot2_f32_f16 v15, v39, v44, v15
	;;#ASMEND
	;;#ASMSTART
	v_dot2_f32_f16 v15, v40, v45, v15
	;;#ASMEND
	;;#ASMSTART
	v_dot2_f32_f16 v15, v41, v46, v15
	;;#ASMEND
	s_and_saveexec_b32 s11, s10
	s_cbranch_execz .LBB62_36
; %bb.33:
	s_and_not1_b32 vcc_lo, exec_lo, s12
	s_wait_alu 0xfffe
	s_cbranch_vccnz .LBB62_35
; %bb.34:
	v_add_nc_u32_e32 v0, v2, v135
	s_delay_alu instid0(VALU_DEP_1) | instskip(NEXT) | instid1(VALU_DEP_1)
	v_ashrrev_i32_e32 v1, 31, v0
	v_lshlrev_b64_e32 v[0:1], 1, v[0:1]
	s_delay_alu instid0(VALU_DEP_1) | instskip(SKIP_1) | instid1(VALU_DEP_2)
	v_add_co_u32 v0, vcc_lo, s14, v0
	s_wait_alu 0xfffd
	v_add_co_ci_u32_e64 v1, null, s15, v1, vcc_lo
	global_load_u16 v0, v[0:1], off
	s_wait_loadcnt 0x0
	v_cvt_f32_f16_e32 v0, v0
	s_delay_alu instid0(VALU_DEP_1)
	v_mul_f32_e32 v23, v36, v0
.LBB62_35:
	s_delay_alu instid0(VALU_DEP_1) | instskip(NEXT) | instid1(VALU_DEP_1)
	v_dual_add_f32 v19, v19, v23 :: v_dual_max_num_f32 v0, v4, v4
	v_add_f32_e32 v1, 0x40051340, v19
	s_delay_alu instid0(VALU_DEP_1)
	v_dual_max_num_f32 v0, v0, v1 :: v_dual_mov_b32 v1, v5
.LBB62_36:
	s_wait_alu 0xfffe
	s_or_b32 exec_lo, exec_lo, s11
	v_add_nc_u32_e32 v23, 32, v135
	s_delay_alu instid0(VALU_DEP_1)
	v_cmp_gt_i32_e64 s11, s17, v23
	s_and_saveexec_b32 s12, s11
	s_cbranch_execz .LBB62_41
; %bb.37:
	v_cmp_ne_u32_e32 vcc_lo, 1, v29
	s_cbranch_vccnz .LBB62_39
; %bb.38:
	v_ashrrev_i32_e32 v3, 31, v2
	v_add_co_u32 v24, vcc_lo, v2, v135
	s_wait_alu 0xfffd
	s_delay_alu instid0(VALU_DEP_2) | instskip(NEXT) | instid1(VALU_DEP_1)
	v_add_co_ci_u32_e64 v25, null, 0, v3, vcc_lo
	v_lshlrev_b64_e32 v[24:25], 1, v[24:25]
	s_delay_alu instid0(VALU_DEP_1) | instskip(SKIP_1) | instid1(VALU_DEP_2)
	v_add_co_u32 v24, vcc_lo, s14, v24
	s_wait_alu 0xfffd
	v_add_co_ci_u32_e64 v25, null, s15, v25, vcc_lo
	global_load_u16 v3, v[24:25], off offset:64
	s_wait_loadcnt 0x0
	v_cvt_f32_f16_e32 v3, v3
	s_delay_alu instid0(VALU_DEP_1)
	v_mul_f32_e32 v3, v36, v3
	s_branch .LBB62_40
.LBB62_39:
	v_mov_b32_e32 v3, 0
.LBB62_40:
	s_delay_alu instid0(VALU_DEP_1) | instskip(NEXT) | instid1(VALU_DEP_1)
	v_dual_add_f32 v21, v21, v3 :: v_dual_max_num_f32 v0, v0, v0
	v_add_f32_e32 v3, 0x40051340, v21
	s_delay_alu instid0(VALU_DEP_1)
	v_max_num_f32_e32 v0, v0, v3
.LBB62_41:
	s_wait_alu 0xfffe
	s_or_b32 exec_lo, exec_lo, s12
	v_add_nc_u32_e32 v24, 64, v135
	s_delay_alu instid0(VALU_DEP_1)
	v_cmp_gt_i32_e64 s12, s17, v24
	s_and_saveexec_b32 s13, s12
	s_cbranch_execz .LBB62_46
; %bb.42:
	v_cmp_ne_u32_e32 vcc_lo, 1, v29
	s_cbranch_vccnz .LBB62_44
; %bb.43:
	v_ashrrev_i32_e32 v3, 31, v2
	v_add_co_u32 v25, vcc_lo, v2, v135
	s_wait_alu 0xfffd
	s_delay_alu instid0(VALU_DEP_2) | instskip(NEXT) | instid1(VALU_DEP_1)
	v_add_co_ci_u32_e64 v26, null, 0, v3, vcc_lo
	v_lshlrev_b64_e32 v[25:26], 1, v[25:26]
	s_delay_alu instid0(VALU_DEP_1) | instskip(SKIP_1) | instid1(VALU_DEP_2)
	v_add_co_u32 v25, vcc_lo, s14, v25
	s_wait_alu 0xfffd
	v_add_co_ci_u32_e64 v26, null, s15, v26, vcc_lo
	global_load_u16 v3, v[25:26], off offset:128
	s_wait_loadcnt 0x0
	v_cvt_f32_f16_e32 v3, v3
	s_delay_alu instid0(VALU_DEP_1)
	v_mul_f32_e32 v3, v36, v3
	s_branch .LBB62_45
.LBB62_44:
	v_mov_b32_e32 v3, 0
.LBB62_45:
	s_delay_alu instid0(VALU_DEP_1) | instskip(SKIP_1) | instid1(VALU_DEP_2)
	v_add_f32_e32 v20, v20, v3
	v_max_num_f32_e32 v0, v0, v0
	v_add_f32_e32 v3, 0x40051340, v20
	s_delay_alu instid0(VALU_DEP_1)
	v_max_num_f32_e32 v0, v0, v3
.LBB62_46:
	s_wait_alu 0xfffe
	s_or_b32 exec_lo, exec_lo, s13
	v_add_nc_u32_e32 v25, 0x60, v135
	s_delay_alu instid0(VALU_DEP_1)
	v_cmp_gt_i32_e64 s13, s17, v25
	s_and_saveexec_b32 s18, s13
	s_cbranch_execz .LBB62_51
; %bb.47:
	v_cmp_ne_u32_e32 vcc_lo, 1, v29
	s_cbranch_vccnz .LBB62_49
; %bb.48:
	v_ashrrev_i32_e32 v3, 31, v2
	v_add_co_u32 v2, vcc_lo, v2, v135
	s_wait_alu 0xfffd
	s_delay_alu instid0(VALU_DEP_2) | instskip(NEXT) | instid1(VALU_DEP_1)
	v_add_co_ci_u32_e64 v3, null, 0, v3, vcc_lo
	v_lshlrev_b64_e32 v[2:3], 1, v[2:3]
	s_delay_alu instid0(VALU_DEP_1) | instskip(SKIP_1) | instid1(VALU_DEP_2)
	v_add_co_u32 v2, vcc_lo, s14, v2
	s_wait_alu 0xfffd
	v_add_co_ci_u32_e64 v3, null, s15, v3, vcc_lo
	global_load_u16 v2, v[2:3], off offset:192
	s_wait_loadcnt 0x0
	v_cvt_f32_f16_e32 v2, v2
	s_delay_alu instid0(VALU_DEP_1)
	v_mul_f32_e32 v2, v36, v2
	s_branch .LBB62_50
.LBB62_49:
	v_mov_b32_e32 v2, 0
.LBB62_50:
	s_delay_alu instid0(VALU_DEP_1) | instskip(SKIP_1) | instid1(VALU_DEP_2)
	v_add_f32_e32 v22, v22, v2
	v_max_num_f32_e32 v0, v0, v0
	v_add_f32_e32 v2, 0x40051340, v22
	s_delay_alu instid0(VALU_DEP_1)
	v_max_num_f32_e32 v0, v0, v2
.LBB62_51:
	s_or_b32 exec_lo, exec_lo, s18
	v_xor_b32_e32 v141, 16, v137
	v_xor_b32_e32 v168, 8, v137
	s_delay_alu instid0(VALU_DEP_3)
	v_max_num_f32_e32 v26, v0, v0
	v_xor_b32_e32 v142, 4, v137
	v_xor_b32_e32 v143, 2, v137
	v_cmp_gt_i32_e32 vcc_lo, 32, v141
	v_xor_b32_e32 v144, 1, v137
	v_mul_hi_u32 v31, s36, v37
	s_wait_alu 0xfffd
	v_dual_mov_b32 v145, 32 :: v_dual_cndmask_b32 v2, v137, v141
	v_cmp_gt_i32_e32 vcc_lo, 32, v168
	s_wait_alu 0xfffd
	s_delay_alu instid0(VALU_DEP_2)
	v_dual_cndmask_b32 v3, v137, v168 :: v_dual_lshlrev_b32 v30, 2, v2
	v_cmp_gt_i32_e32 vcc_lo, 32, v142
	ds_bpermute_b32 v2, v30, v0
	v_lshlrev_b32_e32 v0, 2, v3
	s_wait_dscnt 0x0
	v_max_num_f32_e32 v2, v2, v2
	s_delay_alu instid0(VALU_DEP_1)
	v_max_num_f32_e32 v2, v26, v2
	s_wait_alu 0xfffd
	v_cndmask_b32_e32 v26, v137, v142, vcc_lo
	v_cmp_gt_i32_e32 vcc_lo, 32, v143
	ds_bpermute_b32 v3, v0, v2
	v_lshlrev_b32_e32 v28, 2, v26
	s_wait_alu 0xfffd
	v_cndmask_b32_e32 v26, v137, v143, vcc_lo
	v_cmp_gt_i32_e32 vcc_lo, 32, v144
	s_wait_alu 0xfffd
	s_delay_alu instid0(VALU_DEP_2) | instskip(SKIP_1) | instid1(VALU_DEP_1)
	v_dual_cndmask_b32 v26, v137, v144 :: v_dual_lshlrev_b32 v27, 2, v26
	s_wait_dscnt 0x0
	v_dual_max_num_f32 v3, v3, v3 :: v_dual_lshlrev_b32 v26, 2, v26
	s_delay_alu instid0(VALU_DEP_1) | instskip(SKIP_3) | instid1(VALU_DEP_1)
	v_max_num_f32_e32 v2, v2, v3
	ds_bpermute_b32 v3, v28, v2
	s_wait_dscnt 0x0
	v_max_num_f32_e32 v3, v3, v3
	v_max_num_f32_e32 v2, v2, v3
	ds_bpermute_b32 v3, v27, v2
	s_wait_dscnt 0x0
	v_max_num_f32_e32 v3, v3, v3
	s_delay_alu instid0(VALU_DEP_1) | instskip(SKIP_3) | instid1(VALU_DEP_1)
	v_max_num_f32_e32 v32, v2, v3
	v_add_nc_u32_e32 v2, v37, v31
	ds_bpermute_b32 v3, v26, v32
	v_lshrrev_b32_e32 v2, s37, v2
	v_mul_lo_u32 v2, v2, s38
	s_delay_alu instid0(VALU_DEP_1) | instskip(SKIP_2) | instid1(VALU_DEP_2)
	v_sub_nc_u32_e32 v2, v37, v2
	s_wait_dscnt 0x0
	v_max_num_f32_e32 v31, v3, v3
	v_mad_co_u64_u32 v[2:3], null, v2, s16, s[20:21]
	s_delay_alu instid0(VALU_DEP_2)
	v_max_num_f32_e32 v40, v32, v31
	s_and_saveexec_b32 s16, s10
	s_cbranch_execnz .LBB62_55
; %bb.52:
	s_wait_alu 0xfffe
	s_or_b32 exec_lo, exec_lo, s16
	s_and_saveexec_b32 s10, s11
	s_cbranch_execnz .LBB62_59
.LBB62_53:
	s_wait_alu 0xfffe
	s_or_b32 exec_lo, exec_lo, s10
	s_and_saveexec_b32 s10, s12
	s_cbranch_execnz .LBB62_63
.LBB62_54:
	s_wait_alu 0xfffe
	s_or_b32 exec_lo, exec_lo, s10
	s_and_saveexec_b32 s10, s13
	s_cbranch_execnz .LBB62_67
	s_branch .LBB62_71
.LBB62_55:
	v_cmp_ne_u32_e32 vcc_lo, 1, v29
	s_cbranch_vccnz .LBB62_57
; %bb.56:
	s_delay_alu instid0(VALU_DEP_3) | instskip(NEXT) | instid1(VALU_DEP_1)
	v_add_nc_u32_e32 v31, v2, v135
	v_ashrrev_i32_e32 v32, 31, v31
	s_delay_alu instid0(VALU_DEP_1) | instskip(NEXT) | instid1(VALU_DEP_1)
	v_lshlrev_b64_e32 v[31:32], 1, v[31:32]
	v_add_co_u32 v31, vcc_lo, s14, v31
	s_wait_alu 0xfffd
	s_delay_alu instid0(VALU_DEP_2) | instskip(SKIP_3) | instid1(VALU_DEP_1)
	v_add_co_ci_u32_e64 v32, null, s15, v32, vcc_lo
	global_load_u16 v3, v[31:32], off
	s_wait_loadcnt 0x0
	v_cvt_f32_f16_e32 v3, v3
	v_mul_f32_e32 v3, v36, v3
	s_branch .LBB62_58
.LBB62_57:
	v_mov_b32_e32 v3, 0
.LBB62_58:
	s_delay_alu instid0(VALU_DEP_1) | instskip(NEXT) | instid1(VALU_DEP_1)
	v_dual_add_f32 v16, v16, v3 :: v_dual_max_num_f32 v1, v1, v1
	v_add_f32_e32 v3, 0x40051340, v16
	s_delay_alu instid0(VALU_DEP_1)
	v_max_num_f32_e32 v1, v1, v3
	s_wait_alu 0xfffe
	s_or_b32 exec_lo, exec_lo, s16
	s_and_saveexec_b32 s10, s11
	s_cbranch_execz .LBB62_53
.LBB62_59:
	v_cmp_ne_u32_e32 vcc_lo, 1, v29
	s_cbranch_vccnz .LBB62_61
; %bb.60:
	v_ashrrev_i32_e32 v3, 31, v2
	v_add_co_u32 v31, vcc_lo, v2, v135
	s_wait_alu 0xfffd
	s_delay_alu instid0(VALU_DEP_2) | instskip(NEXT) | instid1(VALU_DEP_1)
	v_add_co_ci_u32_e64 v32, null, 0, v3, vcc_lo
	v_lshlrev_b64_e32 v[31:32], 1, v[31:32]
	s_delay_alu instid0(VALU_DEP_1) | instskip(SKIP_1) | instid1(VALU_DEP_2)
	v_add_co_u32 v31, vcc_lo, s14, v31
	s_wait_alu 0xfffd
	v_add_co_ci_u32_e64 v32, null, s15, v32, vcc_lo
	global_load_u16 v3, v[31:32], off offset:64
	s_wait_loadcnt 0x0
	v_cvt_f32_f16_e32 v3, v3
	s_delay_alu instid0(VALU_DEP_1)
	v_mul_f32_e32 v3, v36, v3
	s_branch .LBB62_62
.LBB62_61:
	v_mov_b32_e32 v3, 0
.LBB62_62:
	s_delay_alu instid0(VALU_DEP_1) | instskip(SKIP_1) | instid1(VALU_DEP_2)
	v_add_f32_e32 v17, v17, v3
	v_max_num_f32_e32 v1, v1, v1
	v_add_f32_e32 v3, 0x40051340, v17
	s_delay_alu instid0(VALU_DEP_1)
	v_max_num_f32_e32 v1, v1, v3
	s_wait_alu 0xfffe
	s_or_b32 exec_lo, exec_lo, s10
	s_and_saveexec_b32 s10, s12
	s_cbranch_execz .LBB62_54
.LBB62_63:
	v_cmp_ne_u32_e32 vcc_lo, 1, v29
	s_cbranch_vccnz .LBB62_65
; %bb.64:
	v_ashrrev_i32_e32 v3, 31, v2
	v_add_co_u32 v31, vcc_lo, v2, v135
	s_wait_alu 0xfffd
	s_delay_alu instid0(VALU_DEP_2) | instskip(NEXT) | instid1(VALU_DEP_1)
	v_add_co_ci_u32_e64 v32, null, 0, v3, vcc_lo
	v_lshlrev_b64_e32 v[31:32], 1, v[31:32]
	s_delay_alu instid0(VALU_DEP_1) | instskip(SKIP_1) | instid1(VALU_DEP_2)
	v_add_co_u32 v31, vcc_lo, s14, v31
	s_wait_alu 0xfffd
	v_add_co_ci_u32_e64 v32, null, s15, v32, vcc_lo
	global_load_u16 v3, v[31:32], off offset:128
	s_wait_loadcnt 0x0
	v_cvt_f32_f16_e32 v3, v3
	s_delay_alu instid0(VALU_DEP_1)
	v_mul_f32_e32 v3, v36, v3
	s_branch .LBB62_66
.LBB62_65:
	v_mov_b32_e32 v3, 0
.LBB62_66:
	s_delay_alu instid0(VALU_DEP_1) | instskip(NEXT) | instid1(VALU_DEP_1)
	v_dual_add_f32 v18, v18, v3 :: v_dual_max_num_f32 v1, v1, v1
	v_add_f32_e32 v3, 0x40051340, v18
	s_delay_alu instid0(VALU_DEP_1)
	v_max_num_f32_e32 v1, v1, v3
	s_wait_alu 0xfffe
	s_or_b32 exec_lo, exec_lo, s10
	s_and_saveexec_b32 s10, s13
	s_cbranch_execz .LBB62_71
.LBB62_67:
	v_cmp_ne_u32_e32 vcc_lo, 1, v29
	s_cbranch_vccnz .LBB62_69
; %bb.68:
	v_ashrrev_i32_e32 v3, 31, v2
	v_add_co_u32 v2, vcc_lo, v2, v135
	s_wait_alu 0xfffd
	s_delay_alu instid0(VALU_DEP_2) | instskip(NEXT) | instid1(VALU_DEP_1)
	v_add_co_ci_u32_e64 v3, null, 0, v3, vcc_lo
	v_lshlrev_b64_e32 v[2:3], 1, v[2:3]
	s_delay_alu instid0(VALU_DEP_1) | instskip(SKIP_1) | instid1(VALU_DEP_2)
	v_add_co_u32 v2, vcc_lo, s14, v2
	s_wait_alu 0xfffd
	v_add_co_ci_u32_e64 v3, null, s15, v3, vcc_lo
	global_load_u16 v2, v[2:3], off offset:192
	s_wait_loadcnt 0x0
	v_cvt_f32_f16_e32 v2, v2
	s_delay_alu instid0(VALU_DEP_1)
	v_mul_f32_e32 v2, v36, v2
	s_branch .LBB62_70
.LBB62_69:
	v_mov_b32_e32 v2, 0
.LBB62_70:
	s_delay_alu instid0(VALU_DEP_1) | instskip(NEXT) | instid1(VALU_DEP_1)
	v_add_f32_e32 v15, v15, v2
	v_dual_max_num_f32 v1, v1, v1 :: v_dual_add_f32 v2, 0x40051340, v15
	s_delay_alu instid0(VALU_DEP_1)
	v_max_num_f32_e32 v1, v1, v2
.LBB62_71:
	s_wait_alu 0xfffe
	s_or_b32 exec_lo, exec_lo, s10
	ds_bpermute_b32 v2, v30, v1
	v_max_num_f32_e32 v1, v1, v1
	s_mov_b32 s16, 0
	v_cmp_gt_u32_e32 vcc_lo, s17, v135
	v_cmp_gt_u32_e64 s10, s17, v23
	v_cmp_gt_u32_e64 s11, s17, v24
	;; [unrolled: 1-line block ×3, first 2 shown]
	s_wait_alu 0xfffe
	s_mov_b32 s17, s16
	s_mov_b32 s18, s16
	v_sub_f32_e32 v3, v19, v40
	v_sub_f32_e32 v31, v20, v40
	;; [unrolled: 1-line block ×3, first 2 shown]
	s_ashr_i32 s27, s26, 31
	s_mov_b64 s[36:37], src_private_base
	s_wait_alu 0xfffe
	s_mul_u64 s[44:45], s[20:21], s[26:27]
	s_clause 0x2
	scratch_store_b32 off, v136, off offset:24
	scratch_store_b32 off, v134, off offset:20
	;; [unrolled: 1-line block ×3, first 2 shown]
	s_wait_alu 0xfffe
	s_lshl_b64 s[44:45], s[44:45], 2
	s_wait_storecnt 0x0
	s_wait_loadcnt_dscnt 0x0
	s_wait_alu 0xfffe
	s_add_nc_u64 s[42:43], s[42:43], s[44:45]
	s_barrier_signal -1
	v_max_num_f32_e32 v2, v2, v2
	s_barrier_wait -1
	global_inv scope:SCOPE_SE
	v_add_nc_u32_e32 v128, 0x3800, v34
	v_dual_max_num_f32 v1, v1, v2 :: v_dual_lshlrev_b32 v146, 9, v35
	v_add_nc_u32_e32 v82, 0x2400, v34
	v_add_nc_u32_e32 v90, 0x2800, v34
	;; [unrolled: 1-line block ×3, first 2 shown]
	ds_bpermute_b32 v0, v0, v1
	s_wait_dscnt 0x0
	v_max_num_f32_e32 v2, v0, v0
	v_sub_f32_e32 v22, v22, v40
	v_mul_lo_u32 v0, s26, v7
	v_lshl_or_b32 v7, v7, 7, v6
	s_delay_alu instid0(VALU_DEP_4) | instskip(NEXT) | instid1(VALU_DEP_4)
	v_dual_max_num_f32 v19, v1, v2 :: v_dual_mov_b32 v2, 0
	v_mul_f32_e32 v36, 0x3fb8aa3b, v22
	v_cmp_nlt_f32_e64 s20, 0x42b17218, v22
	v_cmp_ngt_f32_e64 s13, 0xc2ce8ed0, v3
	ds_bpermute_b32 v1, v28, v19
	v_add_nc_u32_e32 v20, 0x4800, v146
	v_mov_b32_e32 v30, s18
	v_dual_mul_f32 v32, 0x3fb8aa3b, v3 :: v_dual_mul_f32 v33, 0x3fb8aa3b, v21
	v_dual_mov_b32 v28, s16 :: v_dual_mul_f32 v35, 0x3fb8aa3b, v31
	v_mov_b32_e32 v29, s17
	s_delay_alu instid0(VALU_DEP_3)
	v_fma_f32 v38, 0x3fb8aa3b, v3, -v32
	v_rndne_f32_e32 v39, v32
	v_fma_f32 v41, 0x3fb8aa3b, v21, -v33
	v_rndne_f32_e32 v43, v33
	;; [unrolled: 2-line block ×3, first 2 shown]
	s_delay_alu instid0(VALU_DEP_4)
	v_dual_fmac_f32 v38, 0x32a5705f, v3 :: v_dual_fmac_f32 v41, 0x32a5705f, v21
	v_cmp_ngt_f32_e64 s14, 0xc2ce8ed0, v21
	v_cmp_nlt_f32_e64 s18, 0x42b17218, v21
	v_fma_f32 v46, 0x3fb8aa3b, v22, -v36
	v_rndne_f32_e32 v47, v36
	s_wait_dscnt 0x0
	v_dual_max_num_f32 v37, v1, v1 :: v_dual_add_nc_u32 v48, v20, v34
	v_ashrrev_i32_e32 v1, 31, v0
	v_lshl_add_u32 v49, v23, 2, v20
	v_lshl_add_u32 v50, v24, 2, v20
	s_delay_alu instid0(VALU_DEP_4)
	v_max_num_f32_e32 v37, v19, v37
	v_lshl_add_u32 v25, v25, 2, v20
	v_lshlrev_b64_e32 v[19:20], 2, v[0:1]
	v_dual_sub_f32 v1, v32, v39 :: v_dual_sub_f32 v24, v35, v45
	ds_bpermute_b32 v27, v27, v37
	v_dual_sub_f32 v21, v33, v43 :: v_dual_fmac_f32 v46, 0x32a5705f, v22
	v_dual_fmac_f32 v44, 0x32a5705f, v31 :: v_dual_add_f32 v1, v1, v38
	v_cmp_ngt_f32_e64 s16, 0xc2ce8ed0, v22
	s_delay_alu instid0(VALU_DEP_3) | instskip(NEXT) | instid1(VALU_DEP_3)
	v_dual_sub_f32 v22, v36, v47 :: v_dual_add_f32 v21, v21, v41
	v_add_f32_e32 v24, v24, v44
	s_delay_alu instid0(VALU_DEP_4) | instskip(SKIP_1) | instid1(VALU_DEP_3)
	v_exp_f32_e32 v1, v1
	v_cmp_nlt_f32_e64 s17, 0x42b17218, v3
	v_add_f32_e32 v22, v22, v46
	v_exp_f32_e32 v21, v21
	v_cvt_i32_f32_e32 v3, v39
	v_cvt_i32_f32_e32 v23, v43
	v_exp_f32_e32 v24, v24
	v_exp_f32_e32 v22, v22
	v_cvt_i32_f32_e32 v32, v47
	s_wait_alu 0xfffe
	v_add_co_u32 v19, s21, s42, v19
	s_wait_dscnt 0x0
	v_max_num_f32_e32 v27, v27, v27
	v_cmp_ngt_f32_e64 s15, 0xc2ce8ed0, v31
	v_cmp_nlt_f32_e64 s19, 0x42b17218, v31
	v_cvt_i32_f32_e32 v31, v45
	s_wait_alu 0xf1ff
	v_add_co_ci_u32_e64 v20, null, s43, v20, s21
	v_max_num_f32_e32 v27, v37, v27
	v_ldexp_f32 v1, v1, v3
	v_ldexp_f32 v3, v21, v23
	;; [unrolled: 1-line block ×3, first 2 shown]
	v_add_co_u32 v33, s21, v19, v6
	ds_bpermute_b32 v26, v26, v27
	v_ldexp_f32 v19, v24, v31
	s_wait_alu 0xf1ff
	v_add_co_ci_u32_e64 v24, null, 0, v20, s21
	v_cndmask_b32_e64 v3, 0, v3, s14
	v_cndmask_b32_e64 v20, 0, v21, s16
	;; [unrolled: 1-line block ×9, first 2 shown]
	s_clause 0x1
	scratch_store_b32 off, v2, off
	scratch_store_b96 off, v[28:30], off offset:4
	v_cndmask_b32_e64 v22, 0, v3, s10
	v_cndmask_b32_e64 v20, 0, v19, s11
	;; [unrolled: 1-line block ×3, first 2 shown]
	s_wait_dscnt 0x0
	v_max_num_f32_e32 v21, v26, v26
	s_delay_alu instid0(VALU_DEP_1) | instskip(SKIP_2) | instid1(VALU_DEP_2)
	v_max_num_f32_e32 v41, v27, v21
	s_wait_alu 0xfffd
	v_cndmask_b32_e32 v21, 0, v1, vcc_lo
	v_sub_f32_e32 v3, v17, v41
	v_sub_f32_e32 v1, v16, v41
	;; [unrolled: 1-line block ×3, first 2 shown]
	s_delay_alu instid0(VALU_DEP_2) | instskip(SKIP_3) | instid1(VALU_DEP_4)
	v_dual_mul_f32 v18, 0x3fb8aa3b, v3 :: v_dual_mul_f32 v17, 0x3fb8aa3b, v1
	v_cmp_ngt_f32_e64 s13, 0xc2ce8ed0, v1
	v_cmp_nlt_f32_e64 s17, 0x42b17218, v1
	v_cmp_ngt_f32_e64 s14, 0xc2ce8ed0, v3
	v_rndne_f32_e32 v36, v18
	v_fma_f32 v35, 0x3fb8aa3b, v3, -v18
	v_fma_f32 v31, 0x3fb8aa3b, v1, -v17
	v_rndne_f32_e32 v32, v17
	v_cmp_nlt_f32_e64 s18, 0x42b17218, v3
	v_dual_sub_f32 v18, v18, v36 :: v_dual_sub_f32 v15, v15, v41
	v_fmac_f32_e32 v35, 0x32a5705f, v3
	v_fmac_f32_e32 v31, 0x32a5705f, v1
	v_sub_f32_e32 v17, v17, v32
	v_cvt_i32_f32_e32 v3, v32
	v_mul_f32_e32 v27, 0x3fb8aa3b, v15
	v_dual_mul_f32 v23, 0x3fb8aa3b, v16 :: v_dual_add_f32 v18, v18, v35
	s_delay_alu instid0(VALU_DEP_4) | instskip(SKIP_1) | instid1(VALU_DEP_4)
	v_add_f32_e32 v17, v17, v31
	v_cmp_ngt_f32_e64 s15, 0xc2ce8ed0, v16
	v_fma_f32 v39, 0x3fb8aa3b, v15, -v27
	s_delay_alu instid0(VALU_DEP_4)
	v_fma_f32 v37, 0x3fb8aa3b, v16, -v23
	v_rndne_f32_e32 v38, v23
	v_rndne_f32_e32 v43, v27
	v_exp_f32_e32 v1, v17
	v_fmac_f32_e32 v39, 0x32a5705f, v15
	v_fmac_f32_e32 v37, 0x32a5705f, v16
	v_sub_f32_e32 v23, v23, v38
	v_sub_f32_e32 v27, v27, v43
	v_exp_f32_e32 v17, v18
	v_cvt_i32_f32_e32 v31, v38
	v_cvt_i32_f32_e32 v32, v43
	v_add_f32_e32 v23, v23, v37
	v_add_f32_e32 v27, v27, v39
	v_ldexp_f32 v1, v1, v3
	v_cmp_nlt_f32_e64 s19, 0x42b17218, v16
	v_cmp_ngt_f32_e64 s16, 0xc2ce8ed0, v15
	v_exp_f32_e32 v18, v23
	v_exp_f32_e32 v23, v27
	v_cvt_i32_f32_e32 v27, v36
	s_wait_alu 0xf1ff
	v_cndmask_b32_e64 v1, 0, v1, s13
	v_cmp_nlt_f32_e64 s20, 0x42b17218, v15
	v_cvt_f16_f32_e32 v26, v21
	v_add_nc_u32_e32 v43, 0x2000, v34
	v_ldexp_f32 v3, v17, v27
	v_cndmask_b32_e64 v1, 0x7f800000, v1, s17
	v_cvt_f16_f32_e32 v27, v22
	v_ldexp_f32 v16, v18, v31
	v_ldexp_f32 v17, v23, v32
	v_cndmask_b32_e64 v3, 0, v3, s14
	v_cvt_f16_f32_e32 v31, v20
	v_add_nc_u32_e32 v150, 0x3c00, v34
	v_cndmask_b32_e64 v15, 0, v16, s15
	v_cndmask_b32_e64 v16, 0, v17, s16
	v_cndmask_b32_e64 v3, 0x7f800000, v3, s18
	v_cndmask_b32_e32 v17, 0, v1, vcc_lo
	v_cvt_f16_f32_e32 v1, v19
	v_cndmask_b32_e64 v15, 0x7f800000, v15, s19
	s_wait_alu 0xf1ff
	v_cndmask_b32_e64 v23, 0x7f800000, v16, s20
	v_cndmask_b32_e64 v18, 0, v3, s10
	v_cvt_f16_f32_e32 v3, v17
	v_cndmask_b32_e64 v16, 0, v15, s11
	s_delay_alu instid0(VALU_DEP_4) | instskip(NEXT) | instid1(VALU_DEP_4)
	v_cndmask_b32_e64 v15, 0, v23, s12
	v_cvt_f16_f32_e32 v32, v18
	s_delay_alu instid0(VALU_DEP_4)
	v_pack_b32_f16 v3, v26, v3
	v_cndmask_b32_e64 v23, 0, v33, s2
	v_cvt_f16_f32_e32 v35, v16
	v_cvt_f16_f32_e32 v36, v15
	v_pack_b32_f16 v26, v27, v32
	s_lshl_b32 s2, s26, 4
	s_delay_alu instid0(VALU_DEP_3) | instskip(NEXT) | instid1(VALU_DEP_3)
	v_pack_b32_f16 v27, v31, v35
	v_pack_b32_f16 v1, v1, v36
	ds_store_b32 v48, v3
	ds_store_b32 v49, v26
	;; [unrolled: 1-line block ×4, first 2 shown]
	flat_load_b128 v[23:26], v[23:24]
	s_wait_alu 0xfffe
	v_add_nc_u32_e32 v0, s2, v0
	s_clause 0x1
	scratch_store_b32 off, v2, off
	scratch_store_b96 off, v[28:30], off offset:4
	v_ashrrev_i32_e32 v1, 31, v0
	s_delay_alu instid0(VALU_DEP_1) | instskip(SKIP_1) | instid1(VALU_DEP_2)
	v_lshlrev_b64_e32 v[31:32], 2, v[0:1]
	v_add_nc_u32_e32 v0, s2, v0
	v_add_co_u32 v1, vcc_lo, s42, v31
	s_wait_alu 0xfffd
	s_delay_alu instid0(VALU_DEP_3) | instskip(NEXT) | instid1(VALU_DEP_2)
	v_add_co_ci_u32_e64 v3, null, s43, v32, vcc_lo
	v_add_co_u32 v1, vcc_lo, v1, v6
	s_wait_alu 0xfffd
	s_delay_alu instid0(VALU_DEP_2) | instskip(NEXT) | instid1(VALU_DEP_2)
	v_add_co_ci_u32_e64 v3, null, 0, v3, vcc_lo
	v_cndmask_b32_e64 v31, 0, v1, s3
	v_ashrrev_i32_e32 v1, 31, v0
	s_delay_alu instid0(VALU_DEP_3)
	v_cndmask_b32_e64 v32, s37, v3, s3
	s_wait_loadcnt_dscnt 0x0
	ds_store_b128 v7, v[23:26]
	flat_load_b128 v[23:26], v[31:32]
	v_lshlrev_b64_e32 v[31:32], 2, v[0:1]
	v_lshl_or_b32 v7, v9, 7, v6
	s_clause 0x1
	scratch_store_b32 off, v2, off
	scratch_store_b96 off, v[28:30], off offset:4
	v_add_nc_u32_e32 v0, s2, v0
	v_add_co_u32 v1, vcc_lo, s42, v31
	s_wait_alu 0xfffd
	v_add_co_ci_u32_e64 v3, null, s43, v32, vcc_lo
	s_delay_alu instid0(VALU_DEP_2) | instskip(SKIP_1) | instid1(VALU_DEP_2)
	v_add_co_u32 v1, vcc_lo, v1, v6
	s_wait_alu 0xfffd
	v_add_co_ci_u32_e64 v3, null, 0, v3, vcc_lo
	s_delay_alu instid0(VALU_DEP_2) | instskip(SKIP_1) | instid1(VALU_DEP_3)
	v_cndmask_b32_e64 v31, 0, v1, s4
	v_ashrrev_i32_e32 v1, 31, v0
	v_cndmask_b32_e64 v32, s37, v3, s4
	s_wait_loadcnt_dscnt 0x0
	ds_store_b128 v7, v[23:26]
	flat_load_b128 v[23:26], v[31:32]
	v_lshlrev_b64_e32 v[31:32], 2, v[0:1]
	v_lshl_or_b32 v7, v10, 7, v6
	s_clause 0x1
	scratch_store_b32 off, v2, off
	scratch_store_b96 off, v[28:30], off offset:4
	v_add_nc_u32_e32 v0, s2, v0
	v_add_co_u32 v1, vcc_lo, s42, v31
	s_wait_alu 0xfffd
	v_add_co_ci_u32_e64 v3, null, s43, v32, vcc_lo
	s_delay_alu instid0(VALU_DEP_2) | instskip(SKIP_1) | instid1(VALU_DEP_2)
	v_add_co_u32 v1, vcc_lo, v1, v6
	s_wait_alu 0xfffd
	v_add_co_ci_u32_e64 v3, null, 0, v3, vcc_lo
	s_delay_alu instid0(VALU_DEP_2) | instskip(SKIP_1) | instid1(VALU_DEP_3)
	v_cndmask_b32_e64 v9, 0, v1, s5
	v_ashrrev_i32_e32 v1, 31, v0
	;; [unrolled: 20-line block ×5, first 2 shown]
	v_cndmask_b32_e64 v24, s37, v3, s8
	v_lshl_or_b32 v3, v14, 7, v6
	s_delay_alu instid0(VALU_DEP_3) | instskip(NEXT) | instid1(VALU_DEP_1)
	v_lshlrev_b64_e32 v[0:1], 2, v[0:1]
	v_add_co_u32 v0, vcc_lo, s42, v0
	s_wait_alu 0xfffd
	s_delay_alu instid0(VALU_DEP_2) | instskip(NEXT) | instid1(VALU_DEP_2)
	v_add_co_ci_u32_e64 v1, null, s43, v1, vcc_lo
	v_add_co_u32 v0, vcc_lo, v0, v6
	s_wait_alu 0xfffd
	s_delay_alu instid0(VALU_DEP_2) | instskip(NEXT) | instid1(VALU_DEP_2)
	v_add_co_ci_u32_e64 v1, null, 0, v1, vcc_lo
	v_cndmask_b32_e64 v0, 0, v0, s9
	s_delay_alu instid0(VALU_DEP_2)
	v_cndmask_b32_e64 v1, s37, v1, s9
	s_wait_loadcnt_dscnt 0x0
	ds_store_b128 v7, v[9:12]
	flat_load_b128 v[9:12], v[23:24]
	s_clause 0x1
	scratch_store_b32 off, v2, off
	scratch_store_b96 off, v[28:30], off offset:4
	s_wait_loadcnt_dscnt 0x0
	ds_store_b128 v3, v[9:12]
	flat_load_b128 v[0:3], v[0:1]
	v_sub_f32_e32 v10, v4, v40
	s_delay_alu instid0(VALU_DEP_1) | instskip(SKIP_2) | instid1(VALU_DEP_3)
	v_mul_f32_e32 v4, 0x3fb8aa3b, v10
	v_cmp_ngt_f32_e32 vcc_lo, 0xc2ce8ed0, v10
	v_cmp_nlt_f32_e64 s3, 0x42b17218, v10
	v_fma_f32 v7, 0x3fb8aa3b, v10, -v4
	v_rndne_f32_e32 v12, v4
	s_delay_alu instid0(VALU_DEP_1) | instskip(SKIP_3) | instid1(VALU_DEP_4)
	v_dual_fmac_f32 v7, 0x32a5705f, v10 :: v_dual_sub_f32 v14, v4, v12
	v_lshl_or_b32 v4, v8, 7, v6
	v_cvt_i32_f32_e32 v12, v12
	v_add_nc_u32_e32 v6, 0xc00, v34
	v_dual_add_f32 v8, v14, v7 :: v_dual_add_nc_u32 v7, 0x800, v34
	v_add_nc_u32_e32 v14, 0x1400, v34
	s_delay_alu instid0(VALU_DEP_2) | instskip(SKIP_1) | instid1(TRANS32_DEP_1)
	v_exp_f32_e32 v24, v8
	v_add_nc_u32_e32 v8, 0x1000, v34
	v_ldexp_f32 v12, v24, v12
	s_wait_alu 0xfffd
	s_delay_alu instid0(VALU_DEP_1) | instskip(NEXT) | instid1(VALU_DEP_1)
	v_dual_sub_f32 v9, v5, v41 :: v_dual_cndmask_b32 v10, 0, v12
	v_dual_add_f32 v12, v21, v22 :: v_dual_mul_f32 v5, 0x3fb8aa3b, v9
	v_cmp_ngt_f32_e64 s2, 0xc2ce8ed0, v9
	v_cmp_nlt_f32_e32 vcc_lo, 0x42b17218, v9
	s_wait_alu 0xf1ff
	v_cndmask_b32_e64 v10, 0x7f800000, v10, s3
	v_add_f32_e32 v12, v20, v12
	v_fma_f32 v11, 0x3fb8aa3b, v9, -v5
	v_rndne_f32_e32 v13, v5
	s_delay_alu instid0(VALU_DEP_2) | instskip(NEXT) | instid1(VALU_DEP_2)
	v_dual_add_f32 v148, v19, v12 :: v_dual_fmac_f32 v11, 0x32a5705f, v9
	v_sub_f32_e32 v23, v5, v13
	v_cvt_i32_f32_e32 v13, v13
	s_delay_alu instid0(VALU_DEP_3) | instskip(SKIP_1) | instid1(VALU_DEP_4)
	v_fmac_f32_e32 v148, v42, v10
	v_add_nc_u32_e32 v5, 0x400, v34
	v_add_f32_e32 v11, v23, v11
	v_add_nc_u32_e32 v23, 0x1c00, v34
	s_delay_alu instid0(VALU_DEP_2) | instskip(SKIP_1) | instid1(TRANS32_DEP_1)
	v_exp_f32_e32 v25, v11
	v_add_nc_u32_e32 v11, 0x1800, v34
	v_ldexp_f32 v13, v25, v13
	s_delay_alu instid0(VALU_DEP_1) | instskip(SKIP_1) | instid1(VALU_DEP_1)
	v_cndmask_b32_e64 v9, 0, v13, s2
	s_wait_alu 0xfffd
	v_cndmask_b32_e32 v13, 0x7f800000, v9, vcc_lo
	v_cvt_f16_f32_e32 v9, v10
	scratch_store_b32 off, v13, off offset:28 ; 4-byte Folded Spill
	v_cvt_f16_f32_e32 v13, v13
	v_add_f32_e32 v17, v17, v18
	v_and_b32_e32 v9, 0xffff, v9
	s_delay_alu instid0(VALU_DEP_3) | instskip(NEXT) | instid1(VALU_DEP_3)
	v_and_b32_e32 v12, 0xffff, v13
	v_dual_add_f32 v13, v16, v17 :: v_dual_add_nc_u32 v122, 0x3000, v34
	v_add_nc_u32_e32 v124, 0x3400, v34
	s_delay_alu instid0(VALU_DEP_4) | instskip(NEXT) | instid1(VALU_DEP_4)
	v_mul_u32_u24_e32 v19, 0x10001, v9
	v_mul_u32_u24_e32 v97, 0x10001, v12
	s_delay_alu instid0(VALU_DEP_4)
	v_add_f32_e32 v149, v15, v13
	s_wait_loadcnt_dscnt 0x0
	ds_store_b128 v4, v[0:3]
	s_wait_storecnt_dscnt 0x0
	s_barrier_signal -1
	s_barrier_wait -1
	global_inv scope:SCOPE_SE
	ds_load_2addr_b32 v[95:96], v34 offset1:32
	ds_load_2addr_b32 v[109:110], v34 offset0:64 offset1:96
	ds_load_2addr_b32 v[190:191], v34 offset0:128 offset1:160
	ds_load_b128 v[0:3], v146 offset:18432
	ds_load_b128 v[15:18], v146 offset:18448
	ds_load_2addr_b32 v[221:222], v34 offset0:192 offset1:224
	ds_load_2addr_b32 v[246:247], v5 offset1:32
	ds_load_2addr_b32 v[248:249], v5 offset0:64 offset1:96
	ds_load_2addr_b32 v[12:13], v5 offset0:128 offset1:160
	ds_load_b128 v[28:31], v146 offset:18464
	ds_load_b128 v[83:86], v146 offset:18480
	ds_load_2addr_b32 v[34:35], v5 offset0:192 offset1:224
	;; [unrolled: 6-line block ×9, first 2 shown]
	ds_load_2addr_b32 v[46:47], v82 offset1:32
	ds_load_2addr_b32 v[44:45], v82 offset0:64 offset1:96
	ds_load_2addr_b32 v[42:43], v82 offset0:128 offset1:160
	ds_load_b128 v[8:11], v146 offset:18720
	s_wait_dscnt 0x36
	v_lshrrev_b32_e32 v87, 16, v0
	v_and_b32_e32 v0, 0xffff, v0
	s_wait_dscnt 0x1e
	v_lshrrev_b32_e32 v209, 16, v4
	v_and_b32_e32 v211, 0xffff, v4
	s_wait_dscnt 0x12
	v_lshrrev_b32_e32 v4, 16, v196
	v_lshrrev_b32_e32 v208, 16, v5
	v_and_b32_e32 v210, 0xffff, v5
	v_mul_u32_u24_e32 v0, 0x10001, v0
	v_lshrrev_b32_e32 v5, 16, v197
	scratch_store_b32 off, v4, off offset:36 ; 4-byte Folded Spill
	v_mul_u32_u24_e32 v4, 0x10001, v87
	v_lshrrev_b32_e32 v111, 16, v1
	v_and_b32_e32 v1, 0xffff, v1
	v_pk_mul_f16 v0, v95, v0
	v_lshrrev_b32_e32 v182, 16, v2
	v_pk_mul_f16 v4, v95, v4
	v_and_b32_e32 v2, 0xffff, v2
	scratch_store_b32 off, v5, off offset:32 ; 4-byte Folded Spill
	v_mul_u32_u24_e32 v1, 0x10001, v1
	v_pk_fma_f16 v0, v81, v19, v0
	v_mul_u32_u24_e32 v5, 0x10001, v111
	v_pk_fma_f16 v4, v80, v97, v4
	v_lshrrev_b32_e32 v188, 16, v3
	v_and_b32_e32 v3, 0xffff, v3
	v_pk_fma_f16 v0, v96, v1, v0
	v_mul_u32_u24_e32 v1, 0x10001, v2
	v_pk_fma_f16 v2, v96, v5, v4
	v_mul_u32_u24_e32 v4, 0x10001, v182
	v_lshrrev_b32_e32 v192, 16, v15
	v_and_b32_e32 v15, 0xffff, v15
	v_mul_u32_u24_e32 v3, 0x10001, v3
	v_pk_fma_f16 v0, v109, v1, v0
	v_mul_u32_u24_e32 v1, 0x10001, v188
	v_pk_fma_f16 v2, v109, v4, v2
	v_lshrrev_b32_e32 v224, 16, v16
	v_and_b32_e32 v16, 0xffff, v16
	v_pk_fma_f16 v0, v110, v3, v0
	v_mul_u32_u24_e32 v3, 0x10001, v192
	v_pk_fma_f16 v1, v110, v1, v2
	v_mul_u32_u24_e32 v2, 0x10001, v15
	v_lshrrev_b32_e32 v250, 16, v17
	v_and_b32_e32 v17, 0xffff, v17
	v_mul_u32_u24_e32 v15, 0x10001, v16
	v_mul_u32_u24_e32 v16, 0x10001, v224
	v_pk_fma_f16 v0, v190, v2, v0
	v_pk_fma_f16 v1, v190, v3, v1
	v_lshrrev_b32_e32 v251, 16, v18
	v_and_b32_e32 v18, 0xffff, v18
	v_mul_u32_u24_e32 v17, 0x10001, v17
	v_pk_fma_f16 v15, v191, v15, v0
	v_pk_fma_f16 v16, v191, v16, v1
	v_mul_u32_u24_e32 v19, 0x10001, v250
	v_lshrrev_b32_e32 v252, 16, v28
	v_and_b32_e32 v253, 0xffff, v28
	v_mul_u32_u24_e32 v18, 0x10001, v18
	v_pk_fma_f16 v15, v221, v17, v15
	v_mul_u32_u24_e32 v17, 0x10001, v251
	v_pk_fma_f16 v16, v221, v19, v16
	v_lshrrev_b32_e32 v254, 16, v29
	v_and_b32_e32 v255, 0xffff, v29
	v_pk_fma_f16 v15, v222, v18, v15
	v_mul_u32_u24_e32 v18, 0x10001, v253
	v_pk_fma_f16 v16, v222, v17, v16
	v_mul_u32_u24_e32 v17, 0x10001, v252
	v_lshrrev_b32_e32 v138, 16, v30
	v_and_b32_e32 v132, 0xffff, v30
	v_pk_fma_f16 v15, v246, v18, v15
	v_mul_u32_u24_e32 v18, 0x10001, v255
	v_mul_u32_u24_e32 v19, 0x10001, v254
	v_pk_fma_f16 v16, v246, v17, v16
	v_lshrrev_b32_e32 v134, 16, v31
	v_and_b32_e32 v133, 0xffff, v31
	v_pk_fma_f16 v15, v247, v18, v15
	v_mul_u32_u24_e32 v17, 0x10001, v132
	v_pk_fma_f16 v16, v247, v19, v16
	v_mul_u32_u24_e32 v18, 0x10001, v138
	v_lshrrev_b32_e32 v136, 16, v83
	v_and_b32_e32 v140, 0xffff, v83
	v_mul_u32_u24_e32 v19, 0x10001, v133
	v_pk_fma_f16 v15, v248, v17, v15
	v_mul_u32_u24_e32 v17, 0x10001, v134
	v_pk_fma_f16 v16, v248, v18, v16
	v_lshrrev_b32_e32 v147, 16, v84
	v_and_b32_e32 v167, 0xffff, v84
	v_pk_fma_f16 v15, v249, v19, v15
	v_mul_u32_u24_e32 v18, 0x10001, v136
	v_pk_fma_f16 v16, v249, v17, v16
	v_mul_u32_u24_e32 v17, 0x10001, v140
	v_lshrrev_b32_e32 v105, 16, v85
	v_and_b32_e32 v14, 0xffff, v85
	v_mul_u32_u24_e32 v109, 0x10001, v167
	v_mul_u32_u24_e32 v110, 0x10001, v147
	v_pk_fma_f16 v15, v12, v17, v15
	v_pk_fma_f16 v12, v12, v18, v16
	v_lshrrev_b32_e32 v107, 16, v86
	v_and_b32_e32 v108, 0xffff, v86
	v_mul_u32_u24_e32 v111, 0x10001, v14
	v_pk_fma_f16 v109, v13, v109, v15
	v_pk_fma_f16 v110, v13, v110, v12
	v_mul_u32_u24_e32 v132, 0x10001, v105
	v_lshrrev_b32_e32 v218, 16, v91
	v_and_b32_e32 v106, 0xffff, v91
	v_mul_u32_u24_e32 v108, 0x10001, v108
	v_pk_fma_f16 v109, v34, v111, v109
	v_mul_u32_u24_e32 v107, 0x10001, v107
	v_pk_fma_f16 v34, v34, v132, v110
	v_lshrrev_b32_e32 v219, 16, v92
	v_and_b32_e32 v220, 0xffff, v92
	v_pk_fma_f16 v132, v35, v108, v109
	v_mul_u32_u24_e32 v133, 0x10001, v106
	v_pk_fma_f16 v34, v35, v107, v34
	v_mul_u32_u24_e32 v35, 0x10001, v218
	v_lshrrev_b32_e32 v217, 16, v93
	v_and_b32_e32 v241, 0xffff, v93
	v_mul_u32_u24_e32 v134, 0x10001, v220
	v_pk_fma_f16 v132, v32, v133, v132
	v_mul_u32_u24_e32 v133, 0x10001, v219
	v_pk_fma_f16 v32, v32, v35, v34
	v_lshrrev_b32_e32 v223, 16, v94
	v_and_b32_e32 v240, 0xffff, v94
	s_wait_dscnt 0x6
	v_lshrrev_b32_e32 v218, 16, v20
	v_and_b32_e32 v224, 0xffff, v20
	v_lshrrev_b32_e32 v220, 16, v21
	v_pk_fma_f16 v20, v33, v134, v132
	v_and_b32_e32 v222, 0xffff, v21
	v_pk_fma_f16 v21, v33, v133, v32
	v_lshrrev_b32_e32 v219, 16, v22
	v_and_b32_e32 v221, 0xffff, v22
	v_mul_u32_u24_e32 v22, 0x10001, v241
	v_mul_u32_u24_e32 v32, 0x10001, v217
	v_lshrrev_b32_e32 v235, 16, v151
	v_and_b32_e32 v239, 0xffff, v151
	v_mul_u32_u24_e32 v132, 0x10001, v240
	v_mul_u32_u24_e32 v133, 0x10001, v223
	v_pk_fma_f16 v20, v114, v22, v20
	v_pk_fma_f16 v21, v114, v32, v21
	v_lshrrev_b32_e32 v236, 16, v152
	v_and_b32_e32 v237, 0xffff, v152
	v_lshrrev_b32_e32 v206, 16, v6
	v_and_b32_e32 v207, 0xffff, v6
	;; [unrolled: 2-line block ×3, first 2 shown]
	ds_load_b128 v[28:31], v146 offset:18736
	ds_load_b128 v[4:7], v146 offset:18752
	ds_load_2addr_b32 v[86:87], v82 offset0:192 offset1:224
	ds_load_2addr_b32 v[84:85], v90 offset1:32
	ds_load_2addr_b32 v[82:83], v90 offset0:64 offset1:96
	ds_load_2addr_b32 v[80:81], v90 offset0:128 offset1:160
	ds_load_b128 v[0:3], v146 offset:18768
	ds_load_2addr_b32 v[90:91], v90 offset0:192 offset1:224
	ds_load_2addr_b32 v[96:97], v104 offset1:32
	ds_load_2addr_b32 v[94:95], v104 offset0:64 offset1:96
	ds_load_2addr_b32 v[92:93], v104 offset0:128 offset1:160
	ds_load_b128 v[16:19], v146 offset:18784
	ds_load_b128 v[12:15], v146 offset:18800
	ds_load_2addr_b32 v[104:105], v104 offset0:192 offset1:224
	ds_load_2addr_b32 v[110:111], v122 offset1:32
	ds_load_2addr_b32 v[108:109], v122 offset0:64 offset1:96
	ds_load_2addr_b32 v[106:107], v122 offset0:128 offset1:160
	v_lshrrev_b32_e32 v217, 16, v23
	v_and_b32_e32 v223, 0xffff, v23
	ds_load_b128 v[32:35], v146 offset:18816
	v_mul_u32_u24_e32 v134, 0x10001, v239
	v_pk_fma_f16 v132, v115, v132, v20
	v_pk_fma_f16 v133, v115, v133, v21
	ds_load_b128 v[20:23], v146 offset:18832
	ds_load_2addr_b32 v[114:115], v122 offset0:192 offset1:224
	v_mul_u32_u24_e32 v122, 0x10001, v235
	v_lshrrev_b32_e32 v233, 16, v153
	v_and_b32_e32 v234, 0xffff, v153
	v_mul_u32_u24_e32 v136, 0x10001, v237
	v_pk_fma_f16 v132, v118, v134, v132
	v_mul_u32_u24_e32 v134, 0x10001, v236
	v_pk_fma_f16 v118, v118, v122, v133
	v_lshrrev_b32_e32 v123, 16, v154
	v_and_b32_e32 v238, 0xffff, v154
	s_wait_dscnt 0x19
	v_lshrrev_b32_e32 v235, 16, v24
	v_and_b32_e32 v239, 0xffff, v24
	v_pk_fma_f16 v24, v119, v136, v132
	v_lshrrev_b32_e32 v236, 16, v25
	v_mul_u32_u24_e32 v122, 0x10001, v234
	v_pk_fma_f16 v118, v119, v134, v118
	v_and_b32_e32 v240, 0xffff, v25
	v_mul_u32_u24_e32 v25, 0x10001, v233
	v_lshrrev_b32_e32 v230, 16, v155
	v_and_b32_e32 v232, 0xffff, v155
	v_lshrrev_b32_e32 v234, 16, v26
	v_and_b32_e32 v237, 0xffff, v26
	v_pk_fma_f16 v24, v116, v122, v24
	v_mul_u32_u24_e32 v26, 0x10001, v238
	v_mul_u32_u24_e32 v132, 0x10001, v123
	v_pk_fma_f16 v25, v116, v25, v118
	v_lshrrev_b32_e32 v229, 16, v156
	v_and_b32_e32 v231, 0xffff, v156
	v_lshrrev_b32_e32 v233, 16, v27
	v_and_b32_e32 v238, 0xffff, v27
	v_pk_fma_f16 v24, v117, v26, v24
	v_pk_fma_f16 v25, v117, v132, v25
	v_mul_u32_u24_e32 v26, 0x10001, v232
	v_mul_u32_u24_e32 v27, 0x10001, v230
	v_lshrrev_b32_e32 v226, 16, v157
	v_and_b32_e32 v228, 0xffff, v157
	s_wait_dscnt 0x14
	v_lshrrev_b32_e32 v232, 16, v8
	v_and_b32_e32 v241, 0xffff, v8
	v_mul_u32_u24_e32 v8, 0x10001, v231
	v_pk_fma_f16 v24, v120, v26, v24
	v_mul_u32_u24_e32 v26, 0x10001, v229
	v_pk_fma_f16 v25, v120, v27, v25
	v_lshrrev_b32_e32 v225, 16, v158
	v_and_b32_e32 v227, 0xffff, v158
	v_lshrrev_b32_e32 v169, 16, v176
	v_and_b32_e32 v170, 0xffff, v176
	v_and_b32_e32 v155, 0xffff, v196
	v_lshrrev_b32_e32 v176, 16, v198
	v_and_b32_e32 v182, 0xffff, v198
	v_lshrrev_b32_e32 v191, 16, v202
	;; [unrolled: 2-line block ×4, first 2 shown]
	v_and_b32_e32 v242, 0xffff, v9
	v_pk_fma_f16 v8, v121, v8, v24
	v_lshrrev_b32_e32 v229, 16, v10
	v_pk_fma_f16 v9, v121, v26, v25
	v_and_b32_e32 v231, 0xffff, v10
	v_mul_u32_u24_e32 v10, 0x10001, v228
	v_mul_u32_u24_e32 v24, 0x10001, v226
	v_lshrrev_b32_e32 v126, 16, v159
	v_and_b32_e32 v216, 0xffff, v159
	v_mul_u32_u24_e32 v120, 0x10001, v227
	v_mul_u32_u24_e32 v121, 0x10001, v225
	v_pk_fma_f16 v8, v112, v10, v8
	v_pk_fma_f16 v9, v112, v24, v9
	v_lshrrev_b32_e32 v125, 16, v160
	v_and_b32_e32 v127, 0xffff, v160
	v_mul_u32_u24_e32 v112, 0x10001, v216
	v_pk_fma_f16 v120, v113, v120, v8
	v_pk_fma_f16 v121, v113, v121, v9
	v_mul_u32_u24_e32 v126, 0x10001, v126
	v_lshrrev_b32_e32 v213, 16, v161
	v_and_b32_e32 v215, 0xffff, v161
	v_mul_u32_u24_e32 v132, 0x10001, v127
	v_pk_fma_f16 v120, v38, v112, v120
	v_mul_u32_u24_e32 v133, 0x10001, v125
	v_pk_fma_f16 v38, v38, v126, v121
	v_lshrrev_b32_e32 v212, 16, v162
	v_and_b32_e32 v214, 0xffff, v162
	v_pk_fma_f16 v132, v39, v132, v120
	v_mul_u32_u24_e32 v134, 0x10001, v215
	v_pk_fma_f16 v38, v39, v133, v38
	v_mul_u32_u24_e32 v39, 0x10001, v213
	v_mul_u32_u24_e32 v136, 0x10001, v214
	s_wait_dscnt 0x13
	v_lshrrev_b32_e32 v133, 16, v28
	v_pk_fma_f16 v132, v36, v134, v132
	v_mul_u32_u24_e32 v134, 0x10001, v212
	v_pk_fma_f16 v36, v36, v39, v38
	v_and_b32_e32 v138, 0xffff, v28
	v_lshrrev_b32_e32 v140, 16, v29
	v_pk_fma_f16 v28, v37, v136, v132
	v_and_b32_e32 v132, 0xffff, v29
	v_pk_fma_f16 v29, v37, v134, v36
	v_lshrrev_b32_e32 v134, 16, v30
	v_and_b32_e32 v136, 0xffff, v30
	v_mul_u32_u24_e32 v30, 0x10001, v211
	v_mul_u32_u24_e32 v36, 0x10001, v209
	v_lshrrev_b32_e32 v147, 16, v31
	v_and_b32_e32 v167, 0xffff, v31
	v_mul_u32_u24_e32 v31, 0x10001, v210
	v_mul_u32_u24_e32 v208, 0x10001, v208
	v_pk_fma_f16 v28, v102, v30, v28
	v_pk_fma_f16 v29, v102, v36, v29
	v_mul_u32_u24_e32 v102, 0x10001, v207
	v_mul_u32_u24_e32 v206, 0x10001, v206
	v_lshrrev_b32_e32 v189, 16, v163
	v_pk_fma_f16 v207, v103, v31, v28
	v_pk_fma_f16 v103, v103, v208, v29
	v_and_b32_e32 v130, 0xffff, v163
	v_mul_u32_u24_e32 v131, 0x10001, v131
	v_mul_u32_u24_e32 v208, 0x10001, v129
	v_pk_fma_f16 v207, v100, v102, v207
	v_pk_fma_f16 v100, v100, v206, v103
	v_lshrrev_b32_e32 v187, 16, v164
	v_and_b32_e32 v193, 0xffff, v164
	v_mul_u32_u24_e32 v206, 0x10001, v130
	v_pk_fma_f16 v207, v101, v131, v207
	v_pk_fma_f16 v208, v101, v208, v100
	v_mul_u32_u24_e32 v189, 0x10001, v189
	v_lshrrev_b32_e32 v184, 16, v165
	v_and_b32_e32 v186, 0xffff, v165
	v_mul_u32_u24_e32 v193, 0x10001, v193
	v_pk_fma_f16 v206, v98, v206, v207
	v_mul_u32_u24_e32 v187, 0x10001, v187
	v_pk_fma_f16 v98, v98, v189, v208
	v_lshrrev_b32_e32 v183, 16, v166
	v_and_b32_e32 v185, 0xffff, v166
	s_wait_dscnt 0x12
	v_lshrrev_b32_e32 v210, 16, v4
	v_and_b32_e32 v189, 0xffff, v4
	v_pk_fma_f16 v4, v99, v193, v206
	v_lshrrev_b32_e32 v193, 16, v5
	v_mul_u32_u24_e32 v186, 0x10001, v186
	v_pk_fma_f16 v98, v99, v187, v98
	v_and_b32_e32 v99, 0xffff, v5
	v_mul_u32_u24_e32 v5, 0x10001, v184
	v_lshrrev_b32_e32 v173, 16, v174
	v_and_b32_e32 v174, 0xffff, v174
	v_pk_fma_f16 v4, v88, v186, v4
	v_mul_u32_u24_e32 v206, 0x10001, v185
	v_mul_u32_u24_e32 v207, 0x10001, v183
	v_pk_fma_f16 v5, v88, v5, v98
	v_lshrrev_b32_e32 v171, 16, v175
	v_and_b32_e32 v172, 0xffff, v175
	ds_load_2addr_b32 v[122:123], v124 offset1:32
	ds_load_2addr_b32 v[118:119], v124 offset0:64 offset1:96
	ds_load_2addr_b32 v[116:117], v124 offset0:128 offset1:160
	v_lshrrev_b32_e32 v226, 16, v11
	v_and_b32_e32 v225, 0xffff, v11
	ds_load_b128 v[24:27], v146 offset:18848
	ds_load_b128 v[8:11], v146 offset:18864
	ds_load_2addr_b32 v[112:113], v124 offset0:192 offset1:224
	ds_load_2addr_b32 v[126:127], v128 offset1:32
	ds_load_2addr_b32 v[124:125], v128 offset0:64 offset1:96
	ds_load_2addr_b32 v[120:121], v128 offset0:128 offset1:160
	ds_load_b128 v[36:39], v146 offset:18880
	ds_load_b128 v[28:31], v146 offset:18896
	ds_load_2addr_b32 v[128:129], v128 offset0:192 offset1:224
	ds_load_2addr_b32 v[102:103], v150 offset1:32
	ds_load_2addr_b32 v[130:131], v150 offset0:64 offset1:96
	ds_load_2addr_b32 v[100:101], v150 offset0:128 offset1:160
	ds_load_b128 v[183:186], v146 offset:18912
	v_mul_u32_u24_e32 v88, 0x10001, v174
	v_pk_fma_f16 v98, v89, v206, v4
	v_pk_fma_f16 v89, v89, v207, v5
	ds_load_b128 v[206:209], v146 offset:18928
	v_mul_u32_u24_e32 v146, 0x10001, v173
	ds_load_2addr_b32 v[4:5], v150 offset0:192 offset1:224
	v_mul_u32_u24_e32 v150, 0x10001, v172
	v_pk_fma_f16 v88, v78, v88, v98
	v_mul_u32_u24_e32 v98, 0x10001, v171
	v_pk_fma_f16 v78, v78, v146, v89
	v_and_b32_e32 v151, 0xffff, v177
	v_lshrrev_b32_e32 v152, 16, v177
	v_pk_fma_f16 v88, v79, v150, v88
	v_and_b32_e32 v166, 0xffff, v178
	v_pk_fma_f16 v78, v79, v98, v78
	v_mul_u32_u24_e32 v79, 0x10001, v170
	v_mul_u32_u24_e32 v98, 0x10001, v169
	v_mul_u32_u24_e32 v151, 0x10001, v151
	v_lshrrev_b32_e32 v165, 16, v178
	v_and_b32_e32 v164, 0xffff, v179
	v_pk_fma_f16 v79, v76, v79, v88
	v_mul_u32_u24_e32 v152, 0x10001, v152
	v_pk_fma_f16 v76, v76, v98, v78
	v_mul_u32_u24_e32 v78, 0x10001, v166
	v_lshrrev_b32_e32 v163, 16, v179
	v_pk_fma_f16 v79, v77, v151, v79
	v_and_b32_e32 v162, 0xffff, v180
	v_mul_u32_u24_e32 v88, 0x10001, v165
	v_pk_fma_f16 v76, v77, v152, v76
	v_mul_u32_u24_e32 v98, 0x10001, v164
	v_pk_fma_f16 v78, v74, v78, v79
	v_lshrrev_b32_e32 v161, 16, v180
	v_and_b32_e32 v160, 0xffff, v181
	v_mul_u32_u24_e32 v151, 0x10001, v163
	v_pk_fma_f16 v74, v74, v88, v76
	v_mul_u32_u24_e32 v76, 0x10001, v162
	v_pk_fma_f16 v78, v75, v98, v78
	v_and_b32_e32 v158, 0xffff, v194
	v_mul_u32_u24_e32 v79, 0x10001, v161
	v_pk_fma_f16 v74, v75, v151, v74
	v_mul_u32_u24_e32 v88, 0x10001, v160
	v_pk_fma_f16 v76, v72, v76, v78
	v_and_b32_e32 v156, 0xffff, v195
	v_lshrrev_b32_e32 v159, 16, v181
	v_pk_fma_f16 v72, v72, v79, v74
	v_mul_u32_u24_e32 v74, 0x10001, v158
	v_pk_fma_f16 v76, v73, v88, v76
	v_mul_u32_u24_e32 v79, 0x10001, v156
	v_lshrrev_b32_e32 v157, 16, v194
	v_mul_u32_u24_e32 v98, 0x10001, v159
	v_lshrrev_b32_e32 v154, 16, v195
	v_pk_fma_f16 v74, v70, v74, v76
	scratch_load_b32 v76, off, off offset:36 th:TH_LOAD_LU ; 4-byte Folded Reload
	v_mul_u32_u24_e32 v78, 0x10001, v157
	v_pk_fma_f16 v72, v73, v98, v72
	v_mul_u32_u24_e32 v88, 0x10001, v154
	v_pk_fma_f16 v74, v71, v79, v74
	scratch_load_b32 v79, off, off offset:32 th:TH_LOAD_LU ; 4-byte Folded Reload
	v_and_b32_e32 v153, 0xffff, v197
	v_pk_fma_f16 v70, v70, v78, v72
	v_mul_u32_u24_e32 v72, 0x10001, v155
	v_lshrrev_b32_e32 v178, 16, v199
	v_and_b32_e32 v180, 0xffff, v199
	v_mul_u32_u24_e32 v78, 0x10001, v153
	v_pk_fma_f16 v70, v71, v88, v70
	v_pk_fma_f16 v72, v68, v72, v74
	v_mul_u32_u24_e32 v74, 0x10001, v176
	v_lshrrev_b32_e32 v177, 16, v200
	v_and_b32_e32 v179, 0xffff, v200
	v_lshrrev_b32_e32 v175, 16, v201
	v_pk_fma_f16 v72, v69, v78, v72
	v_mul_u32_u24_e32 v78, 0x10001, v178
	v_and_b32_e32 v181, 0xffff, v201
	v_lshrrev_b32_e32 v192, 16, v203
	v_and_b32_e32 v197, 0xffff, v203
	v_lshrrev_b32_e32 v190, 16, v204
	;; [unrolled: 2-line block ×8, first 2 shown]
	v_and_b32_e32 v7, 0xffff, v7
	s_wait_dscnt 0x1f
	v_lshrrev_b32_e32 v89, 16, v0
	v_and_b32_e32 v0, 0xffff, v0
	v_mul_u32_u24_e32 v6, 0x10001, v6
	v_lshrrev_b32_e32 v146, 16, v1
	v_mul_u32_u24_e32 v7, 0x10001, v7
	v_and_b32_e32 v1, 0xffff, v1
	v_mul_u32_u24_e32 v0, 0x10001, v0
	v_lshrrev_b32_e32 v150, 16, v2
	v_and_b32_e32 v2, 0xffff, v2
	v_lshrrev_b32_e32 v77, 16, v3
	v_mul_u32_u24_e32 v1, 0x10001, v1
	v_and_b32_e32 v3, 0xffff, v3
	s_wait_dscnt 0x1a
	v_lshrrev_b32_e32 v75, 16, v16
	v_and_b32_e32 v16, 0xffff, v16
	v_mul_u32_u24_e32 v2, 0x10001, v2
	v_lshrrev_b32_e32 v73, 16, v17
	v_mul_u32_u24_e32 v3, 0x10001, v3
	v_and_b32_e32 v17, 0xffff, v17
	v_lshrrev_b32_e32 v71, 16, v18
	v_and_b32_e32 v18, 0xffff, v18
	s_delay_alu instid0(VALU_DEP_3) | instskip(SKIP_4) | instid1(VALU_DEP_2)
	v_mul_u32_u24_e32 v17, 0x10001, v17
	s_wait_loadcnt 0x1
	v_mul_u32_u24_e32 v76, 0x10001, v76
	s_wait_loadcnt 0x0
	v_mul_u32_u24_e32 v79, 0x10001, v79
	v_pk_fma_f16 v68, v68, v76, v70
	v_mul_u32_u24_e32 v70, 0x10001, v182
	v_mul_u32_u24_e32 v76, 0x10001, v180
	s_delay_alu instid0(VALU_DEP_3) | instskip(NEXT) | instid1(VALU_DEP_3)
	v_pk_fma_f16 v68, v69, v79, v68
	v_pk_fma_f16 v70, v66, v70, v72
	v_mul_u32_u24_e32 v72, 0x10001, v177
	v_lshrrev_b32_e32 v69, 16, v19
	v_and_b32_e32 v19, 0xffff, v19
	v_pk_fma_f16 v66, v66, v74, v68
	v_mul_u32_u24_e32 v68, 0x10001, v179
	v_pk_fma_f16 v70, v67, v76, v70
	v_mul_u32_u24_e32 v74, 0x10001, v181
	v_mul_u32_u24_e32 v76, 0x10001, v175
	v_pk_fma_f16 v66, v67, v78, v66
	s_wait_dscnt 0x19
	v_lshrrev_b32_e32 v67, 16, v12
	v_pk_fma_f16 v68, v64, v68, v70
	v_mul_u32_u24_e32 v70, 0x10001, v191
	v_and_b32_e32 v12, 0xffff, v12
	v_pk_fma_f16 v64, v64, v72, v66
	v_mul_u32_u24_e32 v66, 0x10001, v196
	v_pk_fma_f16 v68, v65, v74, v68
	v_mul_u32_u24_e32 v72, 0x10001, v197
	v_mul_u32_u24_e32 v74, 0x10001, v192
	v_pk_fma_f16 v64, v65, v76, v64
	v_lshrrev_b32_e32 v65, 16, v13
	v_pk_fma_f16 v66, v62, v66, v68
	v_mul_u32_u24_e32 v68, 0x10001, v190
	v_and_b32_e32 v13, 0xffff, v13
	v_pk_fma_f16 v62, v62, v70, v64
	v_mul_u32_u24_e32 v64, 0x10001, v194
	v_pk_fma_f16 v66, v63, v72, v66
	v_mul_u32_u24_e32 v70, 0x10001, v195
	v_mul_u32_u24_e32 v72, 0x10001, v188
	v_pk_fma_f16 v62, v63, v74, v62
	;; [unrolled: 10-line block ×4, first 2 shown]
	v_mul_u32_u24_e32 v13, 0x10001, v13
	v_pk_fma_f16 v60, v56, v60, v62
	v_mul_u32_u24_e32 v62, 0x10001, v218
	s_wait_dscnt 0x14
	v_lshrrev_b32_e32 v59, 16, v32
	v_pk_fma_f16 v56, v56, v64, v58
	v_mul_u32_u24_e32 v58, 0x10001, v224
	v_pk_fma_f16 v60, v57, v66, v60
	v_mul_u32_u24_e32 v64, 0x10001, v222
	v_mul_u32_u24_e32 v66, 0x10001, v220
	v_pk_fma_f16 v56, v57, v68, v56
	v_and_b32_e32 v32, 0xffff, v32
	v_pk_fma_f16 v58, v54, v58, v60
	v_mul_u32_u24_e32 v60, 0x10001, v219
	v_lshrrev_b32_e32 v57, 16, v33
	v_pk_fma_f16 v54, v54, v62, v56
	v_mul_u32_u24_e32 v56, 0x10001, v221
	v_pk_fma_f16 v58, v55, v64, v58
	v_mul_u32_u24_e32 v62, 0x10001, v223
	v_mul_u32_u24_e32 v64, 0x10001, v217
	v_pk_fma_f16 v54, v55, v66, v54
	v_and_b32_e32 v33, 0xffff, v33
	v_pk_fma_f16 v56, v52, v56, v58
	v_mul_u32_u24_e32 v58, 0x10001, v235
	v_lshrrev_b32_e32 v55, 16, v34
	v_pk_fma_f16 v52, v52, v60, v54
	v_mul_u32_u24_e32 v54, 0x10001, v239
	v_pk_fma_f16 v56, v53, v62, v56
	v_mul_u32_u24_e32 v60, 0x10001, v240
	v_mul_u32_u24_e32 v62, 0x10001, v236
	v_pk_fma_f16 v52, v53, v64, v52
	v_and_b32_e32 v34, 0xffff, v34
	v_pk_fma_f16 v54, v50, v54, v56
	v_mul_u32_u24_e32 v56, 0x10001, v234
	v_lshrrev_b32_e32 v53, 16, v35
	v_pk_fma_f16 v50, v50, v58, v52
	v_mul_u32_u24_e32 v52, 0x10001, v237
	v_pk_fma_f16 v54, v51, v60, v54
	v_mul_u32_u24_e32 v58, 0x10001, v238
	v_mul_u32_u24_e32 v60, 0x10001, v233
	v_pk_fma_f16 v50, v51, v62, v50
	v_and_b32_e32 v35, 0xffff, v35
	v_pk_fma_f16 v52, v48, v52, v54
	v_mul_u32_u24_e32 v54, 0x10001, v232
	s_wait_dscnt 0x13
	v_lshrrev_b32_e32 v51, 16, v20
	v_pk_fma_f16 v48, v48, v56, v50
	v_mul_u32_u24_e32 v50, 0x10001, v241
	v_pk_fma_f16 v52, v49, v58, v52
	v_mul_u32_u24_e32 v56, 0x10001, v242
	v_mul_u32_u24_e32 v58, 0x10001, v230
	v_pk_fma_f16 v48, v49, v60, v48
	v_and_b32_e32 v20, 0xffff, v20
	v_pk_fma_f16 v50, v46, v50, v52
	v_mul_u32_u24_e32 v52, 0x10001, v229
	v_lshrrev_b32_e32 v49, 16, v21
	v_pk_fma_f16 v46, v46, v54, v48
	v_mul_u32_u24_e32 v48, 0x10001, v231
	v_pk_fma_f16 v50, v47, v56, v50
	v_mul_u32_u24_e32 v54, 0x10001, v225
	v_mul_u32_u24_e32 v56, 0x10001, v226
	v_pk_fma_f16 v46, v47, v58, v46
	v_and_b32_e32 v21, 0xffff, v21
	v_pk_fma_f16 v48, v44, v48, v50
	v_mul_u32_u24_e32 v50, 0x10001, v133
	v_lshrrev_b32_e32 v47, 16, v22
	v_pk_fma_f16 v44, v44, v52, v46
	v_mul_u32_u24_e32 v46, 0x10001, v138
	v_pk_fma_f16 v48, v45, v54, v48
	v_mul_u32_u24_e32 v52, 0x10001, v132
	v_mul_u32_u24_e32 v54, 0x10001, v140
	v_pk_fma_f16 v44, v45, v56, v44
	v_mul_u32_u24_e32 v20, 0x10001, v20
	v_pk_fma_f16 v46, v42, v46, v48
	v_mul_u32_u24_e32 v48, 0x10001, v134
	v_and_b32_e32 v22, 0xffff, v22
	v_pk_fma_f16 v42, v42, v50, v44
	v_mul_u32_u24_e32 v44, 0x10001, v136
	v_pk_fma_f16 v46, v43, v52, v46
	v_mul_u32_u24_e32 v50, 0x10001, v167
	v_mul_u32_u24_e32 v52, 0x10001, v147
	v_pk_fma_f16 v42, v43, v54, v42
	v_mul_u32_u24_e32 v54, 0x10001, v193
	v_pk_fma_f16 v44, v86, v44, v46
	v_mul_u32_u24_e32 v46, 0x10001, v189
	v_lshrrev_b32_e32 v45, 16, v23
	v_pk_fma_f16 v42, v86, v48, v42
	v_mul_u32_u24_e32 v48, 0x10001, v210
	v_pk_fma_f16 v44, v87, v50, v44
	v_mul_u32_u24_e32 v21, 0x10001, v21
	v_and_b32_e32 v23, 0xffff, v23
	v_pk_fma_f16 v42, v87, v52, v42
	v_mul_u32_u24_e32 v52, 0x10001, v99
	v_pk_fma_f16 v44, v84, v46, v44
	v_mul_u32_u24_e32 v46, 0x10001, v187
	s_wait_dscnt 0xe
	v_lshrrev_b32_e32 v43, 16, v24
	v_pk_fma_f16 v42, v84, v48, v42
	v_mul_u32_u24_e32 v22, 0x10001, v22
	v_pk_fma_f16 v44, v85, v52, v44
	v_mul_u32_u24_e32 v52, 0x10001, v211
	v_and_b32_e32 v24, 0xffff, v24
	v_pk_fma_f16 v42, v85, v54, v42
	v_lshrrev_b32_e32 v50, 16, v25
	v_pk_fma_f16 v6, v82, v6, v44
	v_mul_u32_u24_e32 v44, 0x10001, v89
	v_mul_u32_u24_e32 v23, 0x10001, v23
	v_pk_fma_f16 v42, v82, v46, v42
	v_mul_u32_u24_e32 v46, 0x10001, v146
	v_pk_fma_f16 v6, v83, v7, v6
	v_and_b32_e32 v25, 0xffff, v25
	v_lshrrev_b32_e32 v48, 16, v26
	v_pk_fma_f16 v7, v83, v52, v42
	v_lshrrev_b32_e32 v42, 16, v27
	v_pk_fma_f16 v0, v80, v0, v6
	v_mul_u32_u24_e32 v24, 0x10001, v24
	v_and_b32_e32 v26, 0xffff, v26
	v_pk_fma_f16 v6, v80, v44, v7
	v_and_b32_e32 v7, 0xffff, v27
	v_mul_u32_u24_e32 v27, 0x10001, v150
	v_pk_fma_f16 v0, v81, v1, v0
	v_mul_u32_u24_e32 v44, 0x10001, v77
	v_pk_fma_f16 v1, v81, v46, v6
	s_wait_dscnt 0xd
	v_lshrrev_b32_e32 v6, 16, v8
	v_mul_u32_u24_e32 v25, 0x10001, v25
	v_pk_fma_f16 v0, v90, v2, v0
	v_and_b32_e32 v2, 0xffff, v8
	v_pk_fma_f16 v1, v90, v27, v1
	v_mul_u32_u24_e32 v8, 0x10001, v16
	v_mul_u32_u24_e32 v16, 0x10001, v75
	v_pk_fma_f16 v0, v91, v3, v0
	v_mul_u32_u24_e32 v27, 0x10001, v73
	v_pk_fma_f16 v1, v91, v44, v1
	v_lshrrev_b32_e32 v3, 16, v9
	v_mul_u32_u24_e32 v26, 0x10001, v26
	v_pk_fma_f16 v0, v96, v8, v0
	v_and_b32_e32 v8, 0xffff, v9
	v_pk_fma_f16 v1, v96, v16, v1
	v_mul_u32_u24_e32 v16, 0x10001, v71
	v_mul_u32_u24_e32 v9, 0x10001, v18
	v_pk_fma_f16 v0, v97, v17, v0
	v_mul_u32_u24_e32 v18, 0x10001, v19
	v_pk_fma_f16 v1, v97, v27, v1
	v_mul_u32_u24_e32 v19, 0x10001, v69
	v_lshrrev_b32_e32 v17, 16, v10
	v_pk_fma_f16 v0, v94, v9, v0
	v_and_b32_e32 v9, 0xffff, v10
	v_pk_fma_f16 v1, v94, v16, v1
	v_mul_u32_u24_e32 v10, 0x10001, v12
	v_mul_u32_u24_e32 v12, 0x10001, v67
	v_pk_fma_f16 v0, v95, v18, v0
	v_mul_u32_u24_e32 v18, 0x10001, v65
	v_pk_fma_f16 v1, v95, v19, v1
	v_lshrrev_b32_e32 v16, 16, v11
	v_mul_u32_u24_e32 v19, 0x10001, v57
	v_pk_fma_f16 v0, v92, v10, v0
	v_and_b32_e32 v10, 0xffff, v11
	v_pk_fma_f16 v1, v92, v12, v1
	v_mul_u32_u24_e32 v12, 0x10001, v63
	v_mul_u32_u24_e32 v11, 0x10001, v14
	v_pk_fma_f16 v0, v93, v13, v0
	v_mul_u32_u24_e32 v14, 0x10001, v15
	v_pk_fma_f16 v1, v93, v18, v1
	v_mul_u32_u24_e32 v15, 0x10001, v61
	v_mul_u32_u24_e32 v18, 0x10001, v59
	v_pk_fma_f16 v0, v104, v11, v0
	v_mul_u32_u24_e32 v27, 0x10001, v55
	;; [unrolled: 5-line block ×5, first 2 shown]
	v_pk_fma_f16 v1, v111, v19, v1
	v_mul_u32_u24_e32 v19, 0x10001, v35
	s_wait_dscnt 0x8
	v_lshrrev_b32_e32 v13, 16, v36
	v_pk_fma_f16 v0, v108, v18, v0
	v_and_b32_e32 v11, 0xffff, v36
	v_pk_fma_f16 v1, v108, v27, v1
	v_mul_u32_u24_e32 v27, 0x10001, v51
	v_lshrrev_b32_e32 v14, 16, v37
	v_pk_fma_f16 v0, v109, v19, v0
	v_and_b32_e32 v12, 0xffff, v37
	v_pk_fma_f16 v1, v109, v32, v1
	v_mul_u32_u24_e32 v32, 0x10001, v49
	v_lshrrev_b32_e32 v15, 16, v38
	v_pk_fma_f16 v0, v106, v20, v0
	v_lshrrev_b32_e32 v19, 16, v39
	v_pk_fma_f16 v1, v106, v27, v1
	v_mul_u32_u24_e32 v27, 0x10001, v47
	v_and_b32_e32 v18, 0xffff, v38
	v_pk_fma_f16 v0, v107, v21, v0
	s_wait_dscnt 0x7
	v_lshrrev_b32_e32 v21, 16, v28
	v_pk_fma_f16 v1, v107, v32, v1
	v_mul_u32_u24_e32 v32, 0x10001, v45
	v_and_b32_e32 v20, 0xffff, v39
	v_pk_fma_f16 v0, v114, v22, v0
	v_and_b32_e32 v22, 0xffff, v28
	v_pk_fma_f16 v1, v114, v27, v1
	v_mul_u32_u24_e32 v27, 0x10001, v43
	v_mul_u32_u24_e32 v28, 0x10001, v50
	v_pk_fma_f16 v0, v115, v23, v0
	v_lshrrev_b32_e32 v23, 16, v29
	v_pk_fma_f16 v1, v115, v32, v1
	s_delay_alu instid0(VALU_DEP_3) | instskip(SKIP_1) | instid1(VALU_DEP_3)
	v_pk_fma_f16 v0, v122, v24, v0
	v_and_b32_e32 v24, 0xffff, v29
	v_pk_fma_f16 v1, v122, v27, v1
	v_mul_u32_u24_e32 v27, 0x10001, v48
	s_delay_alu instid0(VALU_DEP_4) | instskip(SKIP_1) | instid1(VALU_DEP_4)
	v_pk_fma_f16 v0, v123, v25, v0
	v_lshrrev_b32_e32 v25, 16, v30
	v_pk_fma_f16 v1, v123, v28, v1
	v_mul_u32_u24_e32 v28, 0x10001, v42
	v_mov_b32_e32 v42, v148
	v_pk_fma_f16 v0, v118, v26, v0
	v_and_b32_e32 v26, 0xffff, v30
	v_pk_fma_f16 v1, v118, v27, v1
	s_delay_alu instid0(VALU_DEP_3) | instskip(SKIP_1) | instid1(VALU_DEP_3)
	v_pk_fma_f16 v0, v119, v7, v0
	v_lshrrev_b32_e32 v7, 16, v31
	v_pk_fma_f16 v1, v119, v28, v1
	s_delay_alu instid0(VALU_DEP_3) | instskip(NEXT) | instid1(VALU_DEP_3)
	v_pk_fma_f16 v0, v116, v2, v0
	v_mul_u32_u24_e32 v7, 0x10001, v7
	s_delay_alu instid0(VALU_DEP_3)
	v_pk_fma_f16 v1, v116, v6, v1
	v_mul_u32_u24_e32 v6, 0x10001, v9
	v_mul_u32_u24_e32 v9, 0x10001, v17
	v_pk_fma_f16 v0, v117, v8, v0
	v_mul_u32_u24_e32 v8, 0x10001, v10
	v_pk_fma_f16 v1, v117, v3, v1
	v_mul_u32_u24_e32 v10, 0x10001, v16
	v_mul_u32_u24_e32 v16, 0x10001, v23
	v_pk_fma_f16 v0, v112, v6, v0
	v_mul_u32_u24_e32 v17, 0x10001, v25
	v_pk_fma_f16 v1, v112, v9, v1
	v_mul_u32_u24_e32 v9, 0x10001, v11
	v_mul_u32_u24_e32 v11, 0x10001, v13
	v_mul_u32_u24_e32 v13, 0x10001, v15
	v_pk_fma_f16 v0, v113, v8, v0
	v_pk_fma_f16 v1, v113, v10, v1
	v_mul_u32_u24_e32 v10, 0x10001, v12
	v_mul_u32_u24_e32 v12, 0x10001, v14
	;; [unrolled: 1-line block ×3, first 2 shown]
	v_pk_fma_f16 v0, v126, v9, v0
	v_pk_fma_f16 v1, v126, v11, v1
	v_mul_u32_u24_e32 v15, 0x10001, v21
	v_mul_u32_u24_e32 v11, 0x10001, v18
	s_wait_dscnt 0x2
	v_lshrrev_b32_e32 v3, 16, v183
	v_pk_fma_f16 v0, v127, v10, v0
	v_pk_fma_f16 v1, v127, v12, v1
	v_mul_u32_u24_e32 v12, 0x10001, v20
	v_lshrrev_b32_e32 v8, 16, v184
	v_mul_u32_u24_e32 v3, 0x10001, v3
	v_pk_fma_f16 v0, v124, v11, v0
	v_pk_fma_f16 v1, v124, v13, v1
	v_mul_u32_u24_e32 v13, 0x10001, v22
	v_and_b32_e32 v2, 0xffff, v31
	v_and_b32_e32 v9, 0xffff, v184
	v_pk_fma_f16 v0, v125, v12, v0
	v_pk_fma_f16 v1, v125, v14, v1
	v_mul_u32_u24_e32 v14, 0x10001, v24
	v_lshrrev_b32_e32 v10, 16, v185
	v_mul_u32_u24_e32 v8, 0x10001, v8
	v_pk_fma_f16 v0, v120, v13, v0
	v_pk_fma_f16 v1, v120, v15, v1
	v_mul_u32_u24_e32 v15, 0x10001, v26
	v_and_b32_e32 v6, 0xffff, v183
	v_lshrrev_b32_e32 v12, 16, v186
	v_pk_fma_f16 v0, v121, v14, v0
	v_pk_fma_f16 v1, v121, v16, v1
	v_mul_u32_u24_e32 v2, 0x10001, v2
	v_and_b32_e32 v11, 0xffff, v185
	s_wait_dscnt 0x1
	v_lshrrev_b32_e32 v14, 16, v206
	v_pk_fma_f16 v0, v128, v15, v0
	v_pk_fma_f16 v1, v128, v17, v1
	v_mul_u32_u24_e32 v6, 0x10001, v6
	v_and_b32_e32 v13, 0xffff, v186
	v_and_b32_e32 v15, 0xffff, v206
	v_pk_fma_f16 v0, v129, v2, v0
	v_pk_fma_f16 v1, v129, v7, v1
	v_mul_u32_u24_e32 v7, 0x10001, v9
	v_mul_u32_u24_e32 v9, 0x10001, v10
	;; [unrolled: 1-line block ×3, first 2 shown]
	v_lshrrev_b32_e32 v2, 16, v207
	v_pk_fma_f16 v1, v102, v3, v1
	v_pk_fma_f16 v0, v102, v6, v0
	v_mul_u32_u24_e32 v6, 0x10001, v11
	v_mul_u32_u24_e32 v11, 0x10001, v14
	;; [unrolled: 1-line block ×3, first 2 shown]
	v_pk_fma_f16 v1, v103, v8, v1
	v_pk_fma_f16 v0, v103, v7, v0
	v_mul_u32_u24_e32 v8, 0x10001, v13
	v_and_b32_e32 v3, 0xffff, v207
	v_lshrrev_b32_e32 v7, 16, v208
	v_pk_fma_f16 v1, v130, v9, v1
	v_pk_fma_f16 v0, v130, v6, v0
	v_mul_u32_u24_e32 v9, 0x10001, v15
	v_and_b32_e32 v6, 0xffff, v208
	v_mul_u32_u24_e32 v3, 0x10001, v3
	v_pk_fma_f16 v1, v131, v10, v1
	v_pk_fma_f16 v0, v131, v8, v0
	v_lshrrev_b32_e32 v8, 16, v209
	v_mul_u32_u24_e32 v6, 0x10001, v6
	v_mul_u32_u24_e32 v7, 0x10001, v7
	v_pk_fma_f16 v1, v100, v11, v1
	v_pk_fma_f16 v0, v100, v9, v0
	v_and_b32_e32 v9, 0xffff, v209
	v_lshlrev_b32_e32 v20, 1, v135
	s_delay_alu instid0(VALU_DEP_4)
	v_pk_fma_f16 v1, v101, v2, v1
	scratch_load_b32 v2, off, off offset:28 th:TH_LOAD_LU ; 4-byte Folded Reload
	s_wait_storecnt 0x0
	s_wait_loadcnt_dscnt 0x0
	s_barrier_signal -1
	s_barrier_wait -1
	global_inv scope:SCOPE_SE
	s_clause 0x2
	scratch_load_b32 v134, off, off offset:20
	scratch_load_b32 v133, off, off offset:16
	;; [unrolled: 1-line block ×3, first 2 shown]
	v_pk_fma_f16 v0, v101, v3, v0
	v_mul_u32_u24_e32 v3, 0x10001, v8
	v_pk_fma_f16 v1, v4, v7, v1
	s_delay_alu instid0(VALU_DEP_3) | instskip(NEXT) | instid1(VALU_DEP_2)
	v_pk_fma_f16 v0, v4, v6, v0
	v_pk_fma_f16 v80, v5, v3, v1
	v_fmac_f32_e32 v149, v139, v2
	v_mul_u32_u24_e32 v2, 0x10001, v9
	s_delay_alu instid0(VALU_DEP_2) | instskip(NEXT) | instid1(VALU_DEP_2)
	v_mov_b32_e32 v139, v149
	v_pk_fma_f16 v81, v5, v2, v0
	v_dual_mov_b32 v4, v40 :: v_dual_mov_b32 v5, v41
	s_wait_loadcnt 0x2
	v_or_b32_e32 v132, 1, v134
.LBB62_72:
	v_cmp_lt_i32_e32 vcc_lo, v141, v145
	s_cmp_eq_u64 s[24:25], 0
	s_cselect_b32 s2, -1, 0
	s_cmp_lg_u32 s22, 0
	s_wait_alu 0xfffd
	v_cndmask_b32_e32 v0, v137, v141, vcc_lo
	v_cmp_lt_i32_e32 vcc_lo, v168, v145
	s_cselect_b32 s3, -1, 0
	s_wait_alu 0xfffe
	s_or_b32 s2, s3, s2
	v_lshlrev_b32_e32 v0, 2, v0
	s_wait_alu 0xfffd
	v_cndmask_b32_e32 v2, v137, v168, vcc_lo
	v_cmp_lt_i32_e32 vcc_lo, v142, v145
	ds_bpermute_b32 v1, v0, v42
	s_wait_alu 0xfffd
	v_cndmask_b32_e32 v6, v137, v142, vcc_lo
	v_cmp_lt_i32_e32 vcc_lo, v143, v145
	s_wait_dscnt 0x0
	s_delay_alu instid0(VALU_DEP_2)
	v_dual_add_f32 v1, v42, v1 :: v_dual_lshlrev_b32 v6, 2, v6
	v_lshlrev_b32_e32 v2, 2, v2
	ds_bpermute_b32 v0, v0, v139
	ds_bpermute_b32 v3, v2, v1
	s_wait_dscnt 0x0
	v_dual_add_f32 v1, v1, v3 :: v_dual_add_f32 v0, v139, v0
	ds_bpermute_b32 v2, v2, v0
	s_wait_dscnt 0x0
	v_add_f32_e32 v0, v0, v2
	ds_bpermute_b32 v2, v6, v1
	ds_bpermute_b32 v3, v6, v0
	s_wait_alu 0xfffd
	v_cndmask_b32_e32 v6, v137, v143, vcc_lo
	v_cmp_lt_i32_e32 vcc_lo, v144, v145
	s_delay_alu instid0(VALU_DEP_2)
	v_lshlrev_b32_e32 v6, 2, v6
	s_wait_dscnt 0x1
	v_add_f32_e32 v1, v1, v2
	ds_bpermute_b32 v2, v6, v1
	s_wait_dscnt 0x0
	v_dual_add_f32 v0, v0, v3 :: v_dual_add_f32 v1, v1, v2
	ds_bpermute_b32 v3, v6, v0
	s_wait_alu 0xfffd
	v_cndmask_b32_e32 v6, v137, v144, vcc_lo
	s_wait_alu 0xfffe
	s_and_b32 vcc_lo, exec_lo, s2
	s_delay_alu instid0(VALU_DEP_1)
	v_lshlrev_b32_e32 v6, 2, v6
	s_wait_dscnt 0x0
	v_add_f32_e32 v2, v0, v3
	ds_bpermute_b32 v0, v6, v1
	ds_bpermute_b32 v3, v6, v2
	s_wait_dscnt 0x0
	v_dual_add_f32 v0, v1, v0 :: v_dual_add_f32 v1, v2, v3
	s_wait_alu 0xfffe
	s_cbranch_vccnz .LBB62_75
; %bb.73:
	v_dual_mov_b32 v2, 0 :: v_dual_max_num_f32 v3, v4, v4
	s_lshl_b64 s[2:3], s[34:35], 2
	v_max_num_f32_e32 v8, v5, v5
	s_wait_alu 0xfffe
	s_add_nc_u64 s[2:3], s[24:25], s[2:3]
	global_load_b32 v2, v2, s[2:3]
	s_wait_loadcnt 0x0
	v_max_num_f32_e32 v7, v2, v2
	s_delay_alu instid0(VALU_DEP_1) | instskip(SKIP_1) | instid1(VALU_DEP_2)
	v_max_num_f32_e32 v6, v3, v7
	v_max_num_f32_e32 v7, v8, v7
	v_sub_f32_e32 v3, v4, v6
	v_sub_f32_e32 v4, v2, v6
	s_delay_alu instid0(VALU_DEP_3) | instskip(NEXT) | instid1(VALU_DEP_2)
	v_sub_f32_e32 v8, v2, v7
	v_dual_mul_f32 v2, 0x3fb8aa3b, v3 :: v_dual_mul_f32 v9, 0x3fb8aa3b, v4
	s_delay_alu instid0(VALU_DEP_2) | instskip(SKIP_1) | instid1(VALU_DEP_3)
	v_mul_f32_e32 v11, 0x3fb8aa3b, v8
	v_cmp_ngt_f32_e32 vcc_lo, 0xc2ce8ed0, v3
	v_fma_f32 v12, 0x3fb8aa3b, v3, -v2
	v_rndne_f32_e32 v13, v2
	v_sub_f32_e32 v5, v5, v7
	v_fma_f32 v14, 0x3fb8aa3b, v4, -v9
	v_rndne_f32_e32 v15, v9
	v_rndne_f32_e32 v19, v11
	v_fma_f32 v18, 0x3fb8aa3b, v8, -v11
	v_sub_f32_e32 v2, v2, v13
	s_delay_alu instid0(VALU_DEP_4) | instskip(NEXT) | instid1(VALU_DEP_4)
	v_dual_mul_f32 v10, 0x3fb8aa3b, v5 :: v_dual_sub_f32 v9, v9, v15
	v_dual_fmac_f32 v14, 0x32a5705f, v4 :: v_dual_sub_f32 v11, v11, v19
	v_fmac_f32_e32 v12, 0x32a5705f, v3
	s_delay_alu instid0(VALU_DEP_3) | instskip(NEXT) | instid1(VALU_DEP_3)
	v_fma_f32 v16, 0x3fb8aa3b, v5, -v10
	v_dual_fmac_f32 v18, 0x32a5705f, v8 :: v_dual_add_f32 v9, v9, v14
	v_rndne_f32_e32 v17, v10
	s_delay_alu instid0(VALU_DEP_4) | instskip(NEXT) | instid1(VALU_DEP_3)
	v_add_f32_e32 v2, v2, v12
	v_dual_fmac_f32 v16, 0x32a5705f, v5 :: v_dual_add_f32 v11, v11, v18
	v_cvt_i32_f32_e32 v12, v13
	s_delay_alu instid0(VALU_DEP_4) | instskip(NEXT) | instid1(VALU_DEP_4)
	v_cvt_i32_f32_e32 v14, v17
	v_exp_f32_e32 v2, v2
	v_exp_f32_e32 v9, v9
	v_exp_f32_e32 v11, v11
	v_cvt_i32_f32_e32 v13, v15
	s_delay_alu instid0(TRANS32_DEP_3)
	v_ldexp_f32 v2, v2, v12
	v_cvt_i32_f32_e32 v12, v19
	s_delay_alu instid0(TRANS32_DEP_2) | instid1(VALU_DEP_3)
	v_ldexp_f32 v9, v9, v13
	s_wait_alu 0xfffd
	s_delay_alu instid0(VALU_DEP_3)
	v_cndmask_b32_e32 v2, 0, v2, vcc_lo
	s_delay_alu instid0(TRANS32_DEP_1) | instid1(VALU_DEP_3)
	v_ldexp_f32 v11, v11, v12
	v_sub_f32_e32 v10, v10, v17
	v_cmp_ngt_f32_e32 vcc_lo, 0xc2ce8ed0, v5
	s_delay_alu instid0(VALU_DEP_2) | instskip(NEXT) | instid1(VALU_DEP_1)
	v_add_f32_e32 v10, v10, v16
	v_exp_f32_e32 v10, v10
	s_delay_alu instid0(TRANS32_DEP_1) | instskip(SKIP_1) | instid1(VALU_DEP_1)
	v_ldexp_f32 v10, v10, v14
	s_wait_alu 0xfffd
	v_cndmask_b32_e32 v10, 0, v10, vcc_lo
	v_cmp_nlt_f32_e32 vcc_lo, 0x42b17218, v3
	s_wait_alu 0xfffd
	v_cndmask_b32_e32 v12, 0x7f800000, v2, vcc_lo
	v_cmp_nlt_f32_e32 vcc_lo, 0x42b17218, v5
	s_wait_alu 0xfffd
	v_cndmask_b32_e32 v5, 0x7f800000, v10, vcc_lo
	v_cmp_ngt_f32_e32 vcc_lo, 0xc2ce8ed0, v4
	s_delay_alu instid0(VALU_DEP_2)
	v_cvt_f16_f32_e32 v10, v5
	s_wait_alu 0xfffd
	v_cndmask_b32_e32 v2, 0, v9, vcc_lo
	v_cmp_ngt_f32_e32 vcc_lo, 0xc2ce8ed0, v8
	v_cvt_f16_f32_e32 v9, v12
	s_wait_alu 0xfffd
	v_cndmask_b32_e32 v3, 0, v11, vcc_lo
	v_cmp_nlt_f32_e32 vcc_lo, 0x42b17218, v4
	s_delay_alu instid0(VALU_DEP_3)
	v_and_b32_e32 v4, 0xffff, v9
	s_wait_alu 0xfffd
	v_cndmask_b32_e32 v2, 0x7f800000, v2, vcc_lo
	v_cmp_nlt_f32_e32 vcc_lo, 0x42b17218, v8
	v_and_b32_e32 v8, 0xffff, v10
	v_mul_u32_u24_e32 v4, 0x10001, v4
	s_wait_alu 0xfffd
	v_dual_fmac_f32 v2, v0, v12 :: v_dual_cndmask_b32 v3, 0x7f800000, v3
	s_delay_alu instid0(VALU_DEP_2) | instskip(NEXT) | instid1(VALU_DEP_2)
	v_pk_mul_f16 v81, v81, v4
	v_fmac_f32_e32 v3, v1, v5
	v_mul_u32_u24_e32 v5, 0x10001, v8
	s_delay_alu instid0(VALU_DEP_2) | instskip(NEXT) | instid1(VALU_DEP_2)
	v_dual_mov_b32 v0, v2 :: v_dual_mov_b32 v1, v3
	v_pk_mul_f16 v80, v80, v5
	v_dual_mov_b32 v4, v6 :: v_dual_mov_b32 v5, v7
	s_mov_b32 s2, exec_lo
	v_cmpx_gt_i32_e64 s38, v136
	s_cbranch_execnz .LBB62_76
.LBB62_74:
	s_nop 0
	s_sendmsg sendmsg(MSG_DEALLOC_VGPRS)
	s_endpgm
.LBB62_75:
	s_delay_alu instid0(VALU_DEP_1)
	v_dual_mov_b32 v2, v0 :: v_dual_mov_b32 v3, v1
	s_mov_b32 s2, exec_lo
	s_wait_loadcnt 0x0
	v_cmpx_gt_i32_e64 s38, v136
	s_cbranch_execz .LBB62_74
.LBB62_76:
	s_load_b32 s1, s[0:1], 0xd4
	v_mov_b32_e32 v8, 1.0
	s_wait_kmcnt 0x0
	s_cmp_lg_u32 s1, 1
	s_cselect_b32 s4, -1, 0
	s_cmp_eq_u32 s1, 1
	s_cselect_b32 s2, -1, 0
	s_wait_alu 0xfffe
	s_and_b32 vcc_lo, exec_lo, s4
	s_wait_alu 0xfffe
	s_cbranch_vccnz .LBB62_78
; %bb.77:
	v_div_scale_f32 v6, null, v2, v2, 1.0
	s_delay_alu instid0(VALU_DEP_1) | instskip(NEXT) | instid1(TRANS32_DEP_1)
	v_rcp_f32_e32 v7, v6
	v_fma_f32 v8, -v6, v7, 1.0
	s_delay_alu instid0(VALU_DEP_1) | instskip(SKIP_1) | instid1(VALU_DEP_1)
	v_fmac_f32_e32 v7, v8, v7
	v_div_scale_f32 v8, vcc_lo, 1.0, v2, 1.0
	v_mul_f32_e32 v9, v8, v7
	s_delay_alu instid0(VALU_DEP_1) | instskip(NEXT) | instid1(VALU_DEP_1)
	v_fma_f32 v10, -v6, v9, v8
	v_fmac_f32_e32 v9, v10, v7
	s_delay_alu instid0(VALU_DEP_1) | instskip(SKIP_1) | instid1(VALU_DEP_1)
	v_fma_f32 v6, -v6, v9, v8
	s_wait_alu 0xfffd
	v_div_fmas_f32 v6, v6, v7, v9
	s_delay_alu instid0(VALU_DEP_1)
	v_div_fixup_f32 v8, v6, v2, 1.0
.LBB62_78:
	s_mul_i32 s3, s40, s38
	v_mov_b32_e32 v10, 0
	s_wait_alu 0xfffe
	s_add_co_i32 s3, s3, s23
	v_cmp_eq_u32_e32 vcc_lo, 0, v135
	s_wait_alu 0xfffe
	v_add_nc_u32_e32 v2, s3, v134
	s_delay_alu instid0(VALU_DEP_1) | instskip(SKIP_1) | instid1(VALU_DEP_1)
	v_mad_co_u64_u32 v[6:7], null, v2, s39, s[34:35]
	v_lshrrev_b32_e32 v2, 16, v81
	v_cvt_f32_f16_e32 v2, v2
	s_delay_alu instid0(VALU_DEP_3) | instskip(SKIP_1) | instid1(VALU_DEP_1)
	v_mad_co_u64_u32 v[6:7], null, s1, v6, s[22:23]
	v_cvt_f32_f16_e32 v7, v81
	v_mul_f32_e32 v7, v8, v7
	s_delay_alu instid0(VALU_DEP_3) | instskip(SKIP_1) | instid1(VALU_DEP_2)
	v_lshl_add_u32 v9, v6, 6, v20
	v_mul_f32_e32 v8, v8, v2
	v_lshlrev_b64_e32 v[9:10], 2, v[9:10]
	s_delay_alu instid0(VALU_DEP_1) | instskip(SKIP_1) | instid1(VALU_DEP_2)
	v_add_co_u32 v9, s0, s28, v9
	s_wait_alu 0xf1ff
	v_add_co_ci_u32_e64 v10, null, s29, v10, s0
	s_and_b32 s0, vcc_lo, s4
	global_store_b64 v[9:10], v[7:8], off
	s_wait_alu 0xfffe
	s_and_saveexec_b32 s4, s0
	s_cbranch_execz .LBB62_80
; %bb.79:
	v_ashrrev_i32_e32 v7, 31, v6
	v_dual_mov_b32 v8, v4 :: v_dual_mov_b32 v9, v0
	s_delay_alu instid0(VALU_DEP_2) | instskip(NEXT) | instid1(VALU_DEP_1)
	v_lshlrev_b64_e32 v[6:7], 3, v[6:7]
	v_add_co_u32 v6, vcc_lo, s30, v6
	s_wait_alu 0xfffd
	s_delay_alu instid0(VALU_DEP_2)
	v_add_co_ci_u32_e64 v7, null, s31, v7, vcc_lo
	global_store_b64 v[6:7], v[8:9], off
.LBB62_80:
	s_wait_alu 0xfffe
	s_or_b32 exec_lo, exec_lo, s4
	v_cmp_gt_i32_e32 vcc_lo, s38, v133
	s_and_b32 exec_lo, exec_lo, vcc_lo
	s_cbranch_execz .LBB62_74
; %bb.81:
	v_mov_b32_e32 v0, 1.0
	s_and_not1_b32 vcc_lo, exec_lo, s2
	s_wait_alu 0xfffe
	s_cbranch_vccnz .LBB62_83
; %bb.82:
	v_div_scale_f32 v0, null, v3, v3, 1.0
	s_delay_alu instid0(VALU_DEP_1) | instskip(NEXT) | instid1(TRANS32_DEP_1)
	v_rcp_f32_e32 v2, v0
	v_fma_f32 v4, -v0, v2, 1.0
	s_delay_alu instid0(VALU_DEP_1) | instskip(SKIP_1) | instid1(VALU_DEP_1)
	v_fmac_f32_e32 v2, v4, v2
	v_div_scale_f32 v4, vcc_lo, 1.0, v3, 1.0
	v_mul_f32_e32 v6, v4, v2
	s_delay_alu instid0(VALU_DEP_1) | instskip(NEXT) | instid1(VALU_DEP_1)
	v_fma_f32 v7, -v0, v6, v4
	v_fmac_f32_e32 v6, v7, v2
	s_delay_alu instid0(VALU_DEP_1) | instskip(SKIP_1) | instid1(VALU_DEP_1)
	v_fma_f32 v0, -v0, v6, v4
	s_wait_alu 0xfffd
	v_div_fmas_f32 v0, v0, v2, v6
	s_delay_alu instid0(VALU_DEP_1)
	v_div_fixup_f32 v0, v0, v3, 1.0
.LBB62_83:
	v_add_nc_u32_e32 v2, s3, v132
	v_lshrrev_b32_e32 v6, 16, v80
	v_cvt_f32_f16_e32 v7, v80
	s_delay_alu instid0(VALU_DEP_3) | instskip(NEXT) | instid1(VALU_DEP_3)
	v_mad_co_u64_u32 v[2:3], null, v2, s39, s[34:35]
	v_cvt_f32_f16_e32 v8, v6
	v_mov_b32_e32 v4, 0
	s_delay_alu instid0(VALU_DEP_4) | instskip(NEXT) | instid1(VALU_DEP_3)
	v_mul_f32_e32 v6, v0, v7
	v_mul_f32_e32 v7, v0, v8
	v_mad_co_u64_u32 v[2:3], null, s1, v2, s[22:23]
	s_delay_alu instid0(VALU_DEP_1) | instskip(NEXT) | instid1(VALU_DEP_1)
	v_lshl_add_u32 v3, v2, 6, v20
	v_lshlrev_b64_e32 v[3:4], 2, v[3:4]
	s_delay_alu instid0(VALU_DEP_1) | instskip(SKIP_1) | instid1(VALU_DEP_2)
	v_add_co_u32 v3, vcc_lo, s28, v3
	s_wait_alu 0xfffd
	v_add_co_ci_u32_e64 v4, null, s29, v4, vcc_lo
	global_store_b64 v[3:4], v[6:7], off
	s_and_b32 exec_lo, exec_lo, s0
	s_cbranch_execz .LBB62_74
; %bb.84:
	v_ashrrev_i32_e32 v3, 31, v2
	v_mov_b32_e32 v0, v5
	s_delay_alu instid0(VALU_DEP_2) | instskip(NEXT) | instid1(VALU_DEP_1)
	v_lshlrev_b64_e32 v[2:3], 3, v[2:3]
	v_add_co_u32 v2, vcc_lo, s30, v2
	s_wait_alu 0xfffd
	s_delay_alu instid0(VALU_DEP_2)
	v_add_co_ci_u32_e64 v3, null, s31, v3, vcc_lo
	global_store_b64 v[2:3], v[0:1], off
	s_nop 0
	s_sendmsg sendmsg(MSG_DEALLOC_VGPRS)
	s_endpgm
	.section	.rodata,"a",@progbits
	.p2align	6, 0x0
	.amdhsa_kernel _ZL15flash_attn_tileILi64ELi64ELi8ELi1ELb0EEvPKcS1_S1_S1_S1_PKiPfP15HIP_vector_typeIfLj2EEffffjfiS5_IjLj3EEiiiiiiiiiiiliiliiiiil
		.amdhsa_group_segment_fixed_size 21504
		.amdhsa_private_segment_fixed_size 48
		.amdhsa_kernarg_size 464
		.amdhsa_user_sgpr_count 2
		.amdhsa_user_sgpr_dispatch_ptr 0
		.amdhsa_user_sgpr_queue_ptr 0
		.amdhsa_user_sgpr_kernarg_segment_ptr 1
		.amdhsa_user_sgpr_dispatch_id 0
		.amdhsa_user_sgpr_private_segment_size 0
		.amdhsa_wavefront_size32 1
		.amdhsa_uses_dynamic_stack 0
		.amdhsa_enable_private_segment 1
		.amdhsa_system_sgpr_workgroup_id_x 1
		.amdhsa_system_sgpr_workgroup_id_y 1
		.amdhsa_system_sgpr_workgroup_id_z 1
		.amdhsa_system_sgpr_workgroup_info 0
		.amdhsa_system_vgpr_workitem_id 1
		.amdhsa_next_free_vgpr 256
		.amdhsa_next_free_sgpr 47
		.amdhsa_reserve_vcc 1
		.amdhsa_float_round_mode_32 0
		.amdhsa_float_round_mode_16_64 0
		.amdhsa_float_denorm_mode_32 3
		.amdhsa_float_denorm_mode_16_64 3
		.amdhsa_fp16_overflow 0
		.amdhsa_workgroup_processor_mode 1
		.amdhsa_memory_ordered 1
		.amdhsa_forward_progress 1
		.amdhsa_inst_pref_size 227
		.amdhsa_round_robin_scheduling 0
		.amdhsa_exception_fp_ieee_invalid_op 0
		.amdhsa_exception_fp_denorm_src 0
		.amdhsa_exception_fp_ieee_div_zero 0
		.amdhsa_exception_fp_ieee_overflow 0
		.amdhsa_exception_fp_ieee_underflow 0
		.amdhsa_exception_fp_ieee_inexact 0
		.amdhsa_exception_int_div_zero 0
	.end_amdhsa_kernel
	.section	.text._ZL15flash_attn_tileILi64ELi64ELi8ELi1ELb0EEvPKcS1_S1_S1_S1_PKiPfP15HIP_vector_typeIfLj2EEffffjfiS5_IjLj3EEiiiiiiiiiiiliiliiiiil,"axG",@progbits,_ZL15flash_attn_tileILi64ELi64ELi8ELi1ELb0EEvPKcS1_S1_S1_S1_PKiPfP15HIP_vector_typeIfLj2EEffffjfiS5_IjLj3EEiiiiiiiiiiiliiliiiiil,comdat
.Lfunc_end62:
	.size	_ZL15flash_attn_tileILi64ELi64ELi8ELi1ELb0EEvPKcS1_S1_S1_S1_PKiPfP15HIP_vector_typeIfLj2EEffffjfiS5_IjLj3EEiiiiiiiiiiiliiliiiiil, .Lfunc_end62-_ZL15flash_attn_tileILi64ELi64ELi8ELi1ELb0EEvPKcS1_S1_S1_S1_PKiPfP15HIP_vector_typeIfLj2EEffffjfiS5_IjLj3EEiiiiiiiiiiiliiliiiiil
                                        ; -- End function
	.set _ZL15flash_attn_tileILi64ELi64ELi8ELi1ELb0EEvPKcS1_S1_S1_S1_PKiPfP15HIP_vector_typeIfLj2EEffffjfiS5_IjLj3EEiiiiiiiiiiiliiliiiiil.num_vgpr, 256
	.set _ZL15flash_attn_tileILi64ELi64ELi8ELi1ELb0EEvPKcS1_S1_S1_S1_PKiPfP15HIP_vector_typeIfLj2EEffffjfiS5_IjLj3EEiiiiiiiiiiiliiliiiiil.num_agpr, 0
	.set _ZL15flash_attn_tileILi64ELi64ELi8ELi1ELb0EEvPKcS1_S1_S1_S1_PKiPfP15HIP_vector_typeIfLj2EEffffjfiS5_IjLj3EEiiiiiiiiiiiliiliiiiil.numbered_sgpr, 47
	.set _ZL15flash_attn_tileILi64ELi64ELi8ELi1ELb0EEvPKcS1_S1_S1_S1_PKiPfP15HIP_vector_typeIfLj2EEffffjfiS5_IjLj3EEiiiiiiiiiiiliiliiiiil.num_named_barrier, 0
	.set _ZL15flash_attn_tileILi64ELi64ELi8ELi1ELb0EEvPKcS1_S1_S1_S1_PKiPfP15HIP_vector_typeIfLj2EEffffjfiS5_IjLj3EEiiiiiiiiiiiliiliiiiil.private_seg_size, 48
	.set _ZL15flash_attn_tileILi64ELi64ELi8ELi1ELb0EEvPKcS1_S1_S1_S1_PKiPfP15HIP_vector_typeIfLj2EEffffjfiS5_IjLj3EEiiiiiiiiiiiliiliiiiil.uses_vcc, 1
	.set _ZL15flash_attn_tileILi64ELi64ELi8ELi1ELb0EEvPKcS1_S1_S1_S1_PKiPfP15HIP_vector_typeIfLj2EEffffjfiS5_IjLj3EEiiiiiiiiiiiliiliiiiil.uses_flat_scratch, 1
	.set _ZL15flash_attn_tileILi64ELi64ELi8ELi1ELb0EEvPKcS1_S1_S1_S1_PKiPfP15HIP_vector_typeIfLj2EEffffjfiS5_IjLj3EEiiiiiiiiiiiliiliiiiil.has_dyn_sized_stack, 0
	.set _ZL15flash_attn_tileILi64ELi64ELi8ELi1ELb0EEvPKcS1_S1_S1_S1_PKiPfP15HIP_vector_typeIfLj2EEffffjfiS5_IjLj3EEiiiiiiiiiiiliiliiiiil.has_recursion, 0
	.set _ZL15flash_attn_tileILi64ELi64ELi8ELi1ELb0EEvPKcS1_S1_S1_S1_PKiPfP15HIP_vector_typeIfLj2EEffffjfiS5_IjLj3EEiiiiiiiiiiiliiliiiiil.has_indirect_call, 0
	.section	.AMDGPU.csdata,"",@progbits
; Kernel info:
; codeLenInByte = 29044
; TotalNumSgprs: 49
; NumVgprs: 256
; ScratchSize: 48
; MemoryBound: 0
; FloatMode: 240
; IeeeMode: 1
; LDSByteSize: 21504 bytes/workgroup (compile time only)
; SGPRBlocks: 0
; VGPRBlocks: 31
; NumSGPRsForWavesPerEU: 49
; NumVGPRsForWavesPerEU: 256
; Occupancy: 5
; WaveLimiterHint : 1
; COMPUTE_PGM_RSRC2:SCRATCH_EN: 1
; COMPUTE_PGM_RSRC2:USER_SGPR: 2
; COMPUTE_PGM_RSRC2:TRAP_HANDLER: 0
; COMPUTE_PGM_RSRC2:TGID_X_EN: 1
; COMPUTE_PGM_RSRC2:TGID_Y_EN: 1
; COMPUTE_PGM_RSRC2:TGID_Z_EN: 1
; COMPUTE_PGM_RSRC2:TIDIG_COMP_CNT: 1
	.section	.text._ZL33flash_attn_stream_k_fixup_uniformILi64ELi8ELi1EEvPfPK15HIP_vector_typeIfLj2EEiiiiiiS1_IjLj3EES5_S5_,"axG",@progbits,_ZL33flash_attn_stream_k_fixup_uniformILi64ELi8ELi1EEvPfPK15HIP_vector_typeIfLj2EEiiiiiiS1_IjLj3EES5_S5_,comdat
	.globl	_ZL33flash_attn_stream_k_fixup_uniformILi64ELi8ELi1EEvPfPK15HIP_vector_typeIfLj2EEiiiiiiS1_IjLj3EES5_S5_ ; -- Begin function _ZL33flash_attn_stream_k_fixup_uniformILi64ELi8ELi1EEvPfPK15HIP_vector_typeIfLj2EEiiiiiiS1_IjLj3EES5_S5_
	.p2align	8
	.type	_ZL33flash_attn_stream_k_fixup_uniformILi64ELi8ELi1EEvPfPK15HIP_vector_typeIfLj2EEiiiiiiS1_IjLj3EES5_S5_,@function
_ZL33flash_attn_stream_k_fixup_uniformILi64ELi8ELi1EEvPfPK15HIP_vector_typeIfLj2EEiiiiiiS1_IjLj3EES5_S5_: ; @_ZL33flash_attn_stream_k_fixup_uniformILi64ELi8ELi1EEvPfPK15HIP_vector_typeIfLj2EEiiiiiiS1_IjLj3EES5_S5_
; %bb.0:
	s_clause 0x1
	s_load_b256 s[4:11], s[0:1], 0x1c
	s_load_b128 s[12:15], s[0:1], 0x3c
	s_wait_kmcnt 0x0
	s_mul_hi_u32 s2, s7, ttmp9
	s_delay_alu instid0(SALU_CYCLE_1) | instskip(NEXT) | instid1(SALU_CYCLE_1)
	s_add_co_i32 s2, ttmp9, s2
	s_lshr_b32 s2, s2, s8
	s_delay_alu instid0(SALU_CYCLE_1) | instskip(SKIP_2) | instid1(SALU_CYCLE_1)
	s_mul_i32 s3, s2, s9
	s_load_b64 s[8:9], s[0:1], 0x10
	s_sub_co_i32 s7, ttmp9, s3
	s_mul_hi_u32 s3, s7, s10
	s_delay_alu instid0(SALU_CYCLE_1) | instskip(NEXT) | instid1(SALU_CYCLE_1)
	s_add_co_i32 s3, s7, s3
	s_lshr_b32 s3, s3, s11
	s_delay_alu instid0(SALU_CYCLE_1) | instskip(NEXT) | instid1(SALU_CYCLE_1)
	s_mul_i32 s10, s3, s12
	s_sub_co_i32 s7, s7, s10
	s_delay_alu instid0(SALU_CYCLE_1) | instskip(NEXT) | instid1(SALU_CYCLE_1)
	s_mul_hi_u32 s10, s7, s13
	s_add_co_i32 s10, s7, s10
	s_delay_alu instid0(SALU_CYCLE_1) | instskip(NEXT) | instid1(SALU_CYCLE_1)
	s_lshr_b32 s11, s10, s14
	s_mul_i32 s10, s11, s15
	s_delay_alu instid0(SALU_CYCLE_1) | instskip(SKIP_2) | instid1(SALU_CYCLE_1)
	s_sub_co_i32 s12, s7, s10
	s_and_b32 s7, ttmp7, 0xffff
	s_lshl_b32 s10, s12, 3
	s_add_co_i32 s13, s10, s7
	s_lshr_b32 s10, ttmp7, 16
	s_wait_kmcnt 0x0
	s_cmp_lt_i32 s13, s8
	s_cselect_b32 s13, -1, 0
	s_add_co_i32 s14, s11, s10
	s_delay_alu instid0(SALU_CYCLE_1) | instskip(SKIP_1) | instid1(SALU_CYCLE_1)
	s_cmp_lt_i32 s14, s5
	s_cselect_b32 s14, -1, 0
	s_and_b32 s13, s13, s14
	s_delay_alu instid0(SALU_CYCLE_1)
	s_and_not1_b32 vcc_lo, exec_lo, s13
	s_cbranch_vccnz .LBB63_6
; %bb.1:
	s_mul_i32 s2, s2, s8
	s_mul_i32 s5, s3, s5
	s_add_co_i32 s2, s2, s7
	s_delay_alu instid0(SALU_CYCLE_1) | instskip(NEXT) | instid1(SALU_CYCLE_1)
	s_mul_i32 s2, s2, s9
	s_add_co_i32 s8, s2, s10
	s_load_b128 s[0:3], s[0:1], 0x0
	s_add_co_i32 s5, s8, s5
	s_mul_i32 s8, s9, s12
	s_add_co_i32 s5, s5, s11
	s_lshl_b32 s8, s8, 9
	s_lshl_b32 s5, s5, 6
	s_add_co_i32 s9, s7, s10
	s_add_co_i32 s8, s8, s5
	s_delay_alu instid0(SALU_CYCLE_1) | instskip(SKIP_3) | instid1(SALU_CYCLE_1)
	v_or_b32_e32 v1, s8, v0
	s_mul_i32 s8, s6, ttmp9
	s_wait_alu 0xfffe
	s_add_co_i32 s5, s8, s6
	s_add_co_i32 s7, s5, -2
	v_ashrrev_i32_e32 v2, 31, v1
	s_delay_alu instid0(VALU_DEP_1) | instskip(SKIP_1) | instid1(VALU_DEP_1)
	v_lshlrev_b64_e32 v[1:2], 2, v[1:2]
	s_wait_kmcnt 0x0
	v_add_co_u32 v1, vcc_lo, s0, v1
	s_delay_alu instid0(VALU_DEP_1)
	v_add_co_ci_u32_e64 v2, null, s1, v2, vcc_lo
	s_lshl_b32 s0, s5, 3
	s_wait_alu 0xfffe
	s_add_co_i32 s0, s9, s0
	global_load_b32 v5, v[1:2], off
	s_wait_alu 0xfffe
	s_add_co_i32 s0, s0, -8
	s_wait_alu 0xfffe
	s_ashr_i32 s1, s0, 31
	s_wait_alu 0xfffe
	s_lshl_b64 s[0:1], s[0:1], 3
	s_cmp_lt_i32 s7, s8
	s_wait_alu 0xfffe
	s_add_nc_u64 s[0:1], s[2:3], s[0:1]
	s_load_b32 s10, s[0:1], 0x4
	s_cbranch_scc1 .LBB63_4
; %bb.2:
	s_load_b32 s0, s[0:1], 0x0
	s_add_co_i32 s7, ttmp9, 1
	s_wait_kmcnt 0x0
	v_mov_b32_e32 v6, s10
	s_mul_i32 s1, s6, s7
	s_lshl_b32 s7, s9, 6
	s_wait_alu 0xfffe
	s_lshl_b32 s11, s1, 9
	s_lshl_b32 s6, s4, 5
	s_wait_alu 0xfffe
	s_add_co_i32 s11, s7, s11
	s_lshl_b32 s1, s1, 3
	s_wait_alu 0xfffe
	v_or_b32_e32 v0, s11, v0
	s_ashr_i32 s7, s6, 31
	s_add_co_i32 s1, s9, s1
	s_lshl_b32 s4, s4, 3
	s_lshl_b64 s[6:7], s[6:7], 2
	v_add_nc_u32_e32 v3, 0xfffffc00, v0
	s_wait_alu 0xfffe
	s_add_co_i32 s4, s1, s4
	s_add_nc_u64 s[6:7], s[2:3], s[6:7]
	s_add_co_i32 s1, s5, -1
	s_add_co_i32 s4, s4, -16
.LBB63_3:                               ; =>This Inner Loop Header: Depth=1
	v_ashrrev_i32_e32 v4, 31, v3
	s_ashr_i32 s5, s4, 31
	v_mov_b32_e32 v10, v6
	s_lshl_b64 s[10:11], s[4:5], 3
	s_wait_loadcnt 0x0
	v_mov_b32_e32 v9, v5
	v_lshlrev_b64_e32 v[7:8], 2, v[3:4]
	s_wait_alu 0xfffe
	s_add_nc_u64 s[10:11], s[2:3], s[10:11]
	v_max_num_f32_e64 v4, s0, s0
	s_load_b64 s[10:11], s[10:11], 0x0
	v_add_nc_u32_e32 v3, 0xfffffe00, v3
	v_add_co_u32 v7, vcc_lo, s6, v7
	s_wait_alu 0xfffd
	v_add_co_ci_u32_e64 v8, null, s7, v8, vcc_lo
	v_readfirstlane_b32 s5, v4
	global_load_b32 v0, v[7:8], off
	s_wait_kmcnt 0x0
	v_max_num_f32_e64 v4, s10, s10
	s_delay_alu instid0(VALU_DEP_1) | instskip(SKIP_1) | instid1(SALU_CYCLE_3)
	v_readfirstlane_b32 s9, v4
	s_max_num_f32 s5, s5, s9
	s_sub_f32 s0, s0, s5
	s_sub_f32 s9, s10, s5
	s_wait_alu 0xfffe
	s_delay_alu instid0(SALU_CYCLE_1) | instskip(NEXT) | instid1(SALU_CYCLE_1)
	s_mul_f32 s10, s0, 0x3fb8aa3b
	s_mul_f32 s12, s9, 0x3fb8aa3b
	s_wait_alu 0xfffe
	s_delay_alu instid0(SALU_CYCLE_1)
	s_xor_b32 s13, s10, 0x80000000
	s_rndne_f32 s14, s10
	s_fmamk_f32 s13, s0, 0x3fb8aa3b, s13
	s_cmp_nlt_f32 s0, 0xc2ce8ed0
	s_rndne_f32 s15, s12
	s_wait_alu 0xfffe
	s_sub_f32 s10, s10, s14
	s_fmamk_f32 s13, s0, 0x32a5705f, s13
	s_cvt_i32_f32 s14, s14
	s_cselect_b32 vcc_lo, -1, 0
	s_cmp_ngt_f32 s0, 0x42b17218
	s_wait_alu 0xfffe
	s_add_f32 s10, s10, s13
	s_sub_f32 s13, s12, s15
	s_wait_alu 0xfffe
	s_delay_alu instid0(SALU_CYCLE_1) | instskip(SKIP_1) | instid1(TRANS32_DEP_1)
	v_s_exp_f32 s10, s10
	s_wait_alu 0xf1ff
	v_ldexp_f32 v4, s10, s14
	s_cvt_i32_f32 s10, s15
	s_delay_alu instid0(VALU_DEP_1) | instskip(SKIP_3) | instid1(VALU_DEP_1)
	v_cndmask_b32_e32 v4, 0, v4, vcc_lo
	s_cselect_b32 vcc_lo, -1, 0
	s_cmp_ge_f32 s0, 0xc1a00000
	s_wait_alu 0xfffe
	v_cndmask_b32_e32 v4, 0x7f800000, v4, vcc_lo
	s_cselect_b32 vcc_lo, -1, 0
	s_xor_b32 s0, s12, 0x80000000
	s_cmp_nlt_f32 s9, 0xc2ce8ed0
	s_wait_alu 0xfffe
	s_fmamk_f32 s0, s9, 0x3fb8aa3b, s0
	s_wait_alu 0xfffe
	s_delay_alu instid0(SALU_CYCLE_2) | instskip(SKIP_1) | instid1(SALU_CYCLE_2)
	s_fmamk_f32 s0, s9, 0x32a5705f, s0
	s_wait_alu 0xfffe
	s_add_f32 s0, s13, s0
	s_wait_alu 0xfffe
	s_delay_alu instid0(SALU_CYCLE_2) | instskip(SKIP_1) | instid1(TRANS32_DEP_1)
	v_s_exp_f32 s0, s0
	s_wait_alu 0xf1ff
	v_ldexp_f32 v7, s0, s10
	s_cselect_b32 s0, -1, 0
	s_cmp_ngt_f32 s9, 0x42b17218
	s_wait_alu 0xfffe
	s_delay_alu instid0(VALU_DEP_1) | instskip(SKIP_3) | instid1(VALU_DEP_1)
	v_cndmask_b32_e64 v7, 0, v7, s0
	s_cselect_b32 s0, -1, 0
	s_cmp_ge_f32 s9, 0xc1a00000
	s_wait_alu 0xfffe
	v_cndmask_b32_e64 v7, 0x7f800000, v7, s0
	s_cselect_b32 s0, -1, 0
	s_add_co_i32 s1, s1, -1
	s_add_co_i32 s4, s4, -8
	s_wait_alu 0xfffe
	s_cmp_le_i32 s1, s8
	v_cndmask_b32_e64 v7, 0, v7, s0
	s_mov_b32 s0, s5
	s_wait_loadcnt 0x0
	s_delay_alu instid0(VALU_DEP_1) | instskip(NEXT) | instid1(VALU_DEP_1)
	v_dual_mul_f32 v5, v0, v7 :: v_dual_cndmask_b32 v4, 0, v4
	v_dual_mul_f32 v8, s11, v7 :: v_dual_fmac_f32 v5, v9, v4
	s_delay_alu instid0(VALU_DEP_1) | instskip(NEXT) | instid1(VALU_DEP_1)
	v_mov_b32_e32 v6, v8
	v_fmac_f32_e32 v6, v10, v4
	s_cbranch_scc0 .LBB63_3
	s_branch .LBB63_5
.LBB63_4:
	s_wait_kmcnt 0x0
	v_mov_b32_e32 v6, s10
.LBB63_5:
	s_wait_loadcnt 0x0
	s_delay_alu instid0(VALU_DEP_1) | instskip(NEXT) | instid1(VALU_DEP_1)
	v_div_scale_f32 v0, null, v6, v6, v5
	v_rcp_f32_e32 v3, v0
	s_delay_alu instid0(TRANS32_DEP_1) | instskip(NEXT) | instid1(VALU_DEP_1)
	v_fma_f32 v4, -v0, v3, 1.0
	v_fmac_f32_e32 v3, v4, v3
	v_div_scale_f32 v4, vcc_lo, v5, v6, v5
	s_delay_alu instid0(VALU_DEP_1) | instskip(NEXT) | instid1(VALU_DEP_1)
	v_mul_f32_e32 v7, v4, v3
	v_fma_f32 v8, -v0, v7, v4
	s_delay_alu instid0(VALU_DEP_1) | instskip(NEXT) | instid1(VALU_DEP_1)
	v_fmac_f32_e32 v7, v8, v3
	v_fma_f32 v0, -v0, v7, v4
	s_wait_alu 0xfffd
	s_delay_alu instid0(VALU_DEP_1) | instskip(NEXT) | instid1(VALU_DEP_1)
	v_div_fmas_f32 v0, v0, v3, v7
	v_div_fixup_f32 v0, v0, v6, v5
	global_store_b32 v[1:2], v0, off
.LBB63_6:
	s_endpgm
	.section	.rodata,"a",@progbits
	.p2align	6, 0x0
	.amdhsa_kernel _ZL33flash_attn_stream_k_fixup_uniformILi64ELi8ELi1EEvPfPK15HIP_vector_typeIfLj2EEiiiiiiS1_IjLj3EES5_S5_
		.amdhsa_group_segment_fixed_size 0
		.amdhsa_private_segment_fixed_size 0
		.amdhsa_kernarg_size 76
		.amdhsa_user_sgpr_count 2
		.amdhsa_user_sgpr_dispatch_ptr 0
		.amdhsa_user_sgpr_queue_ptr 0
		.amdhsa_user_sgpr_kernarg_segment_ptr 1
		.amdhsa_user_sgpr_dispatch_id 0
		.amdhsa_user_sgpr_private_segment_size 0
		.amdhsa_wavefront_size32 1
		.amdhsa_uses_dynamic_stack 0
		.amdhsa_enable_private_segment 0
		.amdhsa_system_sgpr_workgroup_id_x 1
		.amdhsa_system_sgpr_workgroup_id_y 1
		.amdhsa_system_sgpr_workgroup_id_z 1
		.amdhsa_system_sgpr_workgroup_info 0
		.amdhsa_system_vgpr_workitem_id 0
		.amdhsa_next_free_vgpr 11
		.amdhsa_next_free_sgpr 16
		.amdhsa_reserve_vcc 1
		.amdhsa_float_round_mode_32 0
		.amdhsa_float_round_mode_16_64 0
		.amdhsa_float_denorm_mode_32 3
		.amdhsa_float_denorm_mode_16_64 3
		.amdhsa_fp16_overflow 0
		.amdhsa_workgroup_processor_mode 1
		.amdhsa_memory_ordered 1
		.amdhsa_forward_progress 1
		.amdhsa_inst_pref_size 9
		.amdhsa_round_robin_scheduling 0
		.amdhsa_exception_fp_ieee_invalid_op 0
		.amdhsa_exception_fp_denorm_src 0
		.amdhsa_exception_fp_ieee_div_zero 0
		.amdhsa_exception_fp_ieee_overflow 0
		.amdhsa_exception_fp_ieee_underflow 0
		.amdhsa_exception_fp_ieee_inexact 0
		.amdhsa_exception_int_div_zero 0
	.end_amdhsa_kernel
	.section	.text._ZL33flash_attn_stream_k_fixup_uniformILi64ELi8ELi1EEvPfPK15HIP_vector_typeIfLj2EEiiiiiiS1_IjLj3EES5_S5_,"axG",@progbits,_ZL33flash_attn_stream_k_fixup_uniformILi64ELi8ELi1EEvPfPK15HIP_vector_typeIfLj2EEiiiiiiS1_IjLj3EES5_S5_,comdat
.Lfunc_end63:
	.size	_ZL33flash_attn_stream_k_fixup_uniformILi64ELi8ELi1EEvPfPK15HIP_vector_typeIfLj2EEiiiiiiS1_IjLj3EES5_S5_, .Lfunc_end63-_ZL33flash_attn_stream_k_fixup_uniformILi64ELi8ELi1EEvPfPK15HIP_vector_typeIfLj2EEiiiiiiS1_IjLj3EES5_S5_
                                        ; -- End function
	.set _ZL33flash_attn_stream_k_fixup_uniformILi64ELi8ELi1EEvPfPK15HIP_vector_typeIfLj2EEiiiiiiS1_IjLj3EES5_S5_.num_vgpr, 11
	.set _ZL33flash_attn_stream_k_fixup_uniformILi64ELi8ELi1EEvPfPK15HIP_vector_typeIfLj2EEiiiiiiS1_IjLj3EES5_S5_.num_agpr, 0
	.set _ZL33flash_attn_stream_k_fixup_uniformILi64ELi8ELi1EEvPfPK15HIP_vector_typeIfLj2EEiiiiiiS1_IjLj3EES5_S5_.numbered_sgpr, 16
	.set _ZL33flash_attn_stream_k_fixup_uniformILi64ELi8ELi1EEvPfPK15HIP_vector_typeIfLj2EEiiiiiiS1_IjLj3EES5_S5_.num_named_barrier, 0
	.set _ZL33flash_attn_stream_k_fixup_uniformILi64ELi8ELi1EEvPfPK15HIP_vector_typeIfLj2EEiiiiiiS1_IjLj3EES5_S5_.private_seg_size, 0
	.set _ZL33flash_attn_stream_k_fixup_uniformILi64ELi8ELi1EEvPfPK15HIP_vector_typeIfLj2EEiiiiiiS1_IjLj3EES5_S5_.uses_vcc, 1
	.set _ZL33flash_attn_stream_k_fixup_uniformILi64ELi8ELi1EEvPfPK15HIP_vector_typeIfLj2EEiiiiiiS1_IjLj3EES5_S5_.uses_flat_scratch, 0
	.set _ZL33flash_attn_stream_k_fixup_uniformILi64ELi8ELi1EEvPfPK15HIP_vector_typeIfLj2EEiiiiiiS1_IjLj3EES5_S5_.has_dyn_sized_stack, 0
	.set _ZL33flash_attn_stream_k_fixup_uniformILi64ELi8ELi1EEvPfPK15HIP_vector_typeIfLj2EEiiiiiiS1_IjLj3EES5_S5_.has_recursion, 0
	.set _ZL33flash_attn_stream_k_fixup_uniformILi64ELi8ELi1EEvPfPK15HIP_vector_typeIfLj2EEiiiiiiS1_IjLj3EES5_S5_.has_indirect_call, 0
	.section	.AMDGPU.csdata,"",@progbits
; Kernel info:
; codeLenInByte = 1120
; TotalNumSgprs: 18
; NumVgprs: 11
; ScratchSize: 0
; MemoryBound: 0
; FloatMode: 240
; IeeeMode: 1
; LDSByteSize: 0 bytes/workgroup (compile time only)
; SGPRBlocks: 0
; VGPRBlocks: 1
; NumSGPRsForWavesPerEU: 18
; NumVGPRsForWavesPerEU: 11
; Occupancy: 16
; WaveLimiterHint : 0
; COMPUTE_PGM_RSRC2:SCRATCH_EN: 0
; COMPUTE_PGM_RSRC2:USER_SGPR: 2
; COMPUTE_PGM_RSRC2:TRAP_HANDLER: 0
; COMPUTE_PGM_RSRC2:TGID_X_EN: 1
; COMPUTE_PGM_RSRC2:TGID_Y_EN: 1
; COMPUTE_PGM_RSRC2:TGID_Z_EN: 1
; COMPUTE_PGM_RSRC2:TIDIG_COMP_CNT: 0
	.section	.text._ZL33flash_attn_stream_k_fixup_generalILi64ELi8ELi1EEvPfPK15HIP_vector_typeIfLj2EEiiiiS1_IjLj3EES5_S5_S5_,"axG",@progbits,_ZL33flash_attn_stream_k_fixup_generalILi64ELi8ELi1EEvPfPK15HIP_vector_typeIfLj2EEiiiiS1_IjLj3EES5_S5_S5_,comdat
	.globl	_ZL33flash_attn_stream_k_fixup_generalILi64ELi8ELi1EEvPfPK15HIP_vector_typeIfLj2EEiiiiS1_IjLj3EES5_S5_S5_ ; -- Begin function _ZL33flash_attn_stream_k_fixup_generalILi64ELi8ELi1EEvPfPK15HIP_vector_typeIfLj2EEiiiiS1_IjLj3EES5_S5_S5_
	.p2align	8
	.type	_ZL33flash_attn_stream_k_fixup_generalILi64ELi8ELi1EEvPfPK15HIP_vector_typeIfLj2EEiiiiS1_IjLj3EES5_S5_S5_,@function
_ZL33flash_attn_stream_k_fixup_generalILi64ELi8ELi1EEvPfPK15HIP_vector_typeIfLj2EEiiiiS1_IjLj3EES5_S5_S5_: ; @_ZL33flash_attn_stream_k_fixup_generalILi64ELi8ELi1EEvPfPK15HIP_vector_typeIfLj2EEiiiiS1_IjLj3EES5_S5_S5_
; %bb.0:
	s_clause 0x1
	s_load_b128 s[4:7], s[0:1], 0x10
	s_load_b32 s16, s[0:1], 0x50
	s_mov_b32 s2, ttmp9
	s_ashr_i32 s3, ttmp9, 31
	s_mov_b32 s17, 0
	s_delay_alu instid0(SALU_CYCLE_1) | instskip(SKIP_3) | instid1(SALU_CYCLE_1)
	s_mov_b32 s8, s17
	s_wait_kmcnt 0x0
	s_ashr_i32 s19, s7, 31
	s_mov_b32 s18, s7
	s_mul_u64 s[2:3], s[18:19], s[2:3]
	s_delay_alu instid0(SALU_CYCLE_1) | instskip(NEXT) | instid1(SALU_CYCLE_1)
	s_mov_b32 s9, s3
	s_cmp_lg_u64 s[8:9], 0
	s_cbranch_scc0 .LBB64_21
; %bb.1:
	s_add_nc_u64 s[8:9], s[16:17], 0
	s_mov_b32 s15, s17
	s_xor_b64 s[8:9], s[8:9], 0
	s_mov_b32 s23, s17
	s_cvt_f32_u32 s7, s8
	s_cvt_f32_u32 s10, s9
	s_sub_nc_u64 s[12:13], 0, s[8:9]
	s_delay_alu instid0(SALU_CYCLE_2) | instskip(NEXT) | instid1(SALU_CYCLE_3)
	s_fmamk_f32 s7, s10, 0x4f800000, s7
	v_s_rcp_f32 s7, s7
	s_delay_alu instid0(TRANS32_DEP_1) | instskip(SKIP_1) | instid1(SALU_CYCLE_2)
	s_mul_f32 s7, s7, 0x5f7ffffc
	s_wait_alu 0xfffe
	s_mul_f32 s10, s7, 0x2f800000
	s_delay_alu instid0(SALU_CYCLE_3) | instskip(NEXT) | instid1(SALU_CYCLE_3)
	s_trunc_f32 s10, s10
	s_fmamk_f32 s7, s10, 0xcf800000, s7
	s_cvt_u32_f32 s11, s10
	s_wait_alu 0xfffe
	s_delay_alu instid0(SALU_CYCLE_1) | instskip(NEXT) | instid1(SALU_CYCLE_3)
	s_cvt_u32_f32 s10, s7
	s_mul_u64 s[20:21], s[12:13], s[10:11]
	s_delay_alu instid0(SALU_CYCLE_1)
	s_mul_hi_u32 s25, s10, s21
	s_mul_i32 s24, s10, s21
	s_mul_hi_u32 s14, s10, s20
	s_mul_i32 s22, s11, s20
	s_add_nc_u64 s[14:15], s[14:15], s[24:25]
	s_mul_hi_u32 s7, s11, s20
	s_mul_hi_u32 s26, s11, s21
	s_add_co_u32 s14, s14, s22
	s_wait_alu 0xfffe
	s_add_co_ci_u32 s22, s15, s7
	s_mul_i32 s20, s11, s21
	s_add_co_ci_u32 s21, s26, 0
	s_delay_alu instid0(SALU_CYCLE_1)
	s_add_nc_u64 s[14:15], s[22:23], s[20:21]
	s_mov_b32 s21, s17
	s_add_co_u32 s10, s10, s14
	s_cselect_b32 s7, -1, 0
	s_wait_alu 0xfffe
	s_cmp_lg_u32 s7, 0
	s_add_co_ci_u32 s11, s11, s15
	s_mov_b32 s15, s17
	s_mul_u64 s[12:13], s[12:13], s[10:11]
	s_delay_alu instid0(SALU_CYCLE_1)
	s_mul_hi_u32 s23, s10, s13
	s_mul_i32 s22, s10, s13
	s_mul_hi_u32 s14, s10, s12
	s_mul_i32 s20, s11, s12
	s_add_nc_u64 s[14:15], s[14:15], s[22:23]
	s_mul_hi_u32 s7, s11, s12
	s_mul_hi_u32 s24, s11, s13
	s_mul_i32 s12, s11, s13
	s_add_co_u32 s13, s14, s20
	s_wait_alu 0xfffe
	s_add_co_ci_u32 s20, s15, s7
	s_add_co_ci_u32 s13, s24, 0
	s_mov_b32 s15, s17
	s_add_nc_u64 s[12:13], s[20:21], s[12:13]
	s_delay_alu instid0(SALU_CYCLE_1) | instskip(SKIP_1) | instid1(SALU_CYCLE_1)
	s_add_co_u32 s7, s10, s12
	s_cselect_b32 s10, -1, 0
	s_cmp_lg_u32 s10, 0
	s_add_co_ci_u32 s20, s11, s13
	s_ashr_i32 s10, s3, 31
	s_delay_alu instid0(SALU_CYCLE_1) | instskip(NEXT) | instid1(SALU_CYCLE_1)
	s_mov_b32 s11, s10
	s_add_nc_u64 s[12:13], s[2:3], s[10:11]
	s_delay_alu instid0(SALU_CYCLE_1) | instskip(NEXT) | instid1(SALU_CYCLE_1)
	s_xor_b64 s[12:13], s[12:13], s[10:11]
	s_mul_hi_u32 s23, s12, s20
	s_mul_i32 s22, s12, s20
	s_wait_alu 0xfffe
	s_mul_hi_u32 s14, s12, s7
	s_mul_hi_u32 s24, s13, s7
	s_mul_i32 s7, s13, s7
	s_add_nc_u64 s[14:15], s[14:15], s[22:23]
	s_mul_hi_u32 s3, s13, s20
	s_wait_alu 0xfffe
	s_add_co_u32 s7, s14, s7
	s_mul_i32 s22, s13, s20
	s_add_co_ci_u32 s20, s15, s24
	s_add_co_ci_u32 s23, s3, 0
	s_delay_alu instid0(SALU_CYCLE_1) | instskip(NEXT) | instid1(SALU_CYCLE_1)
	s_add_nc_u64 s[14:15], s[20:21], s[22:23]
	s_mul_u64 s[20:21], s[8:9], s[14:15]
	s_delay_alu instid0(SALU_CYCLE_1)
	s_sub_co_u32 s3, s12, s20
	s_cselect_b32 s7, -1, 0
	s_sub_co_i32 s12, s13, s21
	s_wait_alu 0xfffe
	s_cmp_lg_u32 s7, 0
	s_sub_co_ci_u32 s12, s12, s9
	s_sub_co_u32 s20, s3, s8
	s_cselect_b32 s22, -1, 0
	s_delay_alu instid0(SALU_CYCLE_1) | instskip(SKIP_2) | instid1(SALU_CYCLE_1)
	s_cmp_lg_u32 s22, 0
	s_add_nc_u64 s[22:23], s[14:15], 1
	s_sub_co_ci_u32 s12, s12, 0
	s_cmp_ge_u32 s12, s9
	s_cselect_b32 s24, -1, 0
	s_cmp_ge_u32 s20, s8
	s_cselect_b32 s20, -1, 0
	s_cmp_eq_u32 s12, s9
	s_cselect_b32 s12, s20, s24
	s_add_nc_u64 s[24:25], s[14:15], 2
	s_cmp_lg_u32 s12, 0
	s_cselect_b32 s12, s24, s22
	s_cselect_b32 s20, s25, s23
	s_cmp_lg_u32 s7, 0
	s_sub_co_ci_u32 s7, s13, s21
	s_wait_alu 0xfffe
	s_cmp_ge_u32 s7, s9
	s_cselect_b32 s13, -1, 0
	s_cmp_ge_u32 s3, s8
	s_cselect_b32 s3, -1, 0
	s_cmp_eq_u32 s7, s9
	s_cselect_b32 s3, s3, s13
	s_delay_alu instid0(SALU_CYCLE_1) | instskip(SKIP_4) | instid1(SALU_CYCLE_1)
	s_cmp_lg_u32 s3, 0
	s_mov_b32 s3, s17
	s_cselect_b32 s9, s20, s15
	s_cselect_b32 s8, s12, s14
	s_xor_b64 s[10:11], s[10:11], 0
	s_xor_b64 s[8:9], s[8:9], s[10:11]
	s_delay_alu instid0(SALU_CYCLE_1)
	s_sub_nc_u64 s[20:21], s[8:9], s[10:11]
	s_and_not1_b32 vcc_lo, exec_lo, s3
	s_cbranch_vccnz .LBB64_3
.LBB64_2:
	v_cvt_f32_u32_e32 v1, s16
	s_sub_co_i32 s7, 0, s16
	s_delay_alu instid0(VALU_DEP_1) | instskip(NEXT) | instid1(TRANS32_DEP_1)
	v_rcp_iflag_f32_e32 v1, v1
	v_mul_f32_e32 v1, 0x4f7ffffe, v1
	s_delay_alu instid0(VALU_DEP_1) | instskip(NEXT) | instid1(VALU_DEP_1)
	v_cvt_u32_f32_e32 v1, v1
	v_readfirstlane_b32 s3, v1
	s_wait_alu 0xfffe
	s_mul_i32 s7, s7, s3
	s_wait_alu 0xfffe
	s_mul_hi_u32 s7, s3, s7
	s_wait_alu 0xfffe
	s_add_co_i32 s3, s3, s7
	s_delay_alu instid0(SALU_CYCLE_1) | instskip(NEXT) | instid1(SALU_CYCLE_1)
	s_mul_hi_u32 s3, s2, s3
	s_mul_i32 s7, s3, s16
	s_wait_alu 0xfffe
	s_sub_co_i32 s2, s2, s7
	s_add_co_i32 s7, s3, 1
	s_sub_co_i32 s8, s2, s16
	s_cmp_ge_u32 s2, s16
	s_wait_alu 0xfffe
	s_cselect_b32 s3, s7, s3
	s_cselect_b32 s2, s8, s2
	s_add_co_i32 s7, s3, 1
	s_cmp_ge_u32 s2, s16
	s_wait_alu 0xfffe
	s_cselect_b32 s20, s7, s3
.LBB64_3:
	s_add_co_i32 s2, ttmp9, 1
	s_mov_b32 s8, 0
	s_ashr_i32 s3, s2, 31
	s_delay_alu instid0(SALU_CYCLE_1) | instskip(NEXT) | instid1(SALU_CYCLE_1)
	s_mul_u64 s[2:3], s[18:19], s[2:3]
	s_mov_b32 s9, s3
	s_delay_alu instid0(SALU_CYCLE_1)
	s_cmp_lg_u64 s[8:9], 0
	s_cbranch_scc0 .LBB64_22
; %bb.4:
	s_add_nc_u64 s[10:11], s[16:17], 0
	s_mov_b32 s23, s8
	s_xor_b64 s[10:11], s[10:11], 0
	s_mov_b32 s27, s8
	s_cvt_f32_u32 s7, s10
	s_cvt_f32_u32 s9, s11
	s_sub_nc_u64 s[14:15], 0, s[10:11]
	s_wait_alu 0xfffe
	s_delay_alu instid0(SALU_CYCLE_1) | instskip(SKIP_1) | instid1(SALU_CYCLE_2)
	s_fmamk_f32 s7, s9, 0x4f800000, s7
	s_wait_alu 0xfffe
	v_s_rcp_f32 s7, s7
	s_delay_alu instid0(TRANS32_DEP_1) | instskip(SKIP_1) | instid1(SALU_CYCLE_2)
	s_mul_f32 s7, s7, 0x5f7ffffc
	s_wait_alu 0xfffe
	s_mul_f32 s9, s7, 0x2f800000
	s_delay_alu instid0(SALU_CYCLE_3) | instskip(NEXT) | instid1(SALU_CYCLE_3)
	s_trunc_f32 s9, s9
	s_fmamk_f32 s7, s9, 0xcf800000, s7
	s_cvt_u32_f32 s13, s9
	s_wait_alu 0xfffe
	s_delay_alu instid0(SALU_CYCLE_1) | instskip(NEXT) | instid1(SALU_CYCLE_3)
	s_cvt_u32_f32 s12, s7
	s_mul_u64 s[24:25], s[14:15], s[12:13]
	s_delay_alu instid0(SALU_CYCLE_1)
	s_mul_hi_u32 s29, s12, s25
	s_mul_i32 s28, s12, s25
	s_mul_hi_u32 s22, s12, s24
	s_mul_i32 s9, s13, s24
	s_add_nc_u64 s[22:23], s[22:23], s[28:29]
	s_mul_hi_u32 s7, s13, s24
	s_mul_hi_u32 s21, s13, s25
	s_add_co_u32 s9, s22, s9
	s_wait_alu 0xfffe
	s_add_co_ci_u32 s26, s23, s7
	s_mul_i32 s24, s13, s25
	s_add_co_ci_u32 s25, s21, 0
	s_delay_alu instid0(SALU_CYCLE_1)
	s_add_nc_u64 s[22:23], s[26:27], s[24:25]
	s_mov_b32 s25, s8
	s_add_co_u32 s12, s12, s22
	s_cselect_b32 s7, -1, 0
	s_wait_alu 0xfffe
	s_cmp_lg_u32 s7, 0
	s_add_co_ci_u32 s13, s13, s23
	s_mov_b32 s23, s8
	s_mul_u64 s[14:15], s[14:15], s[12:13]
	s_delay_alu instid0(SALU_CYCLE_1)
	s_mul_hi_u32 s27, s12, s15
	s_mul_i32 s26, s12, s15
	s_mul_hi_u32 s22, s12, s14
	s_mul_i32 s9, s13, s14
	s_add_nc_u64 s[22:23], s[22:23], s[26:27]
	s_mul_hi_u32 s7, s13, s14
	s_mul_hi_u32 s21, s13, s15
	s_add_co_u32 s9, s22, s9
	s_wait_alu 0xfffe
	s_add_co_ci_u32 s24, s23, s7
	s_mul_i32 s14, s13, s15
	s_add_co_ci_u32 s15, s21, 0
	s_mov_b32 s23, s8
	s_add_nc_u64 s[14:15], s[24:25], s[14:15]
	s_delay_alu instid0(SALU_CYCLE_1) | instskip(SKIP_1) | instid1(SALU_CYCLE_1)
	s_add_co_u32 s7, s12, s14
	s_cselect_b32 s9, -1, 0
	s_cmp_lg_u32 s9, 0
	s_add_co_ci_u32 s9, s13, s15
	s_ashr_i32 s12, s3, 31
	s_delay_alu instid0(SALU_CYCLE_1) | instskip(NEXT) | instid1(SALU_CYCLE_1)
	s_mov_b32 s13, s12
	s_add_nc_u64 s[14:15], s[2:3], s[12:13]
	s_delay_alu instid0(SALU_CYCLE_1) | instskip(NEXT) | instid1(SALU_CYCLE_1)
	s_xor_b64 s[14:15], s[14:15], s[12:13]
	s_mul_hi_u32 s27, s14, s9
	s_mul_i32 s26, s14, s9
	s_wait_alu 0xfffe
	s_mul_hi_u32 s22, s14, s7
	s_mul_hi_u32 s21, s15, s7
	s_mul_i32 s7, s15, s7
	s_add_nc_u64 s[22:23], s[22:23], s[26:27]
	s_mul_hi_u32 s3, s15, s9
	s_wait_alu 0xfffe
	s_add_co_u32 s7, s22, s7
	s_add_co_ci_u32 s24, s23, s21
	s_mul_i32 s26, s15, s9
	s_add_co_ci_u32 s27, s3, 0
	s_delay_alu instid0(SALU_CYCLE_1) | instskip(NEXT) | instid1(SALU_CYCLE_1)
	s_add_nc_u64 s[22:23], s[24:25], s[26:27]
	s_mul_u64 s[24:25], s[10:11], s[22:23]
	s_add_nc_u64 s[26:27], s[22:23], 1
	s_sub_co_u32 s3, s14, s24
	s_cselect_b32 s7, -1, 0
	s_sub_co_i32 s9, s15, s25
	s_wait_alu 0xfffe
	s_cmp_lg_u32 s7, 0
	s_add_nc_u64 s[28:29], s[22:23], 2
	s_sub_co_ci_u32 s9, s9, s11
	s_sub_co_u32 s14, s3, s10
	s_cselect_b32 s21, -1, 0
	s_delay_alu instid0(SALU_CYCLE_1) | instskip(SKIP_1) | instid1(SALU_CYCLE_1)
	s_cmp_lg_u32 s21, 0
	s_sub_co_ci_u32 s9, s9, 0
	s_cmp_ge_u32 s9, s11
	s_cselect_b32 s21, -1, 0
	s_cmp_ge_u32 s14, s10
	s_cselect_b32 s14, -1, 0
	s_cmp_eq_u32 s9, s11
	s_cselect_b32 s9, s14, s21
	s_delay_alu instid0(SALU_CYCLE_1)
	s_cmp_lg_u32 s9, 0
	s_cselect_b32 s9, s28, s26
	s_cselect_b32 s14, s29, s27
	s_cmp_lg_u32 s7, 0
	s_sub_co_ci_u32 s7, s15, s25
	s_wait_alu 0xfffe
	s_cmp_ge_u32 s7, s11
	s_cselect_b32 s15, -1, 0
	s_cmp_ge_u32 s3, s10
	s_cselect_b32 s3, -1, 0
	s_cmp_eq_u32 s7, s11
	s_cselect_b32 s3, s3, s15
	s_delay_alu instid0(SALU_CYCLE_1) | instskip(SKIP_3) | instid1(SALU_CYCLE_1)
	s_cmp_lg_u32 s3, 0
	s_cselect_b32 s11, s14, s23
	s_cselect_b32 s10, s9, s22
	s_xor_b64 s[12:13], s[12:13], 0
	s_xor_b64 s[10:11], s[10:11], s[12:13]
	s_delay_alu instid0(SALU_CYCLE_1)
	s_sub_nc_u64 s[10:11], s[10:11], s[12:13]
	s_load_b96 s[12:14], s[0:1], 0x44
	s_and_not1_b32 vcc_lo, exec_lo, s8
	s_cbranch_vccnz .LBB64_6
.LBB64_5:
	v_cvt_f32_u32_e32 v1, s16
	s_sub_co_i32 s7, 0, s16
	s_delay_alu instid0(VALU_DEP_1) | instskip(NEXT) | instid1(TRANS32_DEP_1)
	v_rcp_iflag_f32_e32 v1, v1
	v_mul_f32_e32 v1, 0x4f7ffffe, v1
	s_delay_alu instid0(VALU_DEP_1) | instskip(NEXT) | instid1(VALU_DEP_1)
	v_cvt_u32_f32_e32 v1, v1
	v_readfirstlane_b32 s3, v1
	s_wait_alu 0xfffe
	s_mul_i32 s7, s7, s3
	s_wait_alu 0xfffe
	s_mul_hi_u32 s7, s3, s7
	s_wait_alu 0xfffe
	s_add_co_i32 s3, s3, s7
	s_delay_alu instid0(SALU_CYCLE_1) | instskip(NEXT) | instid1(SALU_CYCLE_1)
	s_mul_hi_u32 s3, s2, s3
	s_mul_i32 s7, s3, s16
	s_wait_alu 0xfffe
	s_sub_co_i32 s2, s2, s7
	s_add_co_i32 s7, s3, 1
	s_sub_co_i32 s8, s2, s16
	s_cmp_ge_u32 s2, s16
	s_wait_alu 0xfffe
	s_cselect_b32 s3, s7, s3
	s_cselect_b32 s2, s8, s2
	s_add_co_i32 s7, s3, 1
	s_cmp_ge_u32 s2, s16
	s_wait_alu 0xfffe
	s_cselect_b32 s10, s7, s3
.LBB64_6:
	s_mov_b32 s21, 0
	s_wait_kmcnt 0x0
	s_mov_b32 s22, s12
	s_mov_b32 s23, s21
	s_cmp_eq_u32 s20, s10
	s_mul_u64 s[2:3], s[20:21], s[22:23]
	s_cselect_b32 s7, -1, 0
	s_add_co_i32 s2, s3, s20
	s_mov_b32 s11, s21
	s_lshr_b32 s12, s2, s13
	s_mul_u64 s[2:3], s[10:11], s[22:23]
	s_mul_i32 s2, s12, s14
	s_delay_alu instid0(SALU_CYCLE_1) | instskip(SKIP_2) | instid1(SALU_CYCLE_1)
	s_cmp_eq_u32 s2, s20
	s_cselect_b32 s2, -1, 0
	s_add_co_i32 s3, s3, s10
	s_lshr_b32 s3, s3, s13
	s_delay_alu instid0(SALU_CYCLE_1)
	s_cmp_eq_u32 s12, s3
	s_mul_i32 s3, s3, s14
	s_cselect_b32 s8, -1, 0
	s_cmp_lg_u32 s3, s10
	s_cselect_b32 s3, -1, 0
	s_wait_alu 0xfffe
	s_or_b32 s2, s7, s2
	s_and_b32 s3, s8, s3
	s_delay_alu instid0(SALU_CYCLE_1) | instskip(NEXT) | instid1(SALU_CYCLE_1)
	s_or_b32 s2, s2, s3
	s_and_b32 vcc_lo, exec_lo, s2
	s_cbranch_vccnz .LBB64_24
; %bb.7:
	s_load_b256 s[24:31], s[0:1], 0x20
	s_mov_b32 s3, s21
	s_and_b32 s15, ttmp7, 0xffff
	s_wait_kmcnt 0x0
	s_mov_b32 s2, s24
	s_delay_alu instid0(SALU_CYCLE_1) | instskip(NEXT) | instid1(SALU_CYCLE_1)
	s_mul_u64 s[2:3], s[20:21], s[2:3]
	s_add_co_i32 s2, s3, s20
	s_delay_alu instid0(SALU_CYCLE_1) | instskip(SKIP_4) | instid1(SALU_CYCLE_1)
	s_lshr_b32 s3, s2, s25
	s_load_b32 s2, s[0:1], 0x40
	s_mul_i32 s7, s3, s26
	s_wait_alu 0xfffe
	s_sub_co_i32 s8, s20, s7
	s_mul_hi_u32 s7, s8, s27
	s_wait_alu 0xfffe
	s_add_co_i32 s7, s8, s7
	s_wait_alu 0xfffe
	s_lshr_b32 s7, s7, s28
	s_wait_alu 0xfffe
	s_mul_i32 s9, s7, s29
	s_delay_alu instid0(SALU_CYCLE_1) | instskip(NEXT) | instid1(SALU_CYCLE_1)
	s_sub_co_i32 s8, s8, s9
	s_mul_hi_u32 s9, s8, s30
	s_delay_alu instid0(SALU_CYCLE_1) | instskip(NEXT) | instid1(SALU_CYCLE_1)
	s_add_co_i32 s9, s8, s9
	s_lshr_b32 s24, s9, s31
	s_mov_b32 s9, s21
	s_wait_kmcnt 0x0
	s_mul_i32 s2, s24, s2
	s_delay_alu instid0(SALU_CYCLE_1) | instskip(NEXT) | instid1(SALU_CYCLE_1)
	s_sub_co_i32 s8, s8, s2
	s_mul_u64 s[10:11], s[8:9], s[22:23]
	s_delay_alu instid0(SALU_CYCLE_1) | instskip(NEXT) | instid1(SALU_CYCLE_1)
	s_add_co_i32 s2, s8, s11
	s_lshr_b32 s21, s2, s13
	s_delay_alu instid0(SALU_CYCLE_1) | instskip(NEXT) | instid1(SALU_CYCLE_1)
	s_lshl_b32 s2, s21, 3
	s_add_co_i32 s8, s2, s15
	s_lshr_b32 s2, ttmp7, 16
	s_cmp_lt_i32 s8, s4
	s_cselect_b32 s8, -1, 0
	s_add_co_i32 s9, s24, s2
	s_delay_alu instid0(SALU_CYCLE_1) | instskip(SKIP_1) | instid1(SALU_CYCLE_1)
	s_cmp_lt_i32 s9, s6
	s_cselect_b32 s9, -1, 0
	s_and_b32 s8, s8, s9
	s_delay_alu instid0(SALU_CYCLE_1)
	s_and_not1_b32 vcc_lo, exec_lo, s8
	s_cbranch_vccnz .LBB64_24
; %bb.8:
	s_mul_i32 s3, s3, s4
	s_mul_i32 s7, s7, s6
	s_add_co_i32 s3, s3, s15
	s_load_b128 s[8:11], s[0:1], 0x0
	s_mul_i32 s3, s3, s5
	s_mul_i32 s1, s5, s21
	s_add_co_i32 s3, s3, s2
	s_lshl_b32 s1, s1, 9
	s_add_co_i32 s0, s3, s7
	s_add_co_i32 s15, s15, s2
	s_add_co_i32 s0, s0, s24
	v_cvt_f32_u32_e32 v4, s16
	s_lshl_b32 s0, s0, 6
	s_add_co_i32 s34, ttmp9, -1
	s_add_co_i32 s1, s1, s0
	s_delay_alu instid0(VALU_DEP_1)
	v_rcp_iflag_f32_e32 v4, v4
	v_or_b32_e32 v1, s1, v0
	s_add_nc_u64 s[0:1], s[16:17], 0
	v_lshl_or_b32 v0, s15, 6, v0
	s_wait_alu 0xfffe
	s_xor_b64 s[6:7], s[0:1], 0
	s_lshl_b32 s0, ttmp9, 3
	v_ashrrev_i32_e32 v2, 31, v1
	s_wait_alu 0xfffe
	s_cvt_f32_u32 s1, s6
	s_cvt_f32_u32 s2, s7
	s_add_co_i32 s0, s0, s15
	s_sub_nc_u64 s[30:31], 0, s[6:7]
	v_lshlrev_b64_e32 v[1:2], 2, v[1:2]
	s_wait_alu 0xfffe
	s_fmamk_f32 s2, s2, 0x4f800000, s1
	s_ashr_i32 s1, s0, 31
	s_wait_alu 0xfffe
	s_lshl_b64 s[0:1], s[0:1], 3
	v_s_rcp_f32 s2, s2
	s_wait_kmcnt 0x0
	v_add_co_u32 v1, vcc_lo, s8, v1
	s_delay_alu instid0(VALU_DEP_1)
	v_add_co_ci_u32_e64 v2, null, s9, v2, vcc_lo
	s_wait_alu 0xfffe
	s_add_nc_u64 s[0:1], s[10:11], s[0:1]
	s_mov_b32 s8, 0
	s_load_b64 s[26:27], s[0:1], 0x0
	global_load_b32 v3, v[1:2], off
	s_mul_f32 s2, s2, 0x5f7ffffc
	v_mul_f32_e32 v4, 0x4f7ffffe, v4
	s_lshl_b32 s0, s16, 5
	s_wait_alu 0xfffe
	s_mul_f32 s1, s2, 0x2f800000
	s_wait_alu 0xfffe
	s_delay_alu instid0(SALU_CYCLE_2)
	s_trunc_f32 s3, s1
	s_mov_b32 s1, s8
	s_wait_alu 0xfffe
	s_lshl_b64 s[0:1], s[0:1], 2
	s_fmamk_f32 s2, s3, 0xcf800000, s2
	s_cvt_u32_f32 s29, s3
	s_wait_alu 0xfffe
	s_add_nc_u64 s[24:25], s[10:11], s[0:1]
	s_cvt_u32_f32 s28, s2
	s_wait_kmcnt 0x0
	v_mov_b32_e32 v5, s27
	v_cvt_u32_f32_e32 v4, v4
.LBB64_9:                               ; =>This Inner Loop Header: Depth=1
	s_wait_alu 0xfffe
	s_ashr_i32 s35, s34, 31
	s_mov_b32 s2, -1
	s_wait_alu 0xfffe
	s_mul_u64 s[0:1], s[34:35], s[18:19]
                                        ; implicit-def: $sgpr38_sgpr39
	s_wait_alu 0xfffe
	s_mov_b32 s9, s1
	s_wait_alu 0xfffe
	s_cmp_lg_u64 s[8:9], 0
	s_cbranch_scc0 .LBB64_11
; %bb.10:                               ;   in Loop: Header=BB64_9 Depth=1
	s_mul_u64 s[2:3], s[30:31], s[28:29]
	s_mov_b32 s37, s8
	s_wait_alu 0xfffe
	s_mul_hi_u32 s5, s28, s3
	s_mul_i32 s4, s28, s3
	s_mul_hi_u32 s36, s28, s2
	s_mul_hi_u32 s9, s29, s2
	s_wait_alu 0xfffe
	s_add_nc_u64 s[4:5], s[36:37], s[4:5]
	s_mul_i32 s2, s29, s2
	s_mul_hi_u32 s17, s29, s3
	s_wait_alu 0xfffe
	s_add_co_u32 s2, s4, s2
	s_add_co_ci_u32 s2, s5, s9
	s_add_co_ci_u32 s5, s17, 0
	s_mul_i32 s4, s29, s3
	s_mov_b32 s3, s8
	s_mov_b32 s39, s8
	s_wait_alu 0xfffe
	s_add_nc_u64 s[2:3], s[2:3], s[4:5]
	s_wait_alu 0xfffe
	s_add_co_u32 s2, s28, s2
	s_cselect_b32 s4, -1, 0
	s_wait_alu 0xfffe
	s_cmp_lg_u32 s4, 0
	s_add_co_ci_u32 s3, s29, s3
	s_wait_alu 0xfffe
	s_mul_u64 s[4:5], s[30:31], s[2:3]
	s_wait_alu 0xfffe
	s_mul_hi_u32 s37, s2, s5
	s_mul_i32 s36, s2, s5
	s_mul_hi_u32 s38, s2, s4
	s_mul_hi_u32 s9, s3, s4
	s_mul_i32 s4, s3, s4
	s_wait_alu 0xfffe
	s_add_nc_u64 s[36:37], s[38:39], s[36:37]
	s_mul_hi_u32 s17, s3, s5
	s_wait_alu 0xfffe
	s_add_co_u32 s4, s36, s4
	s_add_co_ci_u32 s4, s37, s9
	s_add_co_ci_u32 s37, s17, 0
	s_mul_i32 s36, s3, s5
	s_mov_b32 s5, s8
	s_wait_alu 0xfffe
	s_add_nc_u64 s[4:5], s[4:5], s[36:37]
	s_mov_b32 s37, s8
	s_wait_alu 0xfffe
	s_add_co_u32 s9, s2, s4
	s_cselect_b32 s2, -1, 0
	s_wait_alu 0xfffe
	s_cmp_lg_u32 s2, 0
	s_add_co_ci_u32 s17, s3, s5
	s_ashr_i32 s2, s1, 31
	s_wait_alu 0xfffe
	s_mov_b32 s3, s2
	s_wait_alu 0xfffe
	s_add_nc_u64 s[4:5], s[0:1], s[2:3]
	s_wait_alu 0xfffe
	s_xor_b64 s[4:5], s[4:5], s[2:3]
	s_wait_alu 0xfffe
	s_mul_hi_u32 s39, s4, s17
	s_mul_i32 s38, s4, s17
	s_mul_hi_u32 s36, s4, s9
	s_mul_i32 s21, s5, s9
	s_wait_alu 0xfffe
	s_add_nc_u64 s[36:37], s[36:37], s[38:39]
	s_mul_hi_u32 s9, s5, s9
	s_mul_hi_u32 s1, s5, s17
	s_wait_alu 0xfffe
	s_add_co_u32 s21, s36, s21
	s_add_co_ci_u32 s36, s37, s9
	s_add_co_ci_u32 s39, s1, 0
	s_mul_i32 s38, s5, s17
	s_mov_b32 s37, s8
	s_wait_alu 0xfffe
	s_add_nc_u64 s[36:37], s[36:37], s[38:39]
	s_wait_alu 0xfffe
	s_mul_u64 s[38:39], s[6:7], s[36:37]
	s_add_nc_u64 s[40:41], s[36:37], 1
	s_sub_co_u32 s1, s4, s38
	s_cselect_b32 s4, -1, 0
	s_sub_co_i32 s9, s5, s39
	s_wait_alu 0xfffe
	s_cmp_lg_u32 s4, 0
	s_add_nc_u64 s[42:43], s[36:37], 2
	s_sub_co_ci_u32 s9, s9, s7
	s_sub_co_u32 s17, s1, s6
	s_cselect_b32 s21, -1, 0
	s_delay_alu instid0(SALU_CYCLE_1)
	s_cmp_lg_u32 s21, 0
	s_wait_alu 0xfffe
	s_sub_co_ci_u32 s9, s9, 0
	s_wait_alu 0xfffe
	s_cmp_ge_u32 s9, s7
	s_cselect_b32 s21, -1, 0
	s_cmp_ge_u32 s17, s6
	s_cselect_b32 s17, -1, 0
	s_cmp_eq_u32 s9, s7
	s_wait_alu 0xfffe
	s_cselect_b32 s9, s17, s21
	s_wait_alu 0xfffe
	s_cmp_lg_u32 s9, 0
	s_cselect_b32 s9, s42, s40
	s_cselect_b32 s17, s43, s41
	s_cmp_lg_u32 s4, 0
	s_sub_co_ci_u32 s4, s5, s39
	s_wait_alu 0xfffe
	s_cmp_ge_u32 s4, s7
	s_cselect_b32 s5, -1, 0
	s_cmp_ge_u32 s1, s6
	s_cselect_b32 s1, -1, 0
	s_cmp_eq_u32 s4, s7
	s_wait_alu 0xfffe
	s_cselect_b32 s1, s1, s5
	s_wait_alu 0xfffe
	s_cmp_lg_u32 s1, 0
	s_cselect_b32 s5, s17, s37
	s_cselect_b32 s4, s9, s36
	s_xor_b64 s[2:3], s[2:3], 0
	s_wait_alu 0xfffe
	s_xor_b64 s[4:5], s[4:5], s[2:3]
	s_wait_alu 0xfffe
	s_sub_nc_u64 s[38:39], s[4:5], s[2:3]
	s_mov_b32 s2, 0
.LBB64_11:                              ;   in Loop: Header=BB64_9 Depth=1
	s_wait_alu 0xfffe
	s_and_not1_b32 vcc_lo, exec_lo, s2
	s_wait_alu 0xfffe
	s_cbranch_vccnz .LBB64_13
; %bb.12:                               ;   in Loop: Header=BB64_9 Depth=1
	v_readfirstlane_b32 s1, v4
	s_sub_co_i32 s2, 0, s16
	s_wait_alu 0xfffe
	s_mul_i32 s2, s2, s1
	s_wait_alu 0xfffe
	s_mul_hi_u32 s2, s1, s2
	s_wait_alu 0xfffe
	s_add_co_i32 s1, s1, s2
	s_wait_alu 0xfffe
	s_mul_hi_u32 s1, s0, s1
	s_wait_alu 0xfffe
	s_mul_i32 s2, s1, s16
	s_wait_alu 0xfffe
	s_sub_co_i32 s0, s0, s2
	s_add_co_i32 s2, s1, 1
	s_wait_alu 0xfffe
	s_sub_co_i32 s3, s0, s16
	s_cmp_ge_u32 s0, s16
	s_cselect_b32 s1, s2, s1
	s_wait_alu 0xfffe
	s_cselect_b32 s0, s3, s0
	s_add_co_i32 s2, s1, 1
	s_wait_alu 0xfffe
	s_cmp_ge_u32 s0, s16
	s_cselect_b32 s38, s2, s1
.LBB64_13:                              ;   in Loop: Header=BB64_9 Depth=1
	v_readfirstlane_b32 s9, v0
	s_cmp_lg_u32 s20, s38
	s_mov_b32 s0, -1
                                        ; implicit-def: $sgpr21
                                        ; implicit-def: $vgpr6
                                        ; implicit-def: $vgpr7
                                        ; implicit-def: $sgpr17
                                        ; implicit-def: $sgpr27
	s_cbranch_scc1 .LBB64_16
; %bb.14:                               ;   in Loop: Header=BB64_9 Depth=1
	s_wait_alu 0xfffe
	s_and_not1_b32 vcc_lo, exec_lo, s0
	s_wait_alu 0xfffe
	s_cbranch_vccz .LBB64_19
.LBB64_15:                              ;   in Loop: Header=BB64_9 Depth=1
	s_and_not1_b32 vcc_lo, exec_lo, s21
	s_wait_alu 0xfffe
	s_cbranch_vccnz .LBB64_20
	s_branch .LBB64_23
.LBB64_16:                              ;   in Loop: Header=BB64_9 Depth=1
	s_add_co_i32 s0, s34, s16
	s_mov_b32 s1, s8
	s_wait_alu 0xfffe
	s_lshl_b32 s0, s0, 3
	v_max_num_f32_e64 v6, s26, s26
	s_wait_alu 0xfffe
	s_add_co_i32 s0, s0, s15
	s_mov_b32 s39, s8
	s_wait_alu 0xfffe
	s_lshl_b64 s[0:1], s[0:1], 3
	s_mul_u64 s[40:41], s[38:39], s[22:23]
	s_wait_alu 0xfffe
	s_add_nc_u64 s[0:1], s[10:11], s[0:1]
	s_mov_b32 s27, s20
	s_load_b64 s[36:37], s[0:1], 0x0
	v_readfirstlane_b32 s0, v6
	s_wait_kmcnt 0x0
	v_max_num_f32_e64 v7, s36, s36
	s_delay_alu instid0(VALU_DEP_1) | instskip(SKIP_2) | instid1(SALU_CYCLE_2)
	v_readfirstlane_b32 s1, v7
	s_max_num_f32 s9, s0, s1
	s_wait_alu 0xfffe
	s_sub_f32 s33, s26, s9
	s_sub_f32 s35, s36, s9
	s_wait_alu 0xfffe
	s_delay_alu instid0(SALU_CYCLE_1)
	s_cmp_nlt_f32 s33, 0xc2ce8ed0
	s_cselect_b32 s0, -1, 0
	s_cmp_ngt_f32 s33, 0x42b17218
	s_cselect_b32 s1, -1, 0
	s_cmp_ge_f32 s33, 0xc1a00000
	s_cselect_b32 s2, -1, 0
	s_cmp_nlt_f32 s35, 0xc2ce8ed0
	s_cselect_b32 s3, -1, 0
	s_cmp_ngt_f32 s35, 0x42b17218
	s_cselect_b32 s4, -1, 0
	s_cmp_ge_f32 s35, 0xc1a00000
	s_cselect_b32 s5, -1, 0
	s_add_co_i32 s17, s41, s38
	s_wait_alu 0xfffe
	s_lshr_b32 s17, s17, s13
	s_wait_alu 0xfffe
	s_mul_i32 s21, s17, s14
	s_delay_alu instid0(SALU_CYCLE_1)
	s_cmp_eq_u32 s21, s38
	s_cselect_b32 s21, -1, 0
	s_cmp_lt_u32 s17, s12
	s_cselect_b32 s17, -1, 0
	s_wait_alu 0xfffe
	s_or_b32 s17, s17, s21
	s_mov_b32 s21, -1
	s_wait_alu 0xfffe
	s_and_b32 vcc_lo, exec_lo, s17
	s_mov_b32 s17, s34
	s_wait_alu 0xfffe
	s_cbranch_vccnz .LBB64_18
; %bb.17:                               ;   in Loop: Header=BB64_9 Depth=1
	s_add_co_i32 s17, s34, -1
	s_mov_b32 s21, 0
	s_mov_b32 s27, s38
.LBB64_18:                              ;   in Loop: Header=BB64_9 Depth=1
	v_lshl_add_u32 v6, s34, 9, v0
	s_mul_f32 s36, s35, 0x3fb8aa3b
	s_mul_f32 s38, s33, 0x3fb8aa3b
	s_wait_alu 0xfffe
	s_delay_alu instid0(SALU_CYCLE_1)
	s_xor_b32 s39, s36, 0x80000000
	v_ashrrev_i32_e32 v7, 31, v6
	s_rndne_f32 s40, s36
	s_fmamk_f32 s39, s35, 0x3fb8aa3b, s39
	s_xor_b32 s41, s38, 0x80000000
	s_rndne_f32 s42, s38
	v_lshlrev_b64_e32 v[6:7], 2, v[6:7]
	s_sub_f32 s36, s36, s40
	s_fmamk_f32 s35, s35, 0x32a5705f, s39
	s_fmamk_f32 s39, s33, 0x3fb8aa3b, s41
	s_sub_f32 s38, s38, s42
	s_delay_alu instid0(VALU_DEP_1)
	v_add_co_u32 v6, vcc_lo, s24, v6
	s_wait_alu 0xfffd
	v_add_co_ci_u32_e64 v7, null, s25, v7, vcc_lo
	s_wait_alu 0xfffe
	s_add_f32 s35, s36, s35
	s_fmamk_f32 s33, s33, 0x32a5705f, s39
	s_cvt_i32_f32 s36, s40
	global_load_b32 v6, v[6:7], off
	s_wait_alu 0xfffe
	v_s_exp_f32 s35, s35
	s_add_f32 s33, s38, s33
	s_wait_alu 0xfffe
	s_delay_alu instid0(SALU_CYCLE_2) | instskip(NEXT) | instid1(TRANS32_DEP_2)
	v_s_exp_f32 s33, s33
	v_ldexp_f32 v7, s35, s36
	s_cvt_i32_f32 s35, s42
	s_wait_alu 0xf1fe
	s_delay_alu instid0(TRANS32_DEP_1) | instid1(SALU_CYCLE_2)
	v_ldexp_f32 v8, s33, s35
	s_delay_alu instid0(VALU_DEP_2) | instskip(NEXT) | instid1(VALU_DEP_2)
	v_cndmask_b32_e64 v7, 0, v7, s3
	v_cndmask_b32_e64 v8, 0, v8, s0
	s_delay_alu instid0(VALU_DEP_2) | instskip(NEXT) | instid1(VALU_DEP_2)
	v_cndmask_b32_e64 v7, 0x7f800000, v7, s4
	v_cndmask_b32_e64 v8, 0x7f800000, v8, s1
	;; [unrolled: 3-line block ×3, first 2 shown]
	s_wait_loadcnt 0x0
	s_delay_alu instid0(VALU_DEP_2) | instskip(SKIP_1) | instid1(VALU_DEP_1)
	v_mul_f32_e32 v6, v6, v7
	v_mul_f32_e32 v7, s37, v7
	v_fmac_f32_e32 v7, v5, v8
	s_delay_alu instid0(VALU_DEP_3)
	v_fmac_f32_e32 v6, v3, v8
	s_cbranch_execnz .LBB64_15
.LBB64_19:                              ;   in Loop: Header=BB64_9 Depth=1
	s_wait_loadcnt 0x0
	v_dual_mov_b32 v7, v5 :: v_dual_mov_b32 v6, v3
	s_add_co_i32 s17, s34, -1
	s_mov_b32 s27, s20
	s_mov_b32 s9, s26
	s_cbranch_execz .LBB64_23
.LBB64_20:                              ;   in Loop: Header=BB64_9 Depth=1
	v_mov_b32_e32 v5, v7
	s_wait_loadcnt 0x0
	v_mov_b32_e32 v3, v6
	s_wait_alu 0xfffe
	s_mov_b32 s20, s27
	s_mov_b32 s34, s17
	;; [unrolled: 1-line block ×3, first 2 shown]
	s_branch .LBB64_9
.LBB64_21:
                                        ; implicit-def: $sgpr20_sgpr21
	s_branch .LBB64_2
.LBB64_22:
                                        ; implicit-def: $sgpr10_sgpr11
	s_load_b96 s[12:14], s[0:1], 0x44
	s_branch .LBB64_5
.LBB64_23:
	v_div_scale_f32 v0, null, v7, v7, v6
	s_wait_loadcnt 0x0
	s_delay_alu instid0(VALU_DEP_1) | instskip(NEXT) | instid1(TRANS32_DEP_1)
	v_rcp_f32_e32 v3, v0
	v_fma_f32 v4, -v0, v3, 1.0
	s_delay_alu instid0(VALU_DEP_1) | instskip(SKIP_1) | instid1(VALU_DEP_1)
	v_fmac_f32_e32 v3, v4, v3
	v_div_scale_f32 v4, vcc_lo, v6, v7, v6
	v_mul_f32_e32 v5, v4, v3
	s_delay_alu instid0(VALU_DEP_1) | instskip(NEXT) | instid1(VALU_DEP_1)
	v_fma_f32 v8, -v0, v5, v4
	v_fmac_f32_e32 v5, v8, v3
	s_delay_alu instid0(VALU_DEP_1) | instskip(SKIP_1) | instid1(VALU_DEP_1)
	v_fma_f32 v0, -v0, v5, v4
	s_wait_alu 0xfffd
	v_div_fmas_f32 v0, v0, v3, v5
	s_delay_alu instid0(VALU_DEP_1)
	v_div_fixup_f32 v0, v0, v7, v6
	global_store_b32 v[1:2], v0, off
.LBB64_24:
	s_endpgm
	.section	.rodata,"a",@progbits
	.p2align	6, 0x0
	.amdhsa_kernel _ZL33flash_attn_stream_k_fixup_generalILi64ELi8ELi1EEvPfPK15HIP_vector_typeIfLj2EEiiiiS1_IjLj3EES5_S5_S5_
		.amdhsa_group_segment_fixed_size 0
		.amdhsa_private_segment_fixed_size 0
		.amdhsa_kernarg_size 336
		.amdhsa_user_sgpr_count 2
		.amdhsa_user_sgpr_dispatch_ptr 0
		.amdhsa_user_sgpr_queue_ptr 0
		.amdhsa_user_sgpr_kernarg_segment_ptr 1
		.amdhsa_user_sgpr_dispatch_id 0
		.amdhsa_user_sgpr_private_segment_size 0
		.amdhsa_wavefront_size32 1
		.amdhsa_uses_dynamic_stack 0
		.amdhsa_enable_private_segment 0
		.amdhsa_system_sgpr_workgroup_id_x 1
		.amdhsa_system_sgpr_workgroup_id_y 1
		.amdhsa_system_sgpr_workgroup_id_z 1
		.amdhsa_system_sgpr_workgroup_info 0
		.amdhsa_system_vgpr_workitem_id 0
		.amdhsa_next_free_vgpr 9
		.amdhsa_next_free_sgpr 44
		.amdhsa_reserve_vcc 1
		.amdhsa_float_round_mode_32 0
		.amdhsa_float_round_mode_16_64 0
		.amdhsa_float_denorm_mode_32 3
		.amdhsa_float_denorm_mode_16_64 3
		.amdhsa_fp16_overflow 0
		.amdhsa_workgroup_processor_mode 1
		.amdhsa_memory_ordered 1
		.amdhsa_forward_progress 1
		.amdhsa_inst_pref_size 28
		.amdhsa_round_robin_scheduling 0
		.amdhsa_exception_fp_ieee_invalid_op 0
		.amdhsa_exception_fp_denorm_src 0
		.amdhsa_exception_fp_ieee_div_zero 0
		.amdhsa_exception_fp_ieee_overflow 0
		.amdhsa_exception_fp_ieee_underflow 0
		.amdhsa_exception_fp_ieee_inexact 0
		.amdhsa_exception_int_div_zero 0
	.end_amdhsa_kernel
	.section	.text._ZL33flash_attn_stream_k_fixup_generalILi64ELi8ELi1EEvPfPK15HIP_vector_typeIfLj2EEiiiiS1_IjLj3EES5_S5_S5_,"axG",@progbits,_ZL33flash_attn_stream_k_fixup_generalILi64ELi8ELi1EEvPfPK15HIP_vector_typeIfLj2EEiiiiS1_IjLj3EES5_S5_S5_,comdat
.Lfunc_end64:
	.size	_ZL33flash_attn_stream_k_fixup_generalILi64ELi8ELi1EEvPfPK15HIP_vector_typeIfLj2EEiiiiS1_IjLj3EES5_S5_S5_, .Lfunc_end64-_ZL33flash_attn_stream_k_fixup_generalILi64ELi8ELi1EEvPfPK15HIP_vector_typeIfLj2EEiiiiS1_IjLj3EES5_S5_S5_
                                        ; -- End function
	.set _ZL33flash_attn_stream_k_fixup_generalILi64ELi8ELi1EEvPfPK15HIP_vector_typeIfLj2EEiiiiS1_IjLj3EES5_S5_S5_.num_vgpr, 9
	.set _ZL33flash_attn_stream_k_fixup_generalILi64ELi8ELi1EEvPfPK15HIP_vector_typeIfLj2EEiiiiS1_IjLj3EES5_S5_S5_.num_agpr, 0
	.set _ZL33flash_attn_stream_k_fixup_generalILi64ELi8ELi1EEvPfPK15HIP_vector_typeIfLj2EEiiiiS1_IjLj3EES5_S5_S5_.numbered_sgpr, 44
	.set _ZL33flash_attn_stream_k_fixup_generalILi64ELi8ELi1EEvPfPK15HIP_vector_typeIfLj2EEiiiiS1_IjLj3EES5_S5_S5_.num_named_barrier, 0
	.set _ZL33flash_attn_stream_k_fixup_generalILi64ELi8ELi1EEvPfPK15HIP_vector_typeIfLj2EEiiiiS1_IjLj3EES5_S5_S5_.private_seg_size, 0
	.set _ZL33flash_attn_stream_k_fixup_generalILi64ELi8ELi1EEvPfPK15HIP_vector_typeIfLj2EEiiiiS1_IjLj3EES5_S5_S5_.uses_vcc, 1
	.set _ZL33flash_attn_stream_k_fixup_generalILi64ELi8ELi1EEvPfPK15HIP_vector_typeIfLj2EEiiiiS1_IjLj3EES5_S5_S5_.uses_flat_scratch, 0
	.set _ZL33flash_attn_stream_k_fixup_generalILi64ELi8ELi1EEvPfPK15HIP_vector_typeIfLj2EEiiiiS1_IjLj3EES5_S5_S5_.has_dyn_sized_stack, 0
	.set _ZL33flash_attn_stream_k_fixup_generalILi64ELi8ELi1EEvPfPK15HIP_vector_typeIfLj2EEiiiiS1_IjLj3EES5_S5_S5_.has_recursion, 0
	.set _ZL33flash_attn_stream_k_fixup_generalILi64ELi8ELi1EEvPfPK15HIP_vector_typeIfLj2EEiiiiS1_IjLj3EES5_S5_S5_.has_indirect_call, 0
	.section	.AMDGPU.csdata,"",@progbits
; Kernel info:
; codeLenInByte = 3556
; TotalNumSgprs: 46
; NumVgprs: 9
; ScratchSize: 0
; MemoryBound: 0
; FloatMode: 240
; IeeeMode: 1
; LDSByteSize: 0 bytes/workgroup (compile time only)
; SGPRBlocks: 0
; VGPRBlocks: 1
; NumSGPRsForWavesPerEU: 46
; NumVGPRsForWavesPerEU: 9
; Occupancy: 16
; WaveLimiterHint : 0
; COMPUTE_PGM_RSRC2:SCRATCH_EN: 0
; COMPUTE_PGM_RSRC2:USER_SGPR: 2
; COMPUTE_PGM_RSRC2:TRAP_HANDLER: 0
; COMPUTE_PGM_RSRC2:TGID_X_EN: 1
; COMPUTE_PGM_RSRC2:TGID_Y_EN: 1
; COMPUTE_PGM_RSRC2:TGID_Z_EN: 1
; COMPUTE_PGM_RSRC2:TIDIG_COMP_CNT: 0
	.section	.text._ZL15flash_attn_tileILi64ELi64ELi4ELi1ELb0EEvPKcS1_S1_S1_S1_PKiPfP15HIP_vector_typeIfLj2EEffffjfiS5_IjLj3EEiiiiiiiiiiiliiliiiiil,"axG",@progbits,_ZL15flash_attn_tileILi64ELi64ELi4ELi1ELb0EEvPKcS1_S1_S1_S1_PKiPfP15HIP_vector_typeIfLj2EEffffjfiS5_IjLj3EEiiiiiiiiiiiliiliiiiil,comdat
	.globl	_ZL15flash_attn_tileILi64ELi64ELi4ELi1ELb0EEvPKcS1_S1_S1_S1_PKiPfP15HIP_vector_typeIfLj2EEffffjfiS5_IjLj3EEiiiiiiiiiiiliiliiiiil ; -- Begin function _ZL15flash_attn_tileILi64ELi64ELi4ELi1ELb0EEvPKcS1_S1_S1_S1_PKiPfP15HIP_vector_typeIfLj2EEffffjfiS5_IjLj3EEiiiiiiiiiiiliiliiiiil
	.p2align	8
	.type	_ZL15flash_attn_tileILi64ELi64ELi4ELi1ELb0EEvPKcS1_S1_S1_S1_PKiPfP15HIP_vector_typeIfLj2EEffffjfiS5_IjLj3EEiiiiiiiiiiiliiliiiiil,@function
_ZL15flash_attn_tileILi64ELi64ELi4ELi1ELb0EEvPKcS1_S1_S1_S1_PKiPfP15HIP_vector_typeIfLj2EEffffjfiS5_IjLj3EEiiiiiiiiiiiliiliiiiil: ; @_ZL15flash_attn_tileILi64ELi64ELi4ELi1ELb0EEvPKcS1_S1_S1_S1_PKiPfP15HIP_vector_typeIfLj2EEffffjfiS5_IjLj3EEiiiiiiiiiiiliiliiiiil
; %bb.0:
	s_clause 0x1
	s_load_b128 s[20:23], s[0:1], 0x5c
	s_load_b64 s[2:3], s[0:1], 0x80
	s_lshr_b32 s6, ttmp7, 16
	s_load_b64 s[38:39], s[0:1], 0xb8
	s_mov_b32 s37, 0
	s_mov_b64 s[34:35], 0
	s_wait_kmcnt 0x0
	s_cvt_f32_u32 s4, s23
	s_sub_co_i32 s5, 0, s23
	s_delay_alu instid0(SALU_CYCLE_2) | instskip(NEXT) | instid1(TRANS32_DEP_1)
	v_rcp_iflag_f32_e32 v1, s4
	v_readfirstlane_b32 s4, v1
	s_mul_f32 s4, s4, 0x4f7ffffe
	s_wait_alu 0xfffe
	s_delay_alu instid0(SALU_CYCLE_2) | instskip(SKIP_1) | instid1(SALU_CYCLE_2)
	s_cvt_u32_f32 s4, s4
	s_wait_alu 0xfffe
	s_mul_i32 s5, s5, s4
	s_wait_alu 0xfffe
	s_mul_hi_u32 s5, s4, s5
	s_wait_alu 0xfffe
	s_add_co_i32 s4, s4, s5
	s_wait_alu 0xfffe
	s_mul_hi_u32 s4, s6, s4
	s_wait_alu 0xfffe
	s_mul_i32 s5, s4, s23
	s_add_co_i32 s7, s4, 1
	s_wait_alu 0xfffe
	s_sub_co_i32 s5, s6, s5
	s_wait_alu 0xfffe
	s_sub_co_i32 s8, s5, s23
	s_cmp_ge_u32 s5, s23
	s_cselect_b32 s4, s7, s4
	s_cselect_b32 s5, s8, s5
	s_wait_alu 0xfffe
	s_add_co_i32 s7, s4, 1
	s_cmp_ge_u32 s5, s23
	s_cselect_b32 s30, s7, s4
	s_abs_i32 s4, s3
	s_abs_i32 s9, s23
	s_wait_alu 0xfffe
	s_cvt_f32_u32 s5, s4
	s_sub_co_i32 s7, 0, s4
	s_mul_i32 s8, s30, s23
	s_xor_b32 s3, s23, s3
	s_wait_alu 0xfffe
	v_rcp_iflag_f32_e32 v1, s5
	s_sub_co_i32 s28, s6, s8
	s_ashr_i32 s3, s3, 31
	s_delay_alu instid0(TRANS32_DEP_1) | instskip(SKIP_2) | instid1(SALU_CYCLE_2)
	v_readfirstlane_b32 s5, v1
	s_mul_f32 s5, s5, 0x4f7ffffe
	s_wait_alu 0xfffe
	s_cvt_u32_f32 s5, s5
	s_wait_alu 0xfffe
	s_delay_alu instid0(SALU_CYCLE_2) | instskip(NEXT) | instid1(SALU_CYCLE_1)
	s_mul_i32 s7, s7, s5
	s_mul_hi_u32 s7, s5, s7
	s_delay_alu instid0(SALU_CYCLE_1)
	s_add_co_i32 s5, s5, s7
	s_wait_alu 0xfffe
	s_mul_hi_u32 s5, s9, s5
	s_wait_alu 0xfffe
	s_mul_i32 s6, s5, s4
	s_add_co_i32 s7, s5, 1
	s_sub_co_i32 s6, s9, s6
	s_delay_alu instid0(SALU_CYCLE_1)
	s_sub_co_i32 s8, s6, s4
	s_cmp_ge_u32 s6, s4
	s_cselect_b32 s5, s7, s5
	s_cselect_b32 s6, s8, s6
	s_wait_alu 0xfffe
	s_add_co_i32 s7, s5, 1
	s_cmp_ge_u32 s6, s4
	s_cselect_b32 s4, s7, s5
	s_abs_i32 s36, s28
	s_wait_alu 0xfffe
	s_xor_b32 s4, s4, s3
	s_wait_alu 0xfffe
	s_sub_co_i32 s31, s4, s3
	s_delay_alu instid0(SALU_CYCLE_1) | instskip(NEXT) | instid1(SALU_CYCLE_1)
	s_abs_i32 s3, s31
	s_cvt_f32_u32 s4, s3
	s_sub_co_i32 s25, 0, s3
	s_wait_alu 0xfffe
	s_delay_alu instid0(SALU_CYCLE_1) | instskip(SKIP_1) | instid1(TRANS32_DEP_1)
	v_rcp_iflag_f32_e32 v1, s4
	s_load_b512 s[4:19], s[0:1], 0x0
	v_readfirstlane_b32 s24, v1
	s_mul_f32 s24, s24, 0x4f7ffffe
	s_delay_alu instid0(SALU_CYCLE_3) | instskip(NEXT) | instid1(SALU_CYCLE_3)
	s_cvt_u32_f32 s24, s24
	s_mul_i32 s25, s25, s24
	s_delay_alu instid0(SALU_CYCLE_1) | instskip(NEXT) | instid1(SALU_CYCLE_1)
	s_mul_hi_u32 s25, s24, s25
	s_add_co_i32 s40, s24, s25
	s_wait_kmcnt 0x0
	s_cmp_eq_u64 s[10:11], 0
	s_cbranch_scc1 .LBB65_2
; %bb.1:
	s_abs_i32 s26, s38
	s_delay_alu instid0(SALU_CYCLE_1) | instskip(NEXT) | instid1(SALU_CYCLE_3)
	s_cvt_f32_u32 s24, s26
	v_rcp_iflag_f32_e32 v1, s24
	s_delay_alu instid0(TRANS32_DEP_1) | instskip(SKIP_2) | instid1(SALU_CYCLE_2)
	v_readfirstlane_b32 s24, v1
	s_mul_f32 s24, s24, 0x4f7ffffe
	s_wait_alu 0xfffe
	s_cvt_u32_f32 s27, s24
	s_sub_co_i32 s24, 0, s26
	s_wait_alu 0xfffe
	s_delay_alu instid0(SALU_CYCLE_1) | instskip(SKIP_4) | instid1(SALU_CYCLE_1)
	s_mul_i32 s24, s24, s27
	s_wait_alu 0xfffe
	s_mul_hi_u32 s29, s27, s24
	s_load_b64 s[24:25], s[0:1], 0xc8
	s_add_co_i32 s27, s27, s29
	s_mul_hi_u32 s27, s30, s27
	s_delay_alu instid0(SALU_CYCLE_1) | instskip(NEXT) | instid1(SALU_CYCLE_1)
	s_mul_i32 s27, s27, s26
	s_sub_co_i32 s27, s30, s27
	s_delay_alu instid0(SALU_CYCLE_1) | instskip(SKIP_2) | instid1(SALU_CYCLE_1)
	s_sub_co_i32 s29, s27, s26
	s_cmp_ge_u32 s27, s26
	s_cselect_b32 s27, s29, s27
	s_sub_co_i32 s29, s27, s26
	s_cmp_ge_u32 s27, s26
	s_cselect_b32 s26, s29, s27
	s_delay_alu instid0(SALU_CYCLE_1)
	s_ashr_i32 s27, s26, 31
	s_wait_kmcnt 0x0
	s_mul_u64 s[24:25], s[24:25], s[26:27]
	s_wait_alu 0xfffe
	s_add_nc_u64 s[34:35], s[10:11], s[24:25]
.LBB65_2:
	s_clause 0x1
	s_load_b128 s[24:27], s[0:1], 0x40
	s_load_b32 s10, s[0:1], 0x50
	v_mov_b32_e32 v28, 1.0
	s_mov_b32 s41, s37
	s_wait_kmcnt 0x0
	s_cmp_le_f32 s25, 0
	s_cbranch_scc1 .LBB65_4
; %bb.3:
	v_sub_co_u32 v1, s10, s28, s10
	s_and_b32 s25, s10, exec_lo
	s_cselect_b32 s25, s26, s27
	s_add_co_i32 s26, s28, 1
	v_readfirstlane_b32 s11, v1
	s_lshl_b32 s11, s11, 1
	s_wait_alu 0xfffe
	s_or_b32 s11, s11, 1
	s_and_b32 s10, s10, exec_lo
	s_wait_alu 0xfffe
	s_cselect_b32 s10, s26, s11
	s_cmp_neq_f32 s25, 1.0
	s_wait_alu 0xfffe
	s_cvt_f32_i32 s10, s10
	s_wait_alu 0xfffe
	s_delay_alu instid0(SALU_CYCLE_2)
	s_cselect_b32 s11, s10, 1.0
	s_wait_alu 0xfffe
	s_cmp_neq_f32 s11, 0
	s_cselect_b32 s10, s25, 1.0
	s_wait_alu 0xfffe
	v_frexp_mant_f32_e64 v1, |s10|
	s_delay_alu instid0(VALU_DEP_1) | instskip(SKIP_3) | instid1(SALU_CYCLE_1)
	v_readfirstlane_b32 s25, v1
	v_cvt_f64_f32_e64 v[1:2], |s10|
	s_cmp_lt_f32 s25, 0x3f2aaaab
	s_cselect_b32 s26, -1, 0
	s_and_b32 s27, s26, exec_lo
	s_cselect_b32 s27, 2.0, 1.0
	s_delay_alu instid0(SALU_CYCLE_1) | instskip(SKIP_1) | instid1(SALU_CYCLE_2)
	s_mul_f32 s25, s25, s27
	s_wait_alu 0xfffe
	s_add_f32 s27, s25, 1.0
	s_add_f32 s33, s25, -1.0
	s_delay_alu instid0(SALU_CYCLE_2) | instskip(SKIP_1) | instid1(SALU_CYCLE_3)
	v_s_rcp_f32 s29, s27
	s_add_f32 s43, s27, -1.0
	s_sub_f32 s25, s25, s43
	s_delay_alu instid0(TRANS32_DEP_1) | instskip(NEXT) | instid1(SALU_CYCLE_3)
	s_mul_f32 s38, s33, s29
	s_mul_f32 s42, s27, s38
	s_delay_alu instid0(SALU_CYCLE_3) | instskip(NEXT) | instid1(VALU_DEP_1)
	s_xor_b32 s44, s42, 0x80000000
	v_frexp_exp_i32_f64_e32 v1, v[1:2]
	s_fmac_f32 s44, s38, s27
	s_wait_alu 0xfffe
	s_delay_alu instid0(SALU_CYCLE_2) | instskip(NEXT) | instid1(SALU_CYCLE_3)
	s_fmac_f32 s44, s38, s25
	s_add_f32 s25, s42, s44
	s_wait_alu 0xfffe
	s_delay_alu instid0(SALU_CYCLE_2) | instskip(SKIP_2) | instid1(SALU_CYCLE_1)
	s_sub_f32 s27, s33, s25
	s_sub_f32 s42, s25, s42
	s_wait_alu 0xfffe
	s_sub_f32 s33, s33, s27
	s_delay_alu instid0(SALU_CYCLE_1) | instskip(NEXT) | instid1(SALU_CYCLE_2)
	s_sub_f32 s42, s42, s44
	s_sub_f32 s25, s33, s25
	s_wait_alu 0xfffe
	s_delay_alu instid0(SALU_CYCLE_2) | instskip(SKIP_2) | instid1(SALU_CYCLE_1)
	s_add_f32 s25, s42, s25
	s_mov_b32 s42, 0x3e76c4e1
	s_wait_alu 0xfffe
	s_add_f32 s25, s27, s25
	s_wait_alu 0xfffe
	s_delay_alu instid0(SALU_CYCLE_2) | instskip(SKIP_1) | instid1(SALU_CYCLE_2)
	s_mul_f32 s25, s29, s25
	s_wait_alu 0xfffe
	s_add_f32 s27, s38, s25
	s_wait_alu 0xfffe
	s_delay_alu instid0(SALU_CYCLE_2) | instskip(SKIP_2) | instid1(SALU_CYCLE_1)
	s_sub_f32 s29, s27, s38
	s_mul_f32 s33, s27, s27
	s_wait_alu 0xfffe
	s_sub_f32 s25, s25, s29
	s_delay_alu instid0(SALU_CYCLE_1) | instskip(SKIP_4) | instid1(SALU_CYCLE_2)
	s_xor_b32 s29, s33, 0x80000000
	s_wait_alu 0xfffe
	s_fmac_f32 s29, s27, s27
	s_add_f32 s38, s25, s25
	s_wait_alu 0xfffe
	s_fmac_f32 s29, s27, s38
	s_wait_alu 0xfffe
	s_delay_alu instid0(SALU_CYCLE_2) | instskip(NEXT) | instid1(SALU_CYCLE_3)
	s_add_f32 s38, s33, s29
	s_fmaak_f32 s42, s38, s42, 0x3e91f4c4
	s_sub_f32 s33, s38, s33
	s_delay_alu instid0(SALU_CYCLE_2) | instskip(NEXT) | instid1(SALU_CYCLE_2)
	s_fmaak_f32 s42, s38, s42, 0x3ecccdef
	s_sub_f32 s29, s29, s33
	s_mul_f32 s33, s27, s38
	s_delay_alu instid0(SALU_CYCLE_1) | instskip(NEXT) | instid1(SALU_CYCLE_2)
	s_mul_f32 s43, s38, s42
	s_xor_b32 s45, s33, 0x80000000
	s_delay_alu instid0(SALU_CYCLE_2) | instskip(SKIP_2) | instid1(SALU_CYCLE_2)
	s_xor_b32 s44, s43, 0x80000000
	s_fmac_f32 s45, s38, s27
	s_fmac_f32 s44, s38, s42
	;; [unrolled: 1-line block ×3, first 2 shown]
	s_wait_alu 0xfffe
	s_delay_alu instid0(SALU_CYCLE_1) | instskip(NEXT) | instid1(SALU_CYCLE_1)
	s_fmac_f32 s44, s29, s42
	s_fmac_f32 s45, s29, s27
	s_delay_alu instid0(SALU_CYCLE_2) | instskip(NEXT) | instid1(SALU_CYCLE_3)
	s_add_f32 s42, s43, s44
	s_sub_f32 s43, s42, s43
	s_add_f32 s46, s42, 0x3f2aaaaa
	s_delay_alu instid0(SALU_CYCLE_2) | instskip(NEXT) | instid1(SALU_CYCLE_2)
	s_sub_f32 s43, s44, s43
	s_add_f32 s44, s46, 0xbf2aaaaa
	s_delay_alu instid0(SALU_CYCLE_2) | instskip(NEXT) | instid1(SALU_CYCLE_2)
	s_add_f32 s38, s43, 0x31739010
	s_sub_f32 s42, s42, s44
	s_delay_alu instid0(SALU_CYCLE_3) | instskip(SKIP_2) | instid1(SALU_CYCLE_1)
	s_add_f32 s29, s38, s42
	s_add_f32 s38, s33, s45
	s_wait_alu 0xfffe
	s_add_f32 s42, s46, s29
	s_delay_alu instid0(SALU_CYCLE_1) | instskip(NEXT) | instid1(SALU_CYCLE_2)
	s_sub_f32 s33, s38, s33
	s_mul_f32 s43, s38, s42
	s_sub_f32 s44, s46, s42
	s_delay_alu instid0(SALU_CYCLE_1) | instskip(NEXT) | instid1(SALU_CYCLE_1)
	s_sub_f32 s33, s45, s33
	s_xor_b32 s46, s43, 0x80000000
	s_delay_alu instid0(SALU_CYCLE_1)
	s_add_f32 s29, s29, s44
	s_fmac_f32 s46, s38, s42
	v_readfirstlane_b32 s44, v1
	v_ldexp_f32 v1, s27, 1
	s_cmp_lg_u32 s26, 0
	s_wait_alu 0xfffe
	s_fmac_f32 s46, s38, s29
	s_sub_co_ci_u32 s26, s44, 0
	v_readfirstlane_b32 s27, v1
	s_delay_alu instid0(SALU_CYCLE_1)
	s_fmac_f32 s46, s33, s42
	s_wait_alu 0xfffe
	s_cvt_f32_i32 s26, s26
	v_ldexp_f32 v1, s25, 1
	s_add_f32 s29, s43, s46
	s_wait_alu 0xfffe
	s_mul_f32 s25, s26, 0x3f317218
	s_delay_alu instid0(VALU_DEP_1)
	v_readfirstlane_b32 s42, v1
	s_add_f32 s33, s27, s29
	s_sub_f32 s38, s29, s43
	s_wait_alu 0xfffe
	s_xor_b32 s43, s25, 0x80000000
	s_sub_f32 s27, s33, s27
	s_sub_f32 s38, s46, s38
	s_fmamk_f32 s43, s26, 0x3f317218, s43
	s_wait_alu 0xfffe
	s_sub_f32 s27, s29, s27
	s_add_f32 s29, s42, s38
	s_fmamk_f32 s26, s26, 0xb102e308, s43
	s_wait_alu 0xfffe
	s_delay_alu instid0(SALU_CYCLE_1) | instskip(NEXT) | instid1(SALU_CYCLE_1)
	s_add_f32 s27, s29, s27
	s_add_f32 s29, s25, s26
	s_wait_alu 0xfffe
	s_delay_alu instid0(SALU_CYCLE_1) | instskip(NEXT) | instid1(SALU_CYCLE_1)
	s_add_f32 s38, s33, s27
	s_sub_f32 s25, s29, s25
	s_delay_alu instid0(SALU_CYCLE_2)
	s_add_f32 s42, s29, s38
	s_sub_f32 s33, s38, s33
	s_wait_alu 0xfffe
	s_sub_f32 s25, s26, s25
	s_sub_f32 s43, s42, s29
	;; [unrolled: 1-line block ×3, first 2 shown]
	s_delay_alu instid0(SALU_CYCLE_2)
	s_sub_f32 s44, s42, s43
	s_sub_f32 s27, s38, s43
	s_wait_alu 0xfffe
	s_add_f32 s33, s25, s26
	s_sub_f32 s29, s29, s44
	s_wait_alu 0xfffe
	s_delay_alu instid0(SALU_CYCLE_2) | instskip(SKIP_2) | instid1(SALU_CYCLE_1)
	s_add_f32 s27, s27, s29
	s_sub_f32 s29, s33, s25
	s_wait_alu 0xfffe
	s_add_f32 s27, s33, s27
	s_delay_alu instid0(SALU_CYCLE_1) | instskip(SKIP_4) | instid1(SALU_CYCLE_2)
	s_sub_f32 s33, s33, s29
	s_sub_f32 s26, s26, s29
	s_wait_alu 0xfffe
	s_add_f32 s38, s42, s27
	s_sub_f32 s25, s25, s33
	s_sub_f32 s29, s38, s42
	s_wait_alu 0xfffe
	s_delay_alu instid0(SALU_CYCLE_1) | instskip(NEXT) | instid1(SALU_CYCLE_1)
	s_add_f32 s25, s26, s25
	s_sub_f32 s26, s27, s29
	s_wait_alu 0xfffe
	s_delay_alu instid0(SALU_CYCLE_2) | instskip(SKIP_1) | instid1(SALU_CYCLE_2)
	s_add_f32 s25, s25, s26
	s_wait_alu 0xfffe
	s_add_f32 s26, s38, s25
	s_wait_alu 0xfffe
	s_delay_alu instid0(SALU_CYCLE_2) | instskip(SKIP_2) | instid1(SALU_CYCLE_1)
	s_mul_f32 s27, s11, s26
	s_sub_f32 s29, s26, s38
	s_wait_alu 0xfffe
	s_xor_b32 s33, s27, 0x80000000
	s_delay_alu instid0(SALU_CYCLE_1) | instskip(SKIP_2) | instid1(SALU_CYCLE_2)
	s_sub_f32 s25, s25, s29
	s_fmac_f32 s33, s11, s26
	s_wait_alu 0xfffe
	s_fmac_f32 s33, s11, s25
	v_cmp_class_f32_e64 s25, s27, 0x204
	s_delay_alu instid0(SALU_CYCLE_2) | instskip(SKIP_2) | instid1(SALU_CYCLE_1)
	s_add_f32 s26, s27, s33
	s_and_b32 s25, s25, exec_lo
	s_wait_alu 0xfffe
	s_sub_f32 s25, s26, s27
	s_cselect_b32 s26, s27, s26
	s_wait_alu 0xfffe
	s_and_b32 s27, s26, 0x7fffffff
	s_sub_f32 s25, s33, s25
	s_wait_alu 0xfffe
	s_cmp_neq_f32 s27, 0x7f800000
	s_delay_alu instid0(SALU_CYCLE_1)
	s_cselect_b32 s25, s25, 0
	s_cmp_eq_f32 s26, 0x42b17218
	s_cselect_b32 s27, 0x37000000, 0
	s_wait_alu 0xfffe
	s_sub_f32 s26, s26, s27
	s_add_f32 s25, s27, s25
	s_wait_alu 0xfffe
	s_delay_alu instid0(SALU_CYCLE_1) | instskip(SKIP_1) | instid1(SALU_CYCLE_2)
	s_mul_f32 s29, s26, 0x3fb8aa3b
	s_wait_alu 0xfffe
	s_xor_b32 s33, s29, 0x80000000
	s_rndne_f32 s38, s29
	s_fmamk_f32 s33, s26, 0x3fb8aa3b, s33
	s_cmp_nlt_f32 s26, 0xc2ce8ed0
	s_delay_alu instid0(SALU_CYCLE_1) | instskip(NEXT) | instid1(SALU_CYCLE_1)
	s_sub_f32 s29, s29, s38
	s_fmamk_f32 s33, s26, 0x32a5705f, s33
	s_cselect_b32 vcc_lo, -1, 0
	s_cmp_ngt_f32 s26, 0x42b17218
	s_trunc_f32 s26, s11
	s_wait_alu 0xfffe
	s_add_f32 s29, s29, s33
	s_cvt_i32_f32 s33, s38
	s_wait_alu 0xfffe
	s_delay_alu instid0(SALU_CYCLE_1) | instskip(SKIP_1) | instid1(TRANS32_DEP_1)
	v_s_exp_f32 s29, s29
	s_wait_alu 0xf1ff
	v_ldexp_f32 v1, s29, s33
	s_mul_f32 s29, s11, 0.5
	s_delay_alu instid0(VALU_DEP_1)
	v_cndmask_b32_e32 v1, 0, v1, vcc_lo
	s_cselect_b32 vcc_lo, -1, 0
	s_cmp_eq_f32 s26, s11
	s_wait_alu 0xfffe
	s_trunc_f32 s33, s29
	v_cndmask_b32_e32 v1, 0x7f800000, v1, vcc_lo
	s_cselect_b32 s38, -1, 0
	s_wait_alu 0xfffe
	s_cmp_neq_f32 s33, s29
	s_delay_alu instid0(VALU_DEP_1)
	v_fma_f32 v2, s25, v1, v1
	v_cmp_class_f32_e64 vcc_lo, v1, 0x204
	s_cselect_b32 s27, -1, 0
	s_wait_alu 0xfffe
	s_and_b32 s25, s38, s27
	s_wait_alu 0xfffd
	v_cndmask_b32_e32 v1, v2, v1, vcc_lo
	s_wait_alu 0xfffe
	s_and_b32 s27, s25, exec_lo
	s_cselect_b32 s27, s10, 1.0
	s_cmp_eq_f32 s26, s11
	v_cmp_class_f32_e64 s26, s10, 0x204
	s_wait_alu 0xfffe
	v_bfi_b32 v1, 0x7fffffff, v1, s27
	s_cselect_b32 vcc_lo, -1, 0
	s_cmp_lt_f32 s10, 0
	s_wait_alu 0xfffe
	s_delay_alu instid0(VALU_DEP_1) | instskip(SKIP_3) | instid1(VALU_DEP_1)
	v_cndmask_b32_e32 v2, 0x7fc00000, v1, vcc_lo
	s_cselect_b32 vcc_lo, -1, 0
	s_cmp_eq_f32 s10, 0
	s_wait_alu 0xfffe
	v_cndmask_b32_e32 v1, v1, v2, vcc_lo
	s_cselect_b32 s27, -1, 0
	s_wait_alu 0xfffe
	s_or_b32 vcc_lo, s27, s26
	s_cmp_lt_f32 s11, 0
	s_cselect_b32 s11, -1, 0
	s_wait_alu 0xfffe
	s_xor_b32 s11, s11, s27
	s_wait_alu 0xfffe
	s_and_b32 s11, s11, exec_lo
	s_cselect_b32 s11, 0, 0x7f800000
	s_and_b32 s25, s25, exec_lo
	s_cselect_b32 s25, s10, 0
	s_cmp_o_f32 s10, s10
	s_wait_alu 0xfffe
	v_mov_b32_e32 v2, s25
	s_delay_alu instid0(VALU_DEP_1) | instskip(NEXT) | instid1(VALU_DEP_1)
	v_bfi_b32 v2, 0x7fffffff, s11, v2
	v_cndmask_b32_e32 v1, v1, v2, vcc_lo
	s_cselect_b32 vcc_lo, -1, 0
	s_wait_alu 0xfffe
	s_delay_alu instid0(VALU_DEP_1)
	v_cndmask_b32_e32 v28, 0x7fc00000, v1, vcc_lo
.LBB65_4:
	v_bfe_u32 v27, v0, 10, 10
	s_lshl_b32 s33, ttmp9, 2
	s_load_b96 s[44:46], s[0:1], 0x70
	s_ashr_i32 s29, s28, 31
	s_delay_alu instid0(VALU_DEP_1) | instskip(SKIP_1) | instid1(VALU_DEP_2)
	v_dual_mov_b32 v29, 0 :: v_dual_lshlrev_b32 v20, 1, v27
	v_lshlrev_b32_e32 v31, 8, v27
	v_or_b32_e32 v18, 1, v20
	v_add_nc_u32_e32 v22, s33, v20
	s_delay_alu instid0(VALU_DEP_2) | instskip(NEXT) | instid1(VALU_DEP_2)
	v_add_nc_u32_e32 v19, s33, v18
	v_mul_hi_u32 v1, v22, s20
	s_delay_alu instid0(VALU_DEP_2) | instskip(SKIP_3) | instid1(VALU_DEP_2)
	v_mul_hi_u32 v2, v19, s20
	s_wait_kmcnt 0x0
	s_mul_i32 s10, s28, s45
	s_ashr_i32 s45, s44, 31
	v_add_nc_u32_e32 v1, v22, v1
	s_lshr_b64 s[26:27], s[44:45], 2
	s_lshr_b32 s11, s45, 2
	s_delay_alu instid0(VALU_DEP_2) | instskip(NEXT) | instid1(VALU_DEP_2)
	v_add_nc_u32_e32 v2, v19, v2
	v_lshrrev_b32_e32 v1, s21, v1
	s_delay_alu instid0(VALU_DEP_2) | instskip(NEXT) | instid1(VALU_DEP_2)
	v_lshrrev_b32_e32 v2, s21, v2
	v_mul_lo_u32 v1, v1, s22
	s_delay_alu instid0(VALU_DEP_2) | instskip(NEXT) | instid1(VALU_DEP_2)
	v_mul_lo_u32 v3, v2, s22
	v_sub_nc_u32_e32 v30, v22, v1
	s_delay_alu instid0(VALU_DEP_2) | instskip(SKIP_1) | instid1(VALU_DEP_2)
	v_sub_nc_u32_e32 v7, v19, v3
	s_wait_alu 0xfffe
	v_mad_co_u64_u32 v[1:2], null, s26, v30, 0
	s_delay_alu instid0(VALU_DEP_2)
	v_mad_co_u64_u32 v[3:4], null, s26, v7, 0
	s_mul_i32 s26, s30, s46
	s_wait_alu 0xfffe
	s_ashr_i32 s27, s26, 31
	s_wait_alu 0xfffe
	s_add_nc_u64 s[4:5], s[4:5], s[26:27]
	v_mad_co_u64_u32 v[5:6], null, s11, v30, v[2:3]
	v_mov_b32_e32 v2, v4
	s_delay_alu instid0(VALU_DEP_1) | instskip(NEXT) | instid1(VALU_DEP_3)
	v_mad_co_u64_u32 v[6:7], null, s11, v7, v[2:3]
	v_dual_mov_b32 v2, v5 :: v_dual_and_b32 v21, 0x3ff, v0
	s_ashr_i32 s11, s10, 31
	s_wait_alu 0xfffe
	s_add_nc_u64 s[4:5], s[4:5], s[10:11]
	s_ashr_i32 s10, s31, 31
	s_delay_alu instid0(VALU_DEP_2) | instskip(SKIP_3) | instid1(VALU_DEP_2)
	v_dual_mov_b32 v4, v6 :: v_dual_lshlrev_b32 v5, 3, v21
	v_lshlrev_b64_e32 v[0:1], 2, v[1:2]
	s_mov_b32 s31, 0
	s_cmp_eq_u64 s[14:15], 0
	v_lshlrev_b64_e32 v[2:3], 2, v[3:4]
	s_wait_alu 0xfffe
	v_add_co_u32 v5, s4, s4, v5
	s_wait_alu 0xf1ff
	v_add_co_ci_u32_e64 v6, null, s5, 0, s4
	v_lshl_add_u32 v4, v21, 2, 0x1200
	s_delay_alu instid0(VALU_DEP_3) | instskip(SKIP_1) | instid1(VALU_DEP_3)
	v_add_co_u32 v0, vcc_lo, v5, v0
	s_wait_alu 0xfffd
	v_add_co_ci_u32_e64 v1, null, v6, v1, vcc_lo
	v_add_co_u32 v2, vcc_lo, v5, v2
	s_wait_alu 0xfffd
	v_add_co_ci_u32_e64 v3, null, v6, v3, vcc_lo
	s_clause 0x1
	global_load_b64 v[0:1], v[0:1], off
	global_load_b64 v[2:3], v[2:3], off
	v_add_nc_u32_e32 v5, v4, v31
	v_lshl_add_u32 v4, v18, 7, v4
	s_mul_u64 s[4:5], s[36:37], s[40:41]
	s_wait_loadcnt 0x1
	v_fma_mixlo_f16 v1, s24, v1, 0
	v_fma_mixlo_f16 v0, s24, v0, 0
	s_wait_loadcnt 0x0
	v_fma_mixlo_f16 v3, s24, v3, 0
	v_fma_mixlo_f16 v2, s24, v2, 0
	v_lshlrev_b32_e32 v1, 16, v1
	v_and_b32_e32 v0, 0xffff, v0
	s_delay_alu instid0(VALU_DEP_4) | instskip(NEXT) | instid1(VALU_DEP_4)
	v_lshlrev_b32_e32 v3, 16, v3
	v_and_b32_e32 v2, 0xffff, v2
	s_delay_alu instid0(VALU_DEP_3) | instskip(NEXT) | instid1(VALU_DEP_2)
	v_or_b32_e32 v0, v1, v0
	v_or_b32_e32 v1, v3, v2
	ds_store_b32 v5, v0
	ds_store_b32 v4, v1
	s_wait_dscnt 0x0
	s_barrier_signal -1
	s_barrier_wait -1
	global_inv scope:SCOPE_SE
	s_cbranch_scc1 .LBB65_6
; %bb.5:
	s_load_b32 s2, s[0:1], 0xd0
	s_mov_b32 s25, s31
	s_wait_kmcnt 0x0
	s_mul_i32 s2, s2, s30
	s_delay_alu instid0(SALU_CYCLE_1)
	s_add_co_i32 s24, s2, ttmp9
	s_wait_alu 0xfffe
	s_lshl_b64 s[24:25], s[24:25], 2
	s_wait_alu 0xfffe
	s_add_nc_u64 s[14:15], s[14:15], s[24:25]
	s_load_b32 s2, s[14:15], 0x0
.LBB65_6:
	s_clause 0x2
	s_load_b64 s[14:15], s[0:1], 0x8c
	s_load_b128 s[24:27], s[0:1], 0x98
	s_load_b64 s[40:41], s[0:1], 0xa8
	s_mul_i32 s4, s5, s3
	s_ashr_i32 s37, s39, 1
	s_wait_alu 0xfffe
	s_sub_co_i32 s36, s36, s4
	s_xor_b32 s11, s29, s10
	s_add_co_i32 s42, s5, 1
	s_sub_co_i32 s43, s36, s3
	v_lshrrev_b32_e32 v34, 3, v21
	v_lshlrev_b32_e32 v26, 2, v21
	v_mul_u32_u24_e32 v32, 0x90, v21
	v_mbcnt_lo_u32_b32 v23, -1, 0
	s_wait_kmcnt 0x0
	s_ashr_i32 s4, s14, 2
	s_ashr_i32 s10, s26, 2
	s_cmp_ge_u32 s36, s3
	s_mul_u64 s[24:25], s[24:25], s[30:31]
	s_cselect_b32 s5, s42, s5
	s_cselect_b32 s14, s43, s36
	s_wait_alu 0xfffe
	s_add_nc_u64 s[6:7], s[6:7], s[24:25]
	s_add_co_i32 s24, s5, 1
	s_cmp_ge_u32 s14, s3
	s_mul_u64 s[38:39], s[40:41], s[30:31]
	s_wait_alu 0xfffe
	s_cselect_b32 s3, s24, s5
	s_add_nc_u64 s[38:39], s[8:9], s[38:39]
	s_xor_b32 s5, s3, s11
	s_and_b32 s8, ttmp7, 0xffff
	s_wait_alu 0xfffe
	s_sub_co_i32 s5, s5, s11
	s_sub_co_i32 s3, s2, 32
	s_wait_alu 0xfffe
	s_mul_i32 s14, s5, s15
	s_mul_i32 s26, s5, s27
	s_lshl_b32 s24, s8, 5
	s_ashr_i32 s15, s14, 31
	s_wait_alu 0xfffe
	s_ashr_i32 s27, s26, 31
	s_cmp_ge_i32 s24, s3
	s_add_nc_u64 s[6:7], s[6:7], s[14:15]
	s_wait_alu 0xfffe
	s_add_nc_u64 s[14:15], s[38:39], s[26:27]
	s_cbranch_scc1 .LBB65_15
; %bb.7:
	v_or_b32_e32 v2, 1, v22
	v_lshl_add_u32 v1, v27, 2, v34
	v_dual_mov_b32 v24, 0 :: v_dual_and_b32 v25, 28, v26
	s_ashr_i32 s5, s4, 31
	s_delay_alu instid0(VALU_DEP_3) | instskip(NEXT) | instid1(VALU_DEP_3)
	v_mul_hi_u32 v3, s20, v2
	v_mul_lo_u32 v0, s4, v1
	v_mul_lo_u32 v10, s10, v1
	s_lshl_b32 s11, s4, 3
	v_lshlrev_b32_e32 v4, 2, v25
	s_cmp_lg_u64 s[34:35], 0
	v_lshlrev_b32_e32 v47, 2, v25
	s_cselect_b32 s9, -1, 0
	v_dual_mov_b32 v52, 0xfeffffff :: v_dual_add_nc_u32 v3, v2, v3
	s_lshl_b32 s25, s10, 3
	v_mov_b32_e32 v25, 0
	v_mad_u32_u24 v38, 0x90, v1, v4
	s_delay_alu instid0(VALU_DEP_3)
	v_lshrrev_b32_e32 v3, s21, v3
	v_lshl_or_b32 v39, v1, 7, v4
	s_wait_alu 0xfffe
	v_dual_mov_b32 v53, 0xfeffffff :: v_dual_add_nc_u32 v4, s11, v0
	v_dual_mov_b32 v51, 0 :: v_dual_add_nc_u32 v12, s25, v10
	v_mul_lo_u32 v3, v3, s22
	s_delay_alu instid0(VALU_DEP_3) | instskip(SKIP_1) | instid1(VALU_DEP_4)
	v_add_nc_u32_e32 v6, s11, v4
	v_ashrrev_i32_e32 v1, 31, v0
	v_add_nc_u32_e32 v14, s25, v12
	v_ashrrev_i32_e32 v11, 31, v10
	v_ashrrev_i32_e32 v5, 31, v4
	v_add_nc_u32_e32 v8, s11, v6
	v_ashrrev_i32_e32 v7, 31, v6
	v_add_nc_u32_e32 v16, s25, v14
	v_sub_nc_u32_e32 v2, v2, v3
	v_ashrrev_i32_e32 v13, 31, v12
	v_ashrrev_i32_e32 v9, 31, v8
	v_ashrrev_i32_e32 v15, 31, v14
	v_ashrrev_i32_e32 v17, 31, v16
	v_lshl_add_u32 v37, v27, 7, 0x1400
	v_mul_lo_u32 v36, v30, s37
	v_mul_lo_u32 v44, v2, s37
	v_lshlrev_b64_e32 v[2:3], 2, v[0:1]
	v_lshlrev_b64_e32 v[4:5], 2, v[4:5]
	;; [unrolled: 1-line block ×8, first 2 shown]
	v_dual_mov_b32 v50, 0 :: v_dual_add_nc_u32 v35, 0x1200, v31
	v_add_nc_u32_e32 v40, 0x480, v38
	v_add_nc_u32_e32 v41, 0x900, v38
	;; [unrolled: 1-line block ×7, first 2 shown]
	v_mbcnt_lo_u32_b32 v49, -1, 0
	s_ashr_i32 s11, s10, 31
	s_add_nc_u64 s[26:27], s[0:1], 0xd0
.LBB65_8:                               ; =>This Inner Loop Header: Depth=1
	s_ashr_i32 s25, s24, 31
	s_wait_alu 0xfffe
	s_mul_u64 s[38:39], s[24:25], s[4:5]
	s_wait_alu 0xfffe
	s_lshl_b64 s[38:39], s[38:39], 2
	s_wait_alu 0xfffe
	s_add_nc_u64 s[38:39], s[6:7], s[38:39]
	s_wait_alu 0xfffe
	v_add_co_u32 v0, vcc_lo, s38, v2
	s_wait_alu 0xfffd
	v_add_co_ci_u32_e64 v1, null, s39, v3, vcc_lo
	v_add_co_u32 v29, vcc_lo, s38, v4
	s_wait_alu 0xfffd
	v_add_co_ci_u32_e64 v33, null, s39, v5, vcc_lo
	;; [unrolled: 3-line block ×8, first 2 shown]
	s_clause 0x3
	global_load_b128 v[54:57], v[0:1], off
	global_load_b128 v[58:61], v[58:59], off
	;; [unrolled: 1-line block ×4, first 2 shown]
	v_dual_mov_b32 v1, 0 :: v_dual_mov_b32 v0, 0
	v_mov_b32_e32 v29, 0
	s_and_not1_b32 vcc_lo, exec_lo, s9
	s_wait_loadcnt 0x3
	ds_store_b128 v38, v[54:57]
	s_wait_loadcnt 0x2
	ds_store_b128 v40, v[58:61]
	;; [unrolled: 2-line block ×4, first 2 shown]
	s_wait_dscnt 0x0
	s_barrier_signal -1
	s_barrier_wait -1
	global_inv scope:SCOPE_SE
	ds_load_b128 v[54:57], v32
	ds_load_b128 v[58:61], v35
	ds_load_b128 v[62:65], v35 offset:128
	s_wait_dscnt 0x1
	;;#ASMSTART
	v_dot2_f32_f16 v1, v54, v58, v1
	;;#ASMEND
	;;#ASMSTART
	v_dot2_f32_f16 v1, v55, v59, v1
	;;#ASMEND
	;;#ASMSTART
	v_dot2_f32_f16 v1, v56, v60, v1
	;;#ASMEND
	;;#ASMSTART
	v_dot2_f32_f16 v1, v57, v61, v1
	;;#ASMEND
	s_wait_dscnt 0x0
	;;#ASMSTART
	v_dot2_f32_f16 v0, v54, v62, v0
	;;#ASMEND
	;;#ASMSTART
	v_dot2_f32_f16 v0, v55, v63, v0
	;;#ASMEND
	;;#ASMSTART
	v_dot2_f32_f16 v0, v56, v64, v0
	;;#ASMEND
	;;#ASMSTART
	v_dot2_f32_f16 v0, v57, v65, v0
	;;#ASMEND
	ds_load_b128 v[54:57], v32 offset:16
	ds_load_b128 v[58:61], v35 offset:16
	ds_load_b128 v[62:65], v35 offset:144
	s_wait_dscnt 0x1
	;;#ASMSTART
	v_dot2_f32_f16 v1, v54, v58, v1
	;;#ASMEND
	;;#ASMSTART
	v_dot2_f32_f16 v1, v55, v59, v1
	;;#ASMEND
	;;#ASMSTART
	v_dot2_f32_f16 v1, v56, v60, v1
	;;#ASMEND
	;;#ASMSTART
	v_dot2_f32_f16 v1, v57, v61, v1
	;;#ASMEND
	s_wait_dscnt 0x0
	;;#ASMSTART
	v_dot2_f32_f16 v0, v54, v62, v0
	;;#ASMEND
	;;#ASMSTART
	v_dot2_f32_f16 v0, v55, v63, v0
	;;#ASMEND
	;;#ASMSTART
	v_dot2_f32_f16 v0, v56, v64, v0
	;;#ASMEND
	;;#ASMSTART
	v_dot2_f32_f16 v0, v57, v65, v0
	;;#ASMEND
	ds_load_b128 v[54:57], v32 offset:32
	ds_load_b128 v[58:61], v35 offset:32
	;; [unrolled: 29-line block ×7, first 2 shown]
	ds_load_b128 v[64:67], v35 offset:240
	s_wait_dscnt 0x1
	;;#ASMSTART
	v_dot2_f32_f16 v1, v54, v60, v1
	;;#ASMEND
	v_add_nc_u32_e32 v59, s24, v21
	;;#ASMSTART
	v_dot2_f32_f16 v1, v55, v61, v1
	;;#ASMEND
	;;#ASMSTART
	v_dot2_f32_f16 v1, v56, v62, v1
	;;#ASMEND
	;; [unrolled: 3-line block ×3, first 2 shown]
	s_wait_dscnt 0x0
	;;#ASMSTART
	v_dot2_f32_f16 v0, v54, v64, v0
	;;#ASMEND
	;;#ASMSTART
	v_dot2_f32_f16 v0, v55, v65, v0
	;;#ASMEND
	;; [unrolled: 3-line block ×4, first 2 shown]
	s_wait_alu 0xfffe
	s_cbranch_vccnz .LBB65_10
; %bb.9:                                ;   in Loop: Header=BB65_8 Depth=1
	v_add_nc_u32_e32 v54, v59, v36
	s_delay_alu instid0(VALU_DEP_1) | instskip(NEXT) | instid1(VALU_DEP_1)
	v_ashrrev_i32_e32 v55, 31, v54
	v_lshlrev_b64_e32 v[54:55], 1, v[54:55]
	s_delay_alu instid0(VALU_DEP_1) | instskip(SKIP_1) | instid1(VALU_DEP_2)
	v_add_co_u32 v54, vcc_lo, s34, v54
	s_wait_alu 0xfffd
	v_add_co_ci_u32_e64 v55, null, s35, v55, vcc_lo
	global_load_u16 v29, v[54:55], off
	s_wait_loadcnt 0x0
	v_cvt_f32_f16_e32 v29, v29
	s_delay_alu instid0(VALU_DEP_1)
	v_mul_f32_e32 v29, v28, v29
.LBB65_10:                              ;   in Loop: Header=BB65_8 Depth=1
	v_xor_b32_e32 v33, 16, v49
	s_delay_alu instid0(VALU_DEP_2) | instskip(SKIP_1) | instid1(VALU_DEP_3)
	v_dual_add_f32 v1, v1, v29 :: v_dual_max_num_f32 v54, v52, v52
	v_xor_b32_e32 v55, 8, v49
	v_cmp_gt_i32_e32 vcc_lo, 32, v33
	s_wait_alu 0xfffd
	v_cndmask_b32_e32 v29, v49, v33, vcc_lo
	v_add_f32_e32 v33, 0x40051340, v1
	v_cmp_gt_i32_e32 vcc_lo, 32, v55
	s_delay_alu instid0(VALU_DEP_3) | instskip(SKIP_1) | instid1(VALU_DEP_3)
	v_lshlrev_b32_e32 v29, 2, v29
	s_wait_alu 0xfffd
	v_dual_max_num_f32 v54, v54, v33 :: v_dual_cndmask_b32 v55, v49, v55
	ds_bpermute_b32 v33, v29, v54
	s_wait_dscnt 0x0
	v_dual_max_num_f32 v56, v33, v33 :: v_dual_lshlrev_b32 v33, 2, v55
	s_delay_alu instid0(VALU_DEP_1)
	v_max_num_f32_e32 v55, v54, v56
	v_xor_b32_e32 v56, 4, v49
	ds_bpermute_b32 v54, v33, v55
	v_cmp_gt_i32_e32 vcc_lo, 32, v56
	s_wait_dscnt 0x0
	s_wait_alu 0xfffd
	v_dual_cndmask_b32 v56, v49, v56 :: v_dual_max_num_f32 v57, v54, v54
	s_delay_alu instid0(VALU_DEP_1) | instskip(NEXT) | instid1(VALU_DEP_2)
	v_lshlrev_b32_e32 v54, 2, v56
	v_max_num_f32_e32 v56, v55, v57
	v_xor_b32_e32 v57, 2, v49
	ds_bpermute_b32 v55, v54, v56
	v_cmp_gt_i32_e32 vcc_lo, 32, v57
	s_wait_dscnt 0x0
	s_wait_alu 0xfffd
	v_dual_cndmask_b32 v57, v49, v57 :: v_dual_max_num_f32 v58, v55, v55
	s_delay_alu instid0(VALU_DEP_1) | instskip(SKIP_1) | instid1(VALU_DEP_1)
	v_max_num_f32_e32 v56, v56, v58
	v_xor_b32_e32 v58, 1, v49
	v_cmp_gt_i32_e32 vcc_lo, 32, v58
	s_wait_alu 0xfffd
	v_dual_cndmask_b32 v58, v49, v58 :: v_dual_lshlrev_b32 v55, 2, v57
	ds_bpermute_b32 v57, v55, v56
	s_and_not1_b32 vcc_lo, exec_lo, s9
	s_wait_dscnt 0x0
	v_dual_max_num_f32 v60, v57, v57 :: v_dual_lshlrev_b32 v57, 2, v58
	s_delay_alu instid0(VALU_DEP_1)
	v_max_num_f32_e32 v56, v56, v60
	ds_bpermute_b32 v58, v57, v56
	s_wait_alu 0xfffe
	s_cbranch_vccnz .LBB65_12
; %bb.11:                               ;   in Loop: Header=BB65_8 Depth=1
	v_add_nc_u32_e32 v59, v59, v44
	s_delay_alu instid0(VALU_DEP_1) | instskip(NEXT) | instid1(VALU_DEP_1)
	v_ashrrev_i32_e32 v60, 31, v59
	v_lshlrev_b64_e32 v[59:60], 1, v[59:60]
	s_delay_alu instid0(VALU_DEP_1) | instskip(SKIP_1) | instid1(VALU_DEP_2)
	v_add_co_u32 v59, vcc_lo, s34, v59
	s_wait_alu 0xfffd
	v_add_co_ci_u32_e64 v60, null, s35, v60, vcc_lo
	global_load_u16 v59, v[59:60], off
	s_wait_loadcnt 0x0
	v_cvt_f32_f16_e32 v59, v59
	s_delay_alu instid0(VALU_DEP_1)
	v_mul_f32_e32 v59, v28, v59
	s_branch .LBB65_13
.LBB65_12:                              ;   in Loop: Header=BB65_8 Depth=1
	v_mov_b32_e32 v59, 0
.LBB65_13:                              ;   in Loop: Header=BB65_8 Depth=1
	s_mul_u64 s[38:39], s[24:25], s[10:11]
	s_wait_loadcnt_dscnt 0x0
	s_wait_alu 0xfffe
	s_lshl_b64 s[38:39], s[38:39], 2
	s_barrier_signal -1
	s_wait_alu 0xfffe
	s_add_nc_u64 s[38:39], s[14:15], s[38:39]
	s_barrier_wait -1
	s_wait_alu 0xfffe
	v_add_co_u32 v60, vcc_lo, s38, v10
	s_wait_alu 0xfffd
	v_add_co_ci_u32_e64 v61, null, s39, v11, vcc_lo
	v_add_co_u32 v62, vcc_lo, s38, v12
	s_wait_alu 0xfffd
	v_add_co_ci_u32_e64 v63, null, s39, v13, vcc_lo
	;; [unrolled: 3-line block ×8, first 2 shown]
	global_inv scope:SCOPE_SE
	s_clause 0x3
	global_load_b128 v[60:63], v[60:61], off
	global_load_b128 v[64:67], v[64:65], off
	;; [unrolled: 1-line block ×4, first 2 shown]
	v_dual_add_f32 v59, v0, v59 :: v_dual_max_num_f32 v0, v53, v53
	v_add_nc_u32_e32 v116, 0xc00, v26
	s_delay_alu instid0(VALU_DEP_2) | instskip(NEXT) | instid1(VALU_DEP_1)
	v_add_f32_e32 v76, 0x40051340, v59
	v_max_num_f32_e32 v0, v0, v76
	ds_bpermute_b32 v29, v29, v0
	s_wait_dscnt 0x0
	v_max_num_f32_e32 v29, v29, v29
	s_delay_alu instid0(VALU_DEP_1) | instskip(SKIP_3) | instid1(VALU_DEP_1)
	v_max_num_f32_e32 v0, v0, v29
	ds_bpermute_b32 v29, v33, v0
	s_wait_dscnt 0x0
	v_max_num_f32_e32 v29, v29, v29
	v_max_num_f32_e32 v0, v0, v29
	ds_bpermute_b32 v29, v54, v0
	s_wait_dscnt 0x0
	v_dual_max_num_f32 v54, v56, v56 :: v_dual_max_num_f32 v29, v29, v29
	s_delay_alu instid0(VALU_DEP_1) | instskip(SKIP_3) | instid1(VALU_DEP_1)
	v_max_num_f32_e32 v0, v0, v29
	ds_bpermute_b32 v29, v55, v0
	s_wait_dscnt 0x0
	v_max_num_f32_e32 v29, v29, v29
	v_dual_max_num_f32 v29, v0, v29 :: v_dual_max_num_f32 v0, v58, v58
	s_delay_alu instid0(VALU_DEP_1)
	v_max_num_f32_e32 v0, v54, v0
	ds_bpermute_b32 v33, v57, v29
	v_sub_f32_e32 v52, v52, v0
	v_sub_f32_e32 v54, v1, v0
	s_wait_dscnt 0x0
	v_max_num_f32_e32 v1, v33, v33
	s_delay_alu instid0(VALU_DEP_3) | instskip(SKIP_1) | instid1(VALU_DEP_3)
	v_mul_f32_e32 v33, 0x3fb8aa3b, v52
	v_cmp_ngt_f32_e32 vcc_lo, 0xc2ce8ed0, v52
	v_max_num_f32_e32 v1, v29, v1
	s_delay_alu instid0(VALU_DEP_3) | instskip(SKIP_1) | instid1(VALU_DEP_3)
	v_fma_f32 v29, 0x3fb8aa3b, v52, -v33
	v_rndne_f32_e32 v56, v33
	v_sub_f32_e32 v53, v53, v1
	s_delay_alu instid0(VALU_DEP_3) | instskip(NEXT) | instid1(VALU_DEP_3)
	v_fmac_f32_e32 v29, 0x32a5705f, v52
	v_sub_f32_e32 v33, v33, v56
	v_sub_f32_e32 v59, v59, v1
	s_delay_alu instid0(VALU_DEP_4) | instskip(SKIP_1) | instid1(VALU_DEP_4)
	v_dual_mul_f32 v55, 0x3fb8aa3b, v54 :: v_dual_mul_f32 v76, 0x3fb8aa3b, v53
	v_cvt_i32_f32_e32 v56, v56
	v_add_f32_e32 v29, v33, v29
	s_delay_alu instid0(VALU_DEP_4) | instskip(NEXT) | instid1(VALU_DEP_4)
	v_mul_f32_e32 v77, 0x3fb8aa3b, v59
	v_fma_f32 v57, 0x3fb8aa3b, v54, -v55
	v_rndne_f32_e32 v58, v55
	v_fma_f32 v33, 0x3fb8aa3b, v53, -v76
	v_exp_f32_e32 v29, v29
	v_rndne_f32_e32 v80, v77
	v_fmac_f32_e32 v57, 0x32a5705f, v54
	v_rndne_f32_e32 v78, v76
	v_fma_f32 v79, 0x3fb8aa3b, v59, -v77
	v_fmac_f32_e32 v33, 0x32a5705f, v53
	s_delay_alu instid0(VALU_DEP_2) | instskip(NEXT) | instid1(TRANS32_DEP_1)
	v_fmac_f32_e32 v79, 0x32a5705f, v59
	v_ldexp_f32 v29, v29, v56
	v_cvt_i32_f32_e32 v56, v78
	s_wait_alu 0xfffd
	s_delay_alu instid0(VALU_DEP_2) | instskip(SKIP_3) | instid1(VALU_DEP_3)
	v_cndmask_b32_e32 v29, 0, v29, vcc_lo
	v_sub_f32_e32 v55, v55, v58
	v_cvt_i32_f32_e32 v58, v58
	v_cmp_ngt_f32_e32 vcc_lo, 0xc2ce8ed0, v54
	v_add_f32_e32 v55, v55, v57
	v_sub_f32_e32 v57, v76, v78
	v_add_nc_u32_e32 v78, 0x800, v26
	v_sub_f32_e32 v76, v77, v80
	s_delay_alu instid0(VALU_DEP_4) | instskip(NEXT) | instid1(VALU_DEP_3)
	v_exp_f32_e32 v55, v55
	v_add_f32_e32 v33, v57, v33
	s_delay_alu instid0(VALU_DEP_2) | instskip(NEXT) | instid1(VALU_DEP_2)
	v_dual_add_f32 v57, v76, v79 :: v_dual_add_nc_u32 v76, 0x400, v26
	v_exp_f32_e32 v33, v33
	s_delay_alu instid0(VALU_DEP_1) | instskip(NEXT) | instid1(TRANS32_DEP_3)
	v_exp_f32_e32 v57, v57
	v_ldexp_f32 v55, v55, v58
	v_cvt_i32_f32_e32 v58, v80
	s_wait_alu 0xfffd
	s_delay_alu instid0(VALU_DEP_2) | instskip(SKIP_1) | instid1(TRANS32_DEP_2)
	v_cndmask_b32_e32 v55, 0, v55, vcc_lo
	v_cmp_nlt_f32_e32 vcc_lo, 0x42b17218, v52
	v_ldexp_f32 v33, v33, v56
	s_delay_alu instid0(TRANS32_DEP_1)
	v_ldexp_f32 v56, v57, v58
	s_wait_alu 0xfffd
	v_cndmask_b32_e32 v52, 0x7f800000, v29, vcc_lo
	v_cmp_ngt_f32_e32 vcc_lo, 0xc2ce8ed0, v53
	s_wait_alu 0xfffd
	v_cndmask_b32_e32 v29, 0, v33, vcc_lo
	v_cmp_ngt_f32_e32 vcc_lo, 0xc2ce8ed0, v59
	s_wait_alu 0xfffd
	v_cndmask_b32_e32 v56, 0, v56, vcc_lo
	v_cmp_nlt_f32_e32 vcc_lo, 0x42b17218, v54
	s_wait_alu 0xfffd
	v_cndmask_b32_e32 v33, 0x7f800000, v55, vcc_lo
	v_cmp_nlt_f32_e32 vcc_lo, 0x42b17218, v53
	v_cvt_f16_f32_e32 v55, v52
	s_delay_alu instid0(VALU_DEP_3)
	v_cvt_f16_f32_e32 v54, v33
	s_wait_alu 0xfffd
	v_cndmask_b32_e32 v53, 0x7f800000, v29, vcc_lo
	v_cmp_nlt_f32_e32 vcc_lo, 0x42b17218, v59
	v_and_b32_e32 v55, 0xffff, v55
	v_fmac_f32_e32 v33, v50, v52
	s_wait_alu 0xfffd
	v_cndmask_b32_e32 v29, 0x7f800000, v56, vcc_lo
	v_cvt_f16_f32_e32 v56, v53
	v_mul_u32_u24_e32 v118, 0x10001, v55
	s_delay_alu instid0(VALU_DEP_3) | instskip(NEXT) | instid1(VALU_DEP_3)
	v_cvt_f16_f32_e32 v57, v29
	v_dual_fmac_f32 v29, v51, v53 :: v_dual_and_b32 v56, 0xffff, v56
	s_delay_alu instid0(VALU_DEP_2) | instskip(NEXT) | instid1(VALU_DEP_2)
	v_pack_b32_f16 v54, v54, v57
	v_mul_u32_u24_e32 v119, 0x10001, v56
	ds_store_b32 v48, v54
	s_wait_loadcnt 0x3
	ds_store_b128 v39, v[60:63]
	s_wait_loadcnt 0x2
	ds_store_b128 v43, v[64:67]
	;; [unrolled: 2-line block ×4, first 2 shown]
	s_wait_dscnt 0x0
	s_barrier_signal -1
	s_barrier_wait -1
	global_inv scope:SCOPE_SE
	ds_load_2addr_b32 v[86:87], v26 offset1:32
	ds_load_b128 v[54:57], v37
	ds_load_b128 v[58:61], v37 offset:16
	ds_load_b128 v[62:65], v37 offset:32
	ds_load_b128 v[66:69], v37 offset:48
	ds_load_2addr_b32 v[88:89], v26 offset0:64 offset1:96
	ds_load_2addr_b32 v[90:91], v26 offset0:128 offset1:160
	;; [unrolled: 1-line block ×3, first 2 shown]
	ds_load_2addr_b32 v[94:95], v76 offset1:32
	ds_load_2addr_b32 v[96:97], v76 offset0:64 offset1:96
	ds_load_2addr_b32 v[98:99], v76 offset0:128 offset1:160
	;; [unrolled: 1-line block ×3, first 2 shown]
	ds_load_2addr_b32 v[102:103], v78 offset1:32
	ds_load_2addr_b32 v[104:105], v78 offset0:64 offset1:96
	ds_load_2addr_b32 v[106:107], v78 offset0:128 offset1:160
	ds_load_b128 v[70:73], v37 offset:64
	ds_load_b128 v[74:77], v37 offset:80
	ds_load_2addr_b32 v[108:109], v78 offset0:192 offset1:224
	ds_load_2addr_b32 v[110:111], v116 offset1:32
	ds_load_2addr_b32 v[112:113], v116 offset0:64 offset1:96
	ds_load_2addr_b32 v[114:115], v116 offset0:128 offset1:160
	ds_load_b128 v[78:81], v37 offset:96
	ds_load_b128 v[82:85], v37 offset:112
	ds_load_2addr_b32 v[116:117], v116 offset0:192 offset1:224
	s_wait_dscnt 0x16
	v_lshrrev_b32_e32 v120, 16, v54
	v_and_b32_e32 v54, 0xffff, v54
	v_lshrrev_b32_e32 v121, 16, v55
	v_and_b32_e32 v55, 0xffff, v55
	v_lshrrev_b32_e32 v122, 16, v56
	v_mul_u32_u24_e32 v120, 0x10001, v120
	v_mul_u32_u24_e32 v54, 0x10001, v54
	v_and_b32_e32 v56, 0xffff, v56
	v_mul_u32_u24_e32 v55, 0x10001, v55
	v_mul_u32_u24_e32 v121, 0x10001, v121
	v_lshrrev_b32_e32 v123, 16, v57
	v_pk_mul_f16 v54, v86, v54
	v_pk_mul_f16 v86, v86, v120
	v_and_b32_e32 v57, 0xffff, v57
	s_wait_dscnt 0x8
	v_lshrrev_b32_e32 v120, 16, v71
	v_mul_u32_u24_e32 v56, 0x10001, v56
	v_pk_fma_f16 v25, v25, v118, v54
	v_pk_fma_f16 v24, v24, v119, v86
	v_and_b32_e32 v54, 0xffff, v71
	v_mul_u32_u24_e32 v71, 0x10001, v122
	v_lshrrev_b32_e32 v124, 16, v58
	v_pk_fma_f16 v25, v87, v55, v25
	v_pk_fma_f16 v24, v87, v121, v24
	v_and_b32_e32 v58, 0xffff, v58
	v_mul_u32_u24_e32 v57, 0x10001, v57
	v_mul_u32_u24_e32 v86, 0x10001, v123
	v_pk_fma_f16 v25, v88, v56, v25
	v_pk_fma_f16 v24, v88, v71, v24
	v_lshrrev_b32_e32 v125, 16, v59
	v_and_b32_e32 v59, 0xffff, v59
	v_mul_u32_u24_e32 v58, 0x10001, v58
	v_mul_u32_u24_e32 v71, 0x10001, v124
	v_pk_fma_f16 v25, v89, v57, v25
	v_pk_fma_f16 v24, v89, v86, v24
	v_lshrrev_b32_e32 v126, 16, v60
	v_and_b32_e32 v60, 0xffff, v60
	v_lshrrev_b32_e32 v55, 16, v72
	v_and_b32_e32 v56, 0xffff, v72
	v_mul_u32_u24_e32 v59, 0x10001, v59
	v_mul_u32_u24_e32 v72, 0x10001, v125
	v_pk_fma_f16 v25, v90, v58, v25
	v_pk_fma_f16 v24, v90, v71, v24
	v_lshrrev_b32_e32 v127, 16, v61
	v_and_b32_e32 v61, 0xffff, v61
	v_mul_u32_u24_e32 v60, 0x10001, v60
	v_mul_u32_u24_e32 v71, 0x10001, v126
	v_pk_fma_f16 v25, v91, v59, v25
	v_pk_fma_f16 v24, v91, v72, v24
	;; [unrolled: 6-line block ×11, first 2 shown]
	v_mul_u32_u24_e32 v70, 0x10001, v70
	v_mul_u32_u24_e32 v71, 0x10001, v136
	;; [unrolled: 1-line block ×3, first 2 shown]
	v_pk_fma_f16 v25, v101, v69, v25
	v_pk_fma_f16 v24, v101, v72, v24
	v_mul_u32_u24_e32 v72, 0x10001, v120
	v_lshrrev_b32_e32 v57, 16, v73
	v_and_b32_e32 v58, 0xffff, v73
	v_pk_fma_f16 v25, v102, v70, v25
	v_pk_fma_f16 v24, v102, v71, v24
	v_mul_u32_u24_e32 v56, 0x10001, v56
	v_mul_u32_u24_e32 v55, 0x10001, v55
	s_wait_dscnt 0x7
	v_lshrrev_b32_e32 v59, 16, v74
	v_pk_fma_f16 v25, v103, v54, v25
	v_pk_fma_f16 v24, v103, v72, v24
	v_and_b32_e32 v60, 0xffff, v74
	v_mul_u32_u24_e32 v58, 0x10001, v58
	v_mul_u32_u24_e32 v57, 0x10001, v57
	v_pk_fma_f16 v25, v104, v56, v25
	v_pk_fma_f16 v24, v104, v55, v24
	v_lshrrev_b32_e32 v61, 16, v75
	v_and_b32_e32 v62, 0xffff, v75
	v_mul_u32_u24_e32 v56, 0x10001, v60
	v_mul_u32_u24_e32 v59, 0x10001, v59
	v_pk_fma_f16 v25, v105, v58, v25
	v_pk_fma_f16 v24, v105, v57, v24
	v_lshrrev_b32_e32 v63, 16, v76
	;; [unrolled: 6-line block ×3, first 2 shown]
	v_and_b32_e32 v66, 0xffff, v77
	v_mul_u32_u24_e32 v59, 0x10001, v64
	v_mul_u32_u24_e32 v61, 0x10001, v63
	v_pk_fma_f16 v25, v107, v58, v25
	v_pk_fma_f16 v24, v107, v60, v24
	s_wait_dscnt 0x2
	v_lshrrev_b32_e32 v67, 16, v78
	v_and_b32_e32 v68, 0xffff, v78
	v_mul_u32_u24_e32 v60, 0x10001, v66
	v_mul_u32_u24_e32 v62, 0x10001, v65
	v_pk_fma_f16 v25, v108, v59, v25
	v_pk_fma_f16 v24, v108, v61, v24
	v_lshrrev_b32_e32 v69, 16, v79
	v_and_b32_e32 v70, 0xffff, v79
	v_mul_u32_u24_e32 v61, 0x10001, v68
	v_mul_u32_u24_e32 v63, 0x10001, v67
	v_pk_fma_f16 v25, v109, v60, v25
	v_pk_fma_f16 v24, v109, v62, v24
	;; [unrolled: 6-line block ×4, first 2 shown]
	s_wait_dscnt 0x1
	v_lshrrev_b32_e32 v58, 16, v82
	v_and_b32_e32 v59, 0xffff, v82
	v_mul_u32_u24_e32 v56, 0x10001, v56
	v_mul_u32_u24_e32 v57, 0x10001, v57
	v_pk_fma_f16 v25, v112, v55, v25
	v_pk_fma_f16 v24, v112, v54, v24
	s_wait_loadcnt_dscnt 0x0
	s_barrier_signal -1
	s_barrier_wait -1
	global_inv scope:SCOPE_SE
	s_load_b32 s25, s[26:27], 0x4
	v_lshrrev_b32_e32 v60, 16, v83
	v_and_b32_e32 v61, 0xffff, v83
	v_mul_u32_u24_e32 v55, 0x10001, v59
	v_mul_u32_u24_e32 v58, 0x10001, v58
	v_pk_fma_f16 v25, v113, v56, v25
	v_pk_fma_f16 v24, v113, v57, v24
	v_lshrrev_b32_e32 v62, 16, v84
	v_and_b32_e32 v54, 0xffff, v84
	v_mul_u32_u24_e32 v57, 0x10001, v61
	v_mul_u32_u24_e32 v59, 0x10001, v60
	v_pk_fma_f16 v25, v114, v55, v25
	v_pk_fma_f16 v24, v114, v58, v24
	;; [unrolled: 6-line block ×3, first 2 shown]
	v_mul_u32_u24_e32 v55, 0x10001, v55
	v_mul_u32_u24_e32 v56, 0x10001, v56
	s_wait_kmcnt 0x0
	s_lshl_b32 s25, s25, 5
	v_pk_fma_f16 v25, v116, v54, v25
	v_pk_fma_f16 v24, v116, v58, v24
	s_wait_alu 0xfffe
	s_add_co_i32 s24, s25, s24
	s_wait_alu 0xfffe
	s_cmp_lt_i32 s24, s3
	v_pk_fma_f16 v25, v117, v55, v25
	v_pk_fma_f16 v24, v117, v56, v24
	s_cbranch_scc0 .LBB65_16
; %bb.14:                               ;   in Loop: Header=BB65_8 Depth=1
	v_dual_mov_b32 v52, v0 :: v_dual_mov_b32 v53, v1
	v_dual_mov_b32 v50, v33 :: v_dual_mov_b32 v51, v29
	s_branch .LBB65_8
.LBB65_15:
	v_dual_mov_b32 v0, 0xfeffffff :: v_dual_mov_b32 v25, 0
	v_dual_mov_b32 v33, 0 :: v_dual_mov_b32 v24, 0
	s_delay_alu instid0(VALU_DEP_2)
	v_mov_b32_e32 v1, v0
.LBB65_16:
	v_lshlrev_b32_e32 v8, 1, v21
	s_cmp_gt_i32 s2, s24
	s_cbranch_scc1 .LBB65_19
; %bb.17:
	v_mbcnt_lo_u32_b32 v2, -1, 0
	v_mov_b32_e32 v9, 32
	s_delay_alu instid0(VALU_DEP_2)
	v_xor_b32_e32 v5, 16, v2
	v_xor_b32_e32 v4, 8, v2
	;; [unrolled: 1-line block ×5, first 2 shown]
	s_cbranch_execz .LBB65_20
; %bb.18:
	v_mov_b32_e32 v23, v2
	s_branch .LBB65_30
.LBB65_19:
                                        ; implicit-def: $vgpr2
                                        ; implicit-def: $vgpr9
                                        ; implicit-def: $vgpr5
                                        ; implicit-def: $vgpr4
                                        ; implicit-def: $vgpr6
                                        ; implicit-def: $vgpr7
                                        ; implicit-def: $vgpr10
.LBB65_20:
	v_lshl_add_u32 v12, v27, 2, v34
	s_ashr_i32 s25, s24, 31
	s_ashr_i32 s5, s4, 31
	s_mov_b32 s40, 0
	s_wait_alu 0xfffe
	s_mul_u64 s[38:39], s[24:25], s[4:5]
	v_mul_lo_u32 v6, s4, v12
	s_mov_b32 s41, s40
	s_mov_b32 s42, s40
	v_and_b32_e32 v4, 28, v26
	s_sub_co_i32 s9, s2, s24
	s_wait_alu 0xfffe
	s_lshl_b64 s[2:3], s[38:39], 2
	v_dual_mov_b32 v34, s40 :: v_dual_add_nc_u32 v15, 16, v12
	v_ashrrev_i32_e32 v7, 31, v6
	s_add_nc_u64 s[6:7], s[6:7], s[2:3]
	v_mov_b32_e32 v35, s41
	v_dual_mov_b32 v16, 0 :: v_dual_lshlrev_b32 v11, 2, v4
	s_delay_alu instid0(VALU_DEP_3)
	v_lshlrev_b64_e32 v[2:3], 2, v[6:7]
	v_cmp_gt_i32_e64 s2, s9, v12
	s_mov_b64 s[26:27], src_private_base
	v_dual_mov_b32 v36, s42 :: v_dual_add_nc_u32 v13, 24, v12
	s_clause 0x1
	scratch_store_b32 off, v16, off
	scratch_store_b96 off, v[34:36], off offset:4
	v_add_co_u32 v2, vcc_lo, s6, v2
	s_wait_alu 0xfffd
	v_add_co_ci_u32_e64 v3, null, s7, v3, vcc_lo
	s_lshl_b32 s5, s4, 3
	v_add_co_u32 v2, vcc_lo, v2, v11
	s_wait_alu 0xfffd
	v_add_co_ci_u32_e64 v3, null, 0, v3, vcc_lo
	s_wait_alu 0xfffe
	v_add_nc_u32_e32 v6, s5, v6
	v_cndmask_b32_e64 v2, 0, v2, s2
	v_add_nc_u32_e32 v14, 8, v12
	v_cndmask_b32_e64 v3, s27, v3, s2
	v_mad_u32_u24 v17, 0x90, v12, v11
	v_ashrrev_i32_e32 v7, 31, v6
	v_cmp_gt_i32_e64 s4, s9, v15
	v_cmp_gt_i32_e64 s3, s9, v14
	flat_load_b128 v[2:5], v[2:3]
	s_clause 0x1
	scratch_store_b32 off, v16, off
	scratch_store_b96 off, v[34:36], off offset:4
	v_lshlrev_b64_e32 v[9:10], 2, v[6:7]
	v_add_nc_u32_e32 v6, s5, v6
	s_cmp_lg_u64 s[34:35], 0
	s_cselect_b32 s11, -1, 0
	s_delay_alu instid0(VALU_DEP_2) | instskip(SKIP_2) | instid1(VALU_DEP_2)
	v_add_co_u32 v7, vcc_lo, s6, v9
	s_wait_alu 0xfffd
	v_add_co_ci_u32_e64 v9, null, s7, v10, vcc_lo
	v_add_co_u32 v7, vcc_lo, v7, v11
	s_wait_alu 0xfffd
	s_delay_alu instid0(VALU_DEP_2) | instskip(NEXT) | instid1(VALU_DEP_1)
	v_add_co_ci_u32_e64 v9, null, 0, v9, vcc_lo
	v_cndmask_b32_e64 v10, s27, v9, s3
	s_delay_alu instid0(VALU_DEP_3)
	v_cndmask_b32_e64 v9, 0, v7, s3
	v_ashrrev_i32_e32 v7, 31, v6
	s_wait_loadcnt_dscnt 0x0
	ds_store_b128 v17, v[2:5]
	flat_load_b128 v[2:5], v[9:10]
	v_lshlrev_b64_e32 v[9:10], 2, v[6:7]
	s_clause 0x1
	scratch_store_b32 off, v16, off
	scratch_store_b96 off, v[34:36], off offset:4
	v_add_nc_u32_e32 v6, s5, v6
	v_cmp_gt_i32_e64 s5, s9, v13
	v_add_co_u32 v7, vcc_lo, s6, v9
	s_wait_alu 0xfffd
	v_add_co_ci_u32_e64 v9, null, s7, v10, vcc_lo
	s_delay_alu instid0(VALU_DEP_2) | instskip(SKIP_1) | instid1(VALU_DEP_2)
	v_add_co_u32 v7, vcc_lo, v7, v11
	s_wait_alu 0xfffd
	v_add_co_ci_u32_e64 v9, null, 0, v9, vcc_lo
	s_delay_alu instid0(VALU_DEP_1) | instskip(NEXT) | instid1(VALU_DEP_3)
	v_cndmask_b32_e64 v10, s27, v9, s4
	v_cndmask_b32_e64 v9, 0, v7, s4
	v_ashrrev_i32_e32 v7, 31, v6
	s_delay_alu instid0(VALU_DEP_1) | instskip(NEXT) | instid1(VALU_DEP_1)
	v_lshlrev_b64_e32 v[6:7], 2, v[6:7]
	v_add_co_u32 v6, vcc_lo, s6, v6
	s_wait_alu 0xfffd
	s_delay_alu instid0(VALU_DEP_2) | instskip(SKIP_1) | instid1(VALU_DEP_3)
	v_add_co_ci_u32_e64 v7, null, s7, v7, vcc_lo
	v_cmp_gt_i32_e64 s6, s9, v21
	v_add_co_u32 v6, vcc_lo, v6, v11
	s_wait_alu 0xfffd
	s_delay_alu instid0(VALU_DEP_3) | instskip(SKIP_1) | instid1(VALU_DEP_2)
	v_add_co_ci_u32_e64 v7, null, 0, v7, vcc_lo
	s_wait_alu 0xf1ff
	v_cndmask_b32_e64 v6, 0, v6, s5
	s_delay_alu instid0(VALU_DEP_2)
	v_cndmask_b32_e64 v7, s27, v7, s5
	s_wait_loadcnt_dscnt 0x0
	ds_store_b128 v17, v[2:5] offset:1152
	flat_load_b128 v[2:5], v[9:10]
	s_clause 0x1
	scratch_store_b32 off, v16, off
	scratch_store_b96 off, v[34:36], off offset:4
	s_wait_loadcnt_dscnt 0x0
	ds_store_b128 v17, v[2:5] offset:2304
	flat_load_b128 v[2:5], v[6:7]
	v_mov_b32_e32 v6, v0
	s_wait_loadcnt_dscnt 0x0
	ds_store_b128 v17, v[2:5] offset:3456
	s_wait_storecnt_dscnt 0x0
	s_barrier_signal -1
	s_barrier_wait -1
	global_inv scope:SCOPE_SE
	ds_load_b128 v[2:5], v32
	ds_load_b128 v[34:37], v31 offset:4608
	ds_load_b128 v[38:41], v31 offset:4736
	v_mov_b32_e32 v17, 0
	s_wait_dscnt 0x1
	;;#ASMSTART
	v_dot2_f32_f16 v17, v2, v34, v17
	;;#ASMEND
	;;#ASMSTART
	v_dot2_f32_f16 v17, v3, v35, v17
	;;#ASMEND
	;;#ASMSTART
	v_dot2_f32_f16 v17, v4, v36, v17
	;;#ASMEND
	;;#ASMSTART
	v_dot2_f32_f16 v17, v5, v37, v17
	;;#ASMEND
	s_wait_dscnt 0x0
	;;#ASMSTART
	v_dot2_f32_f16 v16, v2, v38, v16
	;;#ASMEND
	;;#ASMSTART
	v_dot2_f32_f16 v16, v3, v39, v16
	;;#ASMEND
	;;#ASMSTART
	v_dot2_f32_f16 v16, v4, v40, v16
	;;#ASMEND
	;;#ASMSTART
	v_dot2_f32_f16 v16, v5, v41, v16
	;;#ASMEND
	ds_load_b128 v[2:5], v32 offset:16
	ds_load_b128 v[34:37], v31 offset:4624
	ds_load_b128 v[38:41], v31 offset:4752
	s_wait_dscnt 0x1
	;;#ASMSTART
	v_dot2_f32_f16 v17, v2, v34, v17
	;;#ASMEND
	;;#ASMSTART
	v_dot2_f32_f16 v17, v3, v35, v17
	;;#ASMEND
	;;#ASMSTART
	v_dot2_f32_f16 v17, v4, v36, v17
	;;#ASMEND
	;;#ASMSTART
	v_dot2_f32_f16 v17, v5, v37, v17
	;;#ASMEND
	s_wait_dscnt 0x0
	;;#ASMSTART
	v_dot2_f32_f16 v16, v2, v38, v16
	;;#ASMEND
	;;#ASMSTART
	v_dot2_f32_f16 v16, v3, v39, v16
	;;#ASMEND
	;;#ASMSTART
	v_dot2_f32_f16 v16, v4, v40, v16
	;;#ASMEND
	;;#ASMSTART
	v_dot2_f32_f16 v16, v5, v41, v16
	;;#ASMEND
	ds_load_b128 v[2:5], v32 offset:32
	ds_load_b128 v[34:37], v31 offset:4640
	ds_load_b128 v[38:41], v31 offset:4768
	;; [unrolled: 29-line block ×7, first 2 shown]
	s_wait_dscnt 0x1
	;;#ASMSTART
	v_dot2_f32_f16 v17, v34, v38, v17
	;;#ASMEND
	v_dual_mov_b32 v2, 0 :: v_dual_add_nc_u32 v3, s24, v21
	s_wait_alu 0xfffe
	v_cndmask_b32_e64 v31, 0, 1, s11
	;;#ASMSTART
	v_dot2_f32_f16 v17, v35, v39, v17
	;;#ASMEND
	;;#ASMSTART
	v_dot2_f32_f16 v17, v36, v40, v17
	;;#ASMEND
	;; [unrolled: 3-line block ×3, first 2 shown]
	s_wait_dscnt 0x0
	;;#ASMSTART
	v_dot2_f32_f16 v16, v34, v42, v16
	;;#ASMEND
	;;#ASMSTART
	v_dot2_f32_f16 v16, v35, v43, v16
	;;#ASMEND
	;; [unrolled: 3-line block ×4, first 2 shown]
	s_and_saveexec_b32 s7, s6
	s_cbranch_execz .LBB65_24
; %bb.21:
	s_and_not1_b32 vcc_lo, exec_lo, s11
	s_wait_alu 0xfffe
	s_cbranch_vccnz .LBB65_23
; %bb.22:
	v_mad_co_u64_u32 v[4:5], null, v30, s37, v[3:4]
	s_delay_alu instid0(VALU_DEP_1) | instskip(NEXT) | instid1(VALU_DEP_1)
	v_ashrrev_i32_e32 v5, 31, v4
	v_lshlrev_b64_e32 v[4:5], 1, v[4:5]
	s_delay_alu instid0(VALU_DEP_1) | instskip(SKIP_1) | instid1(VALU_DEP_2)
	v_add_co_u32 v4, vcc_lo, s34, v4
	s_wait_alu 0xfffd
	v_add_co_ci_u32_e64 v5, null, s35, v5, vcc_lo
	global_load_u16 v2, v[4:5], off
	s_wait_loadcnt 0x0
	v_cvt_f32_f16_e32 v2, v2
	s_delay_alu instid0(VALU_DEP_1)
	v_mul_f32_e32 v2, v28, v2
.LBB65_23:
	s_delay_alu instid0(VALU_DEP_1) | instskip(NEXT) | instid1(VALU_DEP_1)
	v_dual_add_f32 v17, v17, v2 :: v_dual_max_num_f32 v4, v0, v0
	v_add_f32_e32 v2, 0x40051340, v17
	s_delay_alu instid0(VALU_DEP_1)
	v_max_num_f32_e32 v6, v4, v2
.LBB65_24:
	s_wait_alu 0xfffe
	s_or_b32 exec_lo, exec_lo, s7
	v_xor_b32_e32 v5, 16, v23
	v_xor_b32_e32 v4, 8, v23
	s_delay_alu instid0(VALU_DEP_2) | instskip(SKIP_2) | instid1(VALU_DEP_3)
	v_cmp_gt_i32_e32 vcc_lo, 32, v5
	s_wait_alu 0xfffd
	v_cndmask_b32_e32 v2, v23, v5, vcc_lo
	v_cmp_gt_i32_e32 vcc_lo, 32, v4
	s_wait_alu 0xfffd
	s_delay_alu instid0(VALU_DEP_2) | instskip(SKIP_4) | instid1(VALU_DEP_1)
	v_dual_cndmask_b32 v7, v23, v4 :: v_dual_lshlrev_b32 v30, 2, v2
	ds_bpermute_b32 v2, v30, v6
	v_max_num_f32_e32 v6, v6, v6
	s_wait_dscnt 0x0
	v_max_num_f32_e32 v2, v2, v2
	v_max_num_f32_e32 v2, v6, v2
	v_xor_b32_e32 v6, 4, v23
	s_delay_alu instid0(VALU_DEP_1)
	v_cmp_gt_i32_e32 vcc_lo, 32, v6
	s_wait_alu 0xfffd
	v_dual_cndmask_b32 v9, v23, v6 :: v_dual_lshlrev_b32 v32, 2, v7
	ds_bpermute_b32 v7, v32, v2
	s_wait_dscnt 0x0
	v_dual_max_num_f32 v7, v7, v7 :: v_dual_lshlrev_b32 v34, 2, v9
	s_delay_alu instid0(VALU_DEP_1)
	v_max_num_f32_e32 v2, v2, v7
	v_xor_b32_e32 v7, 2, v23
	ds_bpermute_b32 v9, v34, v2
	v_cmp_gt_i32_e32 vcc_lo, 32, v7
	s_wait_alu 0xfffd
	v_cndmask_b32_e32 v10, v23, v7, vcc_lo
	s_delay_alu instid0(VALU_DEP_1) | instskip(SKIP_1) | instid1(VALU_DEP_1)
	v_lshlrev_b32_e32 v35, 2, v10
	v_xor_b32_e32 v10, 1, v23
	v_cmp_gt_i32_e32 vcc_lo, 32, v10
	s_wait_dscnt 0x0
	s_wait_alu 0xfffd
	v_dual_max_num_f32 v9, v9, v9 :: v_dual_cndmask_b32 v36, v23, v10
	s_delay_alu instid0(VALU_DEP_1) | instskip(NEXT) | instid1(VALU_DEP_2)
	v_max_num_f32_e32 v2, v2, v9
	v_lshlrev_b32_e32 v36, 2, v36
	ds_bpermute_b32 v9, v35, v2
	s_wait_dscnt 0x0
	v_max_num_f32_e32 v9, v9, v9
	s_delay_alu instid0(VALU_DEP_1) | instskip(SKIP_3) | instid1(VALU_DEP_1)
	v_max_num_f32_e32 v2, v2, v9
	ds_bpermute_b32 v9, v36, v2
	s_wait_dscnt 0x0
	v_max_num_f32_e32 v37, v9, v9
	v_dual_mov_b32 v9, 32 :: v_dual_max_num_f32 v2, v2, v37
	v_mov_b32_e32 v37, v1
	s_and_saveexec_b32 s7, s6
	s_cbranch_execz .LBB65_29
; %bb.25:
	v_cmp_ne_u32_e32 vcc_lo, 1, v31
	s_cbranch_vccnz .LBB65_27
; %bb.26:
	v_or_b32_e32 v31, 1, v22
	s_delay_alu instid0(VALU_DEP_1) | instskip(NEXT) | instid1(VALU_DEP_1)
	v_mul_hi_u32 v37, s20, v31
	v_add_nc_u32_e32 v37, v31, v37
	s_delay_alu instid0(VALU_DEP_1) | instskip(NEXT) | instid1(VALU_DEP_1)
	v_lshrrev_b32_e32 v37, s21, v37
	v_mul_lo_u32 v37, v37, s22
	s_delay_alu instid0(VALU_DEP_1) | instskip(NEXT) | instid1(VALU_DEP_1)
	v_sub_nc_u32_e32 v31, v31, v37
	v_mad_co_u64_u32 v[37:38], null, v31, s37, v[3:4]
	s_delay_alu instid0(VALU_DEP_1) | instskip(NEXT) | instid1(VALU_DEP_1)
	v_ashrrev_i32_e32 v38, 31, v37
	v_lshlrev_b64_e32 v[37:38], 1, v[37:38]
	s_delay_alu instid0(VALU_DEP_1) | instskip(SKIP_1) | instid1(VALU_DEP_2)
	v_add_co_u32 v37, vcc_lo, s34, v37
	s_wait_alu 0xfffd
	v_add_co_ci_u32_e64 v38, null, s35, v38, vcc_lo
	global_load_u16 v3, v[37:38], off
	s_wait_loadcnt 0x0
	v_cvt_f32_f16_e32 v3, v3
	s_delay_alu instid0(VALU_DEP_1)
	v_mul_f32_e32 v3, v28, v3
	s_branch .LBB65_28
.LBB65_27:
	v_mov_b32_e32 v3, 0
.LBB65_28:
	s_delay_alu instid0(VALU_DEP_1) | instskip(NEXT) | instid1(VALU_DEP_1)
	v_add_f32_e32 v16, v16, v3
	v_dual_max_num_f32 v28, v1, v1 :: v_dual_add_f32 v3, 0x40051340, v16
	s_delay_alu instid0(VALU_DEP_1)
	v_max_num_f32_e32 v37, v28, v3
.LBB65_29:
	s_wait_alu 0xfffe
	s_or_b32 exec_lo, exec_lo, s7
	ds_bpermute_b32 v3, v30, v37
	v_max_num_f32_e32 v28, v37, v37
	s_mov_b32 s36, 0
	v_mul_lo_u32 v38, s10, v12
	s_wait_alu 0xfffe
	s_mov_b32 s37, s36
	s_mov_b32 s38, s36
	s_mov_b64 s[6:7], src_private_base
	s_ashr_i32 s11, s10, 31
	s_wait_loadcnt_dscnt 0x0
	s_wait_alu 0xfffe
	s_mul_u64 s[20:21], s[24:25], s[10:11]
	s_barrier_signal -1
	v_ashrrev_i32_e32 v39, 31, v38
	s_wait_alu 0xfffe
	s_lshl_b64 s[20:21], s[20:21], 2
	s_barrier_wait -1
	s_wait_alu 0xfffe
	s_add_nc_u64 s[14:15], s[14:15], s[20:21]
	global_inv scope:SCOPE_SE
	v_sub_f32_e32 v0, v0, v2
	v_lshl_or_b32 v12, v12, 7, v11
	v_lshl_or_b32 v14, v14, 7, v11
	v_dual_max_num_f32 v3, v3, v3 :: v_dual_add_nc_u32 v88, 0xc00, v26
	v_lshlrev_b32_e32 v27, 7, v27
	v_mov_b32_e32 v41, 0
	s_delay_alu instid0(VALU_DEP_3) | instskip(SKIP_3) | instid1(VALU_DEP_1)
	v_max_num_f32_e32 v3, v28, v3
	ds_bpermute_b32 v28, v32, v3
	s_wait_dscnt 0x0
	v_max_num_f32_e32 v28, v28, v28
	v_max_num_f32_e32 v3, v3, v28
	ds_bpermute_b32 v28, v34, v3
	s_wait_dscnt 0x0
	v_max_num_f32_e32 v28, v28, v28
	s_delay_alu instid0(VALU_DEP_1) | instskip(SKIP_3) | instid1(VALU_DEP_1)
	v_max_num_f32_e32 v3, v3, v28
	ds_bpermute_b32 v28, v35, v3
	s_wait_dscnt 0x0
	v_max_num_f32_e32 v28, v28, v28
	v_max_num_f32_e32 v3, v3, v28
	ds_bpermute_b32 v28, v36, v3
	s_wait_dscnt 0x0
	v_max_num_f32_e32 v28, v28, v28
	s_delay_alu instid0(VALU_DEP_1) | instskip(NEXT) | instid1(VALU_DEP_1)
	v_dual_max_num_f32 v3, v3, v28 :: v_dual_sub_f32 v28, v17, v2
	v_sub_f32_e32 v30, v16, v3
	s_delay_alu instid0(VALU_DEP_2) | instskip(SKIP_1) | instid1(VALU_DEP_2)
	v_mul_f32_e32 v16, 0x3fb8aa3b, v28
	v_cmp_ngt_f32_e32 vcc_lo, 0xc2ce8ed0, v28
	v_fma_f32 v31, 0x3fb8aa3b, v28, -v16
	v_rndne_f32_e32 v32, v16
	s_delay_alu instid0(VALU_DEP_2) | instskip(NEXT) | instid1(VALU_DEP_2)
	v_fmac_f32_e32 v31, 0x32a5705f, v28
	v_dual_mul_f32 v17, 0x3fb8aa3b, v30 :: v_dual_sub_f32 v16, v16, v32
	v_cmp_nlt_f32_e64 s6, 0x42b17218, v30
	s_delay_alu instid0(VALU_DEP_2) | instskip(SKIP_1) | instid1(VALU_DEP_4)
	v_fma_f32 v34, 0x3fb8aa3b, v30, -v17
	v_rndne_f32_e32 v35, v17
	v_add_f32_e32 v16, v16, v31
	v_cvt_i32_f32_e32 v31, v32
	s_delay_alu instid0(VALU_DEP_3) | instskip(NEXT) | instid1(VALU_DEP_3)
	v_dual_fmac_f32 v34, 0x32a5705f, v30 :: v_dual_sub_f32 v17, v17, v35
	v_exp_f32_e32 v16, v16
	v_cvt_i32_f32_e32 v32, v35
	s_delay_alu instid0(VALU_DEP_2) | instskip(NEXT) | instid1(VALU_DEP_1)
	v_add_f32_e32 v17, v17, v34
	v_exp_f32_e32 v17, v17
	s_delay_alu instid0(TRANS32_DEP_2) | instskip(NEXT) | instid1(TRANS32_DEP_1)
	v_ldexp_f32 v16, v16, v31
	v_ldexp_f32 v31, v17, v32
	s_wait_alu 0xfffd
	s_delay_alu instid0(VALU_DEP_2)
	v_cndmask_b32_e32 v32, 0, v16, vcc_lo
	v_cmp_ngt_f32_e32 vcc_lo, 0xc2ce8ed0, v30
	v_lshlrev_b64_e32 v[16:17], 2, v[38:39]
	v_add3_u32 v39, 0x1400, v27, v26
	s_wait_alu 0xfffd
	v_cndmask_b32_e32 v31, 0, v31, vcc_lo
	v_cmp_nlt_f32_e32 vcc_lo, 0x42b17218, v28
	s_wait_alu 0xf1ff
	s_delay_alu instid0(VALU_DEP_2)
	v_cndmask_b32_e64 v30, 0x7f800000, v31, s6
	s_wait_alu 0xfffd
	v_cndmask_b32_e32 v28, 0x7f800000, v32, vcc_lo
	v_cmp_gt_u32_e32 vcc_lo, s9, v21
	v_add_co_u32 v31, s6, s14, v16
	s_wait_alu 0xf1ff
	v_add_co_ci_u32_e64 v32, null, s15, v17, s6
	s_wait_alu 0xfffd
	v_dual_cndmask_b32 v16, 0, v28 :: v_dual_cndmask_b32 v17, 0, v30
	v_add_co_u32 v28, vcc_lo, v31, v11
	s_wait_alu 0xfffd
	v_add_co_ci_u32_e64 v34, null, 0, v32, vcc_lo
	v_mov_b32_e32 v30, s36
	v_cvt_f16_f32_e32 v37, v17
	v_mov_b32_e32 v31, s37
	v_cvt_f16_f32_e32 v36, v16
	v_mov_b32_e32 v32, s38
	v_cndmask_b32_e64 v35, s7, v34, s2
	v_cndmask_b32_e64 v34, 0, v28, s2
	s_clause 0x1
	scratch_store_b32 off, v41, off
	scratch_store_b96 off, v[30:32], off offset:4
	v_pack_b32_f16 v36, v36, v37
	s_lshl_b32 s2, s10, 3
	s_wait_alu 0xfffe
	v_dual_sub_f32 v1, v1, v3 :: v_dual_add_nc_u32 v38, s2, v38
	ds_store_b32 v39, v36
	flat_load_b128 v[34:37], v[34:35]
	s_clause 0x1
	scratch_store_b32 off, v41, off
	scratch_store_b96 off, v[30:32], off offset:4
	v_ashrrev_i32_e32 v39, 31, v38
	s_delay_alu instid0(VALU_DEP_1) | instskip(SKIP_1) | instid1(VALU_DEP_2)
	v_lshlrev_b64_e32 v[39:40], 2, v[38:39]
	v_add_nc_u32_e32 v38, s2, v38
	v_add_co_u32 v28, vcc_lo, s14, v39
	s_wait_alu 0xfffd
	s_delay_alu instid0(VALU_DEP_3) | instskip(NEXT) | instid1(VALU_DEP_2)
	v_add_co_ci_u32_e64 v39, null, s15, v40, vcc_lo
	v_add_co_u32 v28, vcc_lo, v28, v11
	s_wait_alu 0xfffd
	s_delay_alu instid0(VALU_DEP_2) | instskip(NEXT) | instid1(VALU_DEP_1)
	v_add_co_ci_u32_e64 v39, null, 0, v39, vcc_lo
	v_cndmask_b32_e64 v40, s7, v39, s3
	s_delay_alu instid0(VALU_DEP_3)
	v_cndmask_b32_e64 v39, 0, v28, s3
	s_wait_loadcnt_dscnt 0x0
	ds_store_b128 v12, v[34:37]
	flat_load_b128 v[34:37], v[39:40]
	v_ashrrev_i32_e32 v39, 31, v38
	s_clause 0x1
	scratch_store_b32 off, v41, off
	scratch_store_b96 off, v[30:32], off offset:4
	v_lshlrev_b64_e32 v[39:40], 2, v[38:39]
	v_add_nc_u32_e32 v38, s2, v38
	s_delay_alu instid0(VALU_DEP_2) | instskip(SKIP_1) | instid1(VALU_DEP_3)
	v_add_co_u32 v12, vcc_lo, s14, v39
	s_wait_alu 0xfffd
	v_add_co_ci_u32_e64 v28, null, s15, v40, vcc_lo
	s_delay_alu instid0(VALU_DEP_2) | instskip(SKIP_1) | instid1(VALU_DEP_2)
	v_add_co_u32 v12, vcc_lo, v12, v11
	s_wait_alu 0xfffd
	v_add_co_ci_u32_e64 v28, null, 0, v28, vcc_lo
	s_delay_alu instid0(VALU_DEP_2) | instskip(NEXT) | instid1(VALU_DEP_2)
	v_cndmask_b32_e64 v39, 0, v12, s4
	v_cndmask_b32_e64 v40, s7, v28, s4
	v_lshl_or_b32 v28, v15, 7, v11
	s_wait_loadcnt_dscnt 0x0
	ds_store_b128 v14, v[34:37]
	flat_load_b128 v[34:37], v[39:40]
	v_ashrrev_i32_e32 v39, 31, v38
	s_clause 0x1
	scratch_store_b32 off, v41, off
	scratch_store_b96 off, v[30:32], off offset:4
	v_lshlrev_b64_e32 v[38:39], 2, v[38:39]
	s_delay_alu instid0(VALU_DEP_1) | instskip(SKIP_1) | instid1(VALU_DEP_2)
	v_add_co_u32 v12, vcc_lo, s14, v38
	s_wait_alu 0xfffd
	v_add_co_ci_u32_e64 v14, null, s15, v39, vcc_lo
	s_delay_alu instid0(VALU_DEP_2) | instskip(SKIP_1) | instid1(VALU_DEP_2)
	v_add_co_u32 v12, vcc_lo, v12, v11
	s_wait_alu 0xfffd
	v_add_co_ci_u32_e64 v14, null, 0, v14, vcc_lo
	v_cmp_ngt_f32_e32 vcc_lo, 0xc2ce8ed0, v0
	v_lshl_or_b32 v11, v13, 7, v11
	s_delay_alu instid0(VALU_DEP_3)
	v_cndmask_b32_e64 v15, s7, v14, s5
	v_cndmask_b32_e64 v14, 0, v12, s5
	v_mul_f32_e32 v12, 0x3fb8aa3b, v0
	s_wait_loadcnt_dscnt 0x0
	ds_store_b128 v28, v[34:37]
	flat_load_b128 v[34:37], v[14:15]
	v_mul_f32_e32 v14, 0x3fb8aa3b, v1
	v_fma_f32 v15, 0x3fb8aa3b, v0, -v12
	v_rndne_f32_e32 v28, v12
	s_delay_alu instid0(VALU_DEP_3) | instskip(SKIP_1) | instid1(VALU_DEP_4)
	v_fma_f32 v30, 0x3fb8aa3b, v1, -v14
	v_rndne_f32_e32 v31, v14
	v_fmac_f32_e32 v15, 0x32a5705f, v0
	s_delay_alu instid0(VALU_DEP_4) | instskip(NEXT) | instid1(VALU_DEP_4)
	v_sub_f32_e32 v12, v12, v28
	v_fmac_f32_e32 v30, 0x32a5705f, v1
	s_delay_alu instid0(VALU_DEP_4) | instskip(NEXT) | instid1(VALU_DEP_3)
	v_sub_f32_e32 v14, v14, v31
	v_add_f32_e32 v12, v12, v15
	v_cvt_i32_f32_e32 v15, v28
	v_cvt_i32_f32_e32 v28, v31
	s_delay_alu instid0(VALU_DEP_4) | instskip(NEXT) | instid1(VALU_DEP_4)
	v_add_f32_e32 v14, v14, v30
	v_exp_f32_e32 v12, v12
	s_delay_alu instid0(VALU_DEP_1) | instskip(NEXT) | instid1(TRANS32_DEP_2)
	v_exp_f32_e32 v14, v14
	v_ldexp_f32 v12, v12, v15
	v_add_nc_u32_e32 v15, 0x400, v26
	s_delay_alu instid0(TRANS32_DEP_1)
	v_ldexp_f32 v14, v14, v28
	v_add_nc_u32_e32 v28, 0x800, v26
	s_wait_alu 0xfffd
	v_cndmask_b32_e32 v12, 0, v12, vcc_lo
	v_cmp_ngt_f32_e32 vcc_lo, 0xc2ce8ed0, v1
	s_wait_alu 0xfffd
	v_cndmask_b32_e32 v14, 0, v14, vcc_lo
	v_cmp_nlt_f32_e32 vcc_lo, 0x42b17218, v0
	s_wait_alu 0xfffd
	v_cndmask_b32_e32 v12, 0x7f800000, v12, vcc_lo
	v_cmp_nlt_f32_e32 vcc_lo, 0x42b17218, v1
	s_delay_alu instid0(VALU_DEP_2) | instskip(SKIP_2) | instid1(VALU_DEP_2)
	v_cvt_f16_f32_e32 v1, v12
	s_wait_alu 0xfffd
	v_cndmask_b32_e32 v0, 0x7f800000, v14, vcc_lo
	v_dual_fmac_f32 v16, v33, v12 :: v_dual_and_b32 v1, 0xffff, v1
	s_delay_alu instid0(VALU_DEP_2) | instskip(SKIP_1) | instid1(VALU_DEP_3)
	v_cvt_f16_f32_e32 v14, v0
	v_fmac_f32_e32 v17, v29, v0
	v_mul_u32_u24_e32 v1, 0x10001, v1
	s_delay_alu instid0(VALU_DEP_3) | instskip(NEXT) | instid1(VALU_DEP_3)
	v_and_b32_e32 v13, 0xffff, v14
	v_mov_b32_e32 v29, v17
	s_delay_alu instid0(VALU_DEP_2)
	v_mul_u32_u24_e32 v89, 0x10001, v13
	s_wait_loadcnt_dscnt 0x0
	ds_store_b128 v11, v[34:37]
	s_wait_storecnt_dscnt 0x0
	s_barrier_signal -1
	s_barrier_wait -1
	global_inv scope:SCOPE_SE
	ds_load_2addr_b32 v[58:59], v26 offset1:32
	ds_load_b128 v[11:14], v27 offset:5120
	ds_load_b128 v[30:33], v27 offset:5136
	;; [unrolled: 1-line block ×4, first 2 shown]
	ds_load_2addr_b32 v[60:61], v26 offset0:64 offset1:96
	ds_load_2addr_b32 v[62:63], v26 offset0:128 offset1:160
	ds_load_2addr_b32 v[64:65], v26 offset0:192 offset1:224
	ds_load_2addr_b32 v[66:67], v15 offset1:32
	ds_load_2addr_b32 v[68:69], v15 offset0:64 offset1:96
	ds_load_2addr_b32 v[70:71], v15 offset0:128 offset1:160
	;; [unrolled: 1-line block ×3, first 2 shown]
	ds_load_2addr_b32 v[74:75], v28 offset1:32
	ds_load_2addr_b32 v[76:77], v28 offset0:64 offset1:96
	ds_load_2addr_b32 v[78:79], v28 offset0:128 offset1:160
	ds_load_b128 v[42:45], v27 offset:5184
	ds_load_b128 v[46:49], v27 offset:5200
	ds_load_2addr_b32 v[80:81], v28 offset0:192 offset1:224
	ds_load_2addr_b32 v[82:83], v88 offset1:32
	ds_load_2addr_b32 v[84:85], v88 offset0:64 offset1:96
	ds_load_2addr_b32 v[86:87], v88 offset0:128 offset1:160
	ds_load_b128 v[50:53], v27 offset:5216
	ds_load_b128 v[54:57], v27 offset:5232
	ds_load_2addr_b32 v[26:27], v88 offset0:192 offset1:224
	s_wait_dscnt 0x16
	v_lshrrev_b32_e32 v15, 16, v11
	v_and_b32_e32 v11, 0xffff, v11
	v_lshrrev_b32_e32 v28, 16, v12
	v_and_b32_e32 v12, 0xffff, v12
	v_lshrrev_b32_e32 v88, 16, v13
	v_mul_u32_u24_e32 v15, 0x10001, v15
	v_mul_u32_u24_e32 v11, 0x10001, v11
	v_and_b32_e32 v13, 0xffff, v13
	v_mul_u32_u24_e32 v12, 0x10001, v12
	v_mul_u32_u24_e32 v28, 0x10001, v28
	v_pk_mul_f16 v15, v58, v15
	v_pk_mul_f16 v11, v58, v11
	v_lshrrev_b32_e32 v90, 16, v14
	v_and_b32_e32 v14, 0xffff, v14
	v_mul_u32_u24_e32 v13, 0x10001, v13
	s_wait_dscnt 0x15
	v_lshrrev_b32_e32 v91, 16, v30
	v_pk_fma_f16 v1, v25, v1, v11
	v_pk_fma_f16 v11, v24, v89, v15
	v_mul_u32_u24_e32 v24, 0x10001, v88
	v_and_b32_e32 v30, 0xffff, v30
	v_mul_u32_u24_e32 v14, 0x10001, v14
	v_pk_fma_f16 v1, v59, v12, v1
	v_pk_fma_f16 v11, v59, v28, v11
	v_mul_u32_u24_e32 v25, 0x10001, v90
	v_lshrrev_b32_e32 v92, 16, v31
	v_and_b32_e32 v31, 0xffff, v31
	s_wait_dscnt 0x12
	v_pk_fma_f16 v1, v60, v13, v1
	v_pk_fma_f16 v11, v60, v24, v11
	v_mul_u32_u24_e32 v24, 0x10001, v30
	v_mul_u32_u24_e32 v28, 0x10001, v91
	v_lshrrev_b32_e32 v93, 16, v32
	v_pk_fma_f16 v1, v61, v14, v1
	v_pk_fma_f16 v11, v61, v25, v11
	v_and_b32_e32 v32, 0xffff, v32
	v_mul_u32_u24_e32 v25, 0x10001, v31
	v_mul_u32_u24_e32 v30, 0x10001, v92
	s_wait_dscnt 0x11
	v_pk_fma_f16 v1, v62, v24, v1
	v_pk_fma_f16 v11, v62, v28, v11
	v_lshrrev_b32_e32 v94, 16, v33
	v_and_b32_e32 v33, 0xffff, v33
	v_mul_u32_u24_e32 v28, 0x10001, v32
	v_pk_fma_f16 v1, v63, v25, v1
	v_mul_u32_u24_e32 v31, 0x10001, v93
	v_pk_fma_f16 v11, v63, v30, v11
	v_lshrrev_b32_e32 v95, 16, v34
	v_and_b32_e32 v34, 0xffff, v34
	v_mul_u32_u24_e32 v30, 0x10001, v33
	s_wait_dscnt 0x10
	v_pk_fma_f16 v1, v64, v28, v1
	v_mul_u32_u24_e32 v32, 0x10001, v94
	v_pk_fma_f16 v11, v64, v31, v11
	v_lshrrev_b32_e32 v96, 16, v35
	v_and_b32_e32 v35, 0xffff, v35
	v_mul_u32_u24_e32 v31, 0x10001, v34
	v_pk_fma_f16 v1, v65, v30, v1
	v_mul_u32_u24_e32 v33, 0x10001, v95
	v_pk_fma_f16 v11, v65, v32, v11
	v_lshrrev_b32_e32 v97, 16, v36
	v_and_b32_e32 v36, 0xffff, v36
	v_mul_u32_u24_e32 v32, 0x10001, v35
	s_wait_dscnt 0xf
	v_pk_fma_f16 v1, v66, v31, v1
	v_mul_u32_u24_e32 v34, 0x10001, v96
	;; [unrolled: 13-line block ×4, first 2 shown]
	v_pk_fma_f16 v11, v70, v37, v11
	v_lshrrev_b32_e32 v102, 16, v41
	v_and_b32_e32 v41, 0xffff, v41
	v_mul_u32_u24_e32 v37, 0x10001, v40
	v_pk_fma_f16 v1, v71, v36, v1
	v_mul_u32_u24_e32 v39, 0x10001, v101
	v_pk_fma_f16 v11, v71, v38, v11
	s_wait_dscnt 0x8
	v_lshrrev_b32_e32 v103, 16, v42
	v_and_b32_e32 v42, 0xffff, v42
	v_mul_u32_u24_e32 v38, 0x10001, v41
	v_pk_fma_f16 v1, v72, v37, v1
	v_mul_u32_u24_e32 v40, 0x10001, v102
	v_pk_fma_f16 v11, v72, v39, v11
	v_and_b32_e32 v15, 0xffff, v43
	v_mul_u32_u24_e32 v39, 0x10001, v42
	v_pk_fma_f16 v1, v73, v38, v1
	v_lshrrev_b32_e32 v58, 16, v43
	v_mul_u32_u24_e32 v41, 0x10001, v103
	v_pk_fma_f16 v11, v73, v40, v11
	v_and_b32_e32 v13, 0xffff, v44
	v_mul_u32_u24_e32 v15, 0x10001, v15
	v_pk_fma_f16 v1, v74, v39, v1
	v_lshrrev_b32_e32 v12, 16, v44
	v_mul_u32_u24_e32 v40, 0x10001, v58
	v_pk_fma_f16 v11, v74, v41, v11
	v_and_b32_e32 v24, 0xffff, v45
	v_mul_u32_u24_e32 v13, 0x10001, v13
	v_pk_fma_f16 v1, v75, v15, v1
	v_lshrrev_b32_e32 v14, 16, v45
	v_mul_u32_u24_e32 v12, 0x10001, v12
	v_pk_fma_f16 v11, v75, v40, v11
	s_wait_dscnt 0x7
	v_and_b32_e32 v28, 0xffff, v46
	v_mul_u32_u24_e32 v24, 0x10001, v24
	v_pk_fma_f16 v1, v76, v13, v1
	v_lshrrev_b32_e32 v25, 16, v46
	v_mul_u32_u24_e32 v14, 0x10001, v14
	v_pk_fma_f16 v11, v76, v12, v11
	v_and_b32_e32 v31, 0xffff, v47
	v_mul_u32_u24_e32 v13, 0x10001, v28
	v_pk_fma_f16 v1, v77, v24, v1
	v_lshrrev_b32_e32 v30, 16, v47
	v_mul_u32_u24_e32 v25, 0x10001, v25
	v_pk_fma_f16 v11, v77, v14, v11
	v_and_b32_e32 v33, 0xffff, v48
	v_mul_u32_u24_e32 v24, 0x10001, v31
	v_pk_fma_f16 v1, v78, v13, v1
	v_lshrrev_b32_e32 v32, 16, v48
	v_mul_u32_u24_e32 v28, 0x10001, v30
	v_pk_fma_f16 v11, v78, v25, v11
	v_and_b32_e32 v35, 0xffff, v49
	v_mul_u32_u24_e32 v25, 0x10001, v33
	v_pk_fma_f16 v1, v79, v24, v1
	v_lshrrev_b32_e32 v34, 16, v49
	v_mul_u32_u24_e32 v30, 0x10001, v32
	v_pk_fma_f16 v11, v79, v28, v11
	s_wait_dscnt 0x2
	v_and_b32_e32 v37, 0xffff, v50
	v_mul_u32_u24_e32 v28, 0x10001, v35
	v_pk_fma_f16 v1, v80, v25, v1
	v_lshrrev_b32_e32 v36, 16, v50
	;; [unrolled: 25-line block ×3, first 2 shown]
	v_mul_u32_u24_e32 v14, 0x10001, v14
	v_pk_fma_f16 v11, v84, v15, v11
	v_and_b32_e32 v30, 0xffff, v55
	v_mul_u32_u24_e32 v15, 0x10001, v25
	v_pk_fma_f16 v1, v85, v13, v1
	v_lshrrev_b32_e32 v28, 16, v55
	v_mul_u32_u24_e32 v24, 0x10001, v24
	v_pk_fma_f16 v11, v85, v14, v11
	v_and_b32_e32 v12, 0xffff, v56
	v_mul_u32_u24_e32 v14, 0x10001, v30
	v_pk_fma_f16 v1, v86, v15, v1
	v_lshrrev_b32_e32 v31, 16, v56
	;; [unrolled: 6-line block ×3, first 2 shown]
	v_mul_u32_u24_e32 v24, 0x10001, v31
	v_pk_fma_f16 v11, v87, v25, v11
	v_mul_u32_u24_e32 v0, 0x10001, v15
	s_wait_dscnt 0x0
	v_pk_fma_f16 v1, v26, v12, v1
	v_mul_u32_u24_e32 v13, 0x10001, v13
	v_mov_b32_e32 v33, v16
	v_pk_fma_f16 v11, v26, v24, v11
	s_wait_loadcnt 0x0
	v_pk_fma_f16 v25, v27, v0, v1
	v_dual_mov_b32 v0, v2 :: v_dual_mov_b32 v1, v3
	s_delay_alu instid0(VALU_DEP_3)
	v_pk_fma_f16 v24, v27, v13, v11
	s_barrier_signal -1
	s_barrier_wait -1
	global_inv scope:SCOPE_SE
.LBB65_30:
	v_cmp_lt_i32_e32 vcc_lo, v5, v9
	s_cmp_eq_u64 s[12:13], 0
	s_cselect_b32 s2, -1, 0
	s_cmp_lg_u32 s8, 0
	s_wait_alu 0xfffd
	v_cndmask_b32_e32 v2, v23, v5, vcc_lo
	v_cmp_lt_i32_e32 vcc_lo, v4, v9
	s_cselect_b32 s3, -1, 0
	s_wait_alu 0xfffe
	s_or_b32 s2, s3, s2
	v_lshlrev_b32_e32 v2, 2, v2
	s_wait_alu 0xfffd
	v_cndmask_b32_e32 v4, v23, v4, vcc_lo
	v_cmp_lt_i32_e32 vcc_lo, v6, v9
	ds_bpermute_b32 v3, v2, v33
	v_lshlrev_b32_e32 v4, 2, v4
	s_wait_alu 0xfffd
	v_cndmask_b32_e32 v6, v23, v6, vcc_lo
	v_cmp_lt_i32_e32 vcc_lo, v7, v9
	s_wait_dscnt 0x0
	s_delay_alu instid0(VALU_DEP_2)
	v_dual_add_f32 v3, v33, v3 :: v_dual_lshlrev_b32 v6, 2, v6
	ds_bpermute_b32 v5, v4, v3
	s_wait_dscnt 0x0
	v_add_f32_e32 v3, v3, v5
	ds_bpermute_b32 v2, v2, v29
	s_wait_dscnt 0x0
	v_add_f32_e32 v2, v29, v2
	;; [unrolled: 3-line block ×3, first 2 shown]
	ds_bpermute_b32 v4, v6, v3
	ds_bpermute_b32 v5, v6, v2
	s_wait_alu 0xfffd
	v_cndmask_b32_e32 v6, v23, v7, vcc_lo
	v_cmp_lt_i32_e32 vcc_lo, v10, v9
	s_wait_dscnt 0x1
	s_delay_alu instid0(VALU_DEP_2)
	v_dual_add_f32 v3, v3, v4 :: v_dual_lshlrev_b32 v6, 2, v6
	s_wait_dscnt 0x0
	v_add_f32_e32 v2, v2, v5
	ds_bpermute_b32 v4, v6, v3
	ds_bpermute_b32 v5, v6, v2
	s_wait_alu 0xfffd
	v_cndmask_b32_e32 v6, v23, v10, vcc_lo
	s_wait_alu 0xfffe
	s_and_b32 vcc_lo, exec_lo, s2
	s_wait_dscnt 0x1
	s_delay_alu instid0(VALU_DEP_1)
	v_dual_add_f32 v3, v3, v4 :: v_dual_lshlrev_b32 v6, 2, v6
	s_wait_dscnt 0x0
	v_add_f32_e32 v4, v2, v5
	ds_bpermute_b32 v2, v6, v3
	ds_bpermute_b32 v5, v6, v4
	s_wait_dscnt 0x0
	v_dual_add_f32 v2, v3, v2 :: v_dual_add_f32 v3, v4, v5
	s_wait_alu 0xfffe
	s_cbranch_vccnz .LBB65_33
; %bb.31:
	v_dual_mov_b32 v4, 0 :: v_dual_max_num_f32 v5, v0, v0
	s_lshl_b64 s[2:3], s[28:29], 2
	s_wait_alu 0xfffe
	s_add_nc_u64 s[2:3], s[12:13], s[2:3]
	global_load_b32 v4, v4, s[2:3]
	s_wait_loadcnt 0x0
	v_max_num_f32_e32 v7, v4, v4
	s_delay_alu instid0(VALU_DEP_1) | instskip(NEXT) | instid1(VALU_DEP_1)
	v_max_num_f32_e32 v6, v5, v7
	v_dual_max_num_f32 v9, v1, v1 :: v_dual_sub_f32 v0, v0, v6
	v_sub_f32_e32 v5, v4, v6
	s_delay_alu instid0(VALU_DEP_2) | instskip(NEXT) | instid1(VALU_DEP_2)
	v_cmp_ngt_f32_e32 vcc_lo, 0xc2ce8ed0, v0
	v_dual_mul_f32 v10, 0x3fb8aa3b, v5 :: v_dual_max_num_f32 v7, v9, v7
	s_delay_alu instid0(VALU_DEP_1) | instskip(NEXT) | instid1(VALU_DEP_2)
	v_rndne_f32_e32 v16, v10
	v_dual_sub_f32 v9, v4, v7 :: v_dual_mul_f32 v4, 0x3fb8aa3b, v0
	s_delay_alu instid0(VALU_DEP_1) | instskip(NEXT) | instid1(VALU_DEP_2)
	v_mul_f32_e32 v12, 0x3fb8aa3b, v9
	v_rndne_f32_e32 v14, v4
	v_sub_f32_e32 v1, v1, v7
	v_fma_f32 v13, 0x3fb8aa3b, v0, -v4
	v_fma_f32 v15, 0x3fb8aa3b, v5, -v10
	v_rndne_f32_e32 v27, v12
	s_delay_alu instid0(VALU_DEP_4)
	v_dual_sub_f32 v4, v4, v14 :: v_dual_mul_f32 v11, 0x3fb8aa3b, v1
	v_sub_f32_e32 v10, v10, v16
	v_fma_f32 v26, 0x3fb8aa3b, v9, -v12
	v_fmac_f32_e32 v13, 0x32a5705f, v0
	v_dual_fmac_f32 v15, 0x32a5705f, v5 :: v_dual_sub_f32 v12, v12, v27
	v_fma_f32 v17, 0x3fb8aa3b, v1, -v11
	v_rndne_f32_e32 v23, v11
	v_fmac_f32_e32 v26, 0x32a5705f, v9
	v_add_f32_e32 v4, v4, v13
	s_delay_alu instid0(VALU_DEP_4) | instskip(NEXT) | instid1(VALU_DEP_3)
	v_dual_add_f32 v10, v10, v15 :: v_dual_fmac_f32 v17, 0x32a5705f, v1
	v_dual_sub_f32 v11, v11, v23 :: v_dual_add_f32 v12, v12, v26
	s_delay_alu instid0(VALU_DEP_3) | instskip(SKIP_2) | instid1(VALU_DEP_3)
	v_exp_f32_e32 v4, v4
	v_cvt_i32_f32_e32 v13, v14
	v_cvt_i32_f32_e32 v15, v23
	v_add_f32_e32 v11, v11, v17
	v_exp_f32_e32 v10, v10
	v_cvt_i32_f32_e32 v14, v16
	v_exp_f32_e32 v12, v12
	s_delay_alu instid0(VALU_DEP_2) | instskip(SKIP_2) | instid1(TRANS32_DEP_3)
	v_exp_f32_e32 v11, v11
	v_ldexp_f32 v4, v4, v13
	v_cvt_i32_f32_e32 v13, v27
	v_ldexp_f32 v10, v10, v14
	s_delay_alu instid0(TRANS32_DEP_2) | instid1(VALU_DEP_2)
	v_ldexp_f32 v12, v12, v13
	s_delay_alu instid0(TRANS32_DEP_1)
	v_ldexp_f32 v11, v11, v15
	s_wait_alu 0xfffd
	v_cndmask_b32_e32 v4, 0, v4, vcc_lo
	v_cmp_ngt_f32_e32 vcc_lo, 0xc2ce8ed0, v1
	s_wait_alu 0xfffd
	v_cndmask_b32_e32 v11, 0, v11, vcc_lo
	v_cmp_nlt_f32_e32 vcc_lo, 0x42b17218, v0
	s_wait_alu 0xfffd
	v_cndmask_b32_e32 v0, 0x7f800000, v4, vcc_lo
	v_cmp_nlt_f32_e32 vcc_lo, 0x42b17218, v1
	s_wait_alu 0xfffd
	v_cndmask_b32_e32 v1, 0x7f800000, v11, vcc_lo
	v_cmp_ngt_f32_e32 vcc_lo, 0xc2ce8ed0, v5
	s_wait_alu 0xfffd
	v_cndmask_b32_e32 v4, 0, v10, vcc_lo
	v_cmp_ngt_f32_e32 vcc_lo, 0xc2ce8ed0, v9
	s_wait_alu 0xfffd
	v_cndmask_b32_e32 v10, 0, v12, vcc_lo
	v_cmp_nlt_f32_e32 vcc_lo, 0x42b17218, v5
	s_wait_alu 0xfffd
	v_cndmask_b32_e32 v4, 0x7f800000, v4, vcc_lo
	v_cmp_nlt_f32_e32 vcc_lo, 0x42b17218, v9
	s_wait_alu 0xfffd
	v_cndmask_b32_e32 v5, 0x7f800000, v10, vcc_lo
	s_delay_alu instid0(VALU_DEP_1) | instskip(SKIP_3) | instid1(VALU_DEP_2)
	v_fmac_f32_e32 v5, v3, v1
	v_cvt_f16_f32_e32 v11, v0
	v_fmac_f32_e32 v4, v2, v0
	v_cvt_f16_f32_e32 v12, v1
	v_dual_mov_b32 v2, v4 :: v_dual_and_b32 v9, 0xffff, v11
	s_delay_alu instid0(VALU_DEP_2) | instskip(NEXT) | instid1(VALU_DEP_2)
	v_dual_mov_b32 v3, v5 :: v_dual_and_b32 v10, 0xffff, v12
	v_mul_u32_u24_e32 v0, 0x10001, v9
	s_delay_alu instid0(VALU_DEP_2) | instskip(NEXT) | instid1(VALU_DEP_2)
	v_mul_u32_u24_e32 v1, 0x10001, v10
	v_pk_mul_f16 v25, v25, v0
	s_delay_alu instid0(VALU_DEP_2)
	v_pk_mul_f16 v24, v24, v1
	v_dual_mov_b32 v0, v6 :: v_dual_mov_b32 v1, v7
	s_mov_b32 s2, exec_lo
	v_cmpx_gt_i32_e64 s22, v22
	s_cbranch_execnz .LBB65_34
.LBB65_32:
	s_nop 0
	s_sendmsg sendmsg(MSG_DEALLOC_VGPRS)
	s_endpgm
.LBB65_33:
	s_delay_alu instid0(VALU_DEP_1)
	v_dual_mov_b32 v4, v2 :: v_dual_mov_b32 v5, v3
	s_mov_b32 s2, exec_lo
	v_cmpx_gt_i32_e64 s22, v22
	s_cbranch_execz .LBB65_32
.LBB65_34:
	s_load_b32 s1, s[0:1], 0xd4
	v_mov_b32_e32 v9, 1.0
	s_wait_kmcnt 0x0
	s_cmp_lg_u32 s1, 1
	s_cselect_b32 s4, -1, 0
	s_cmp_eq_u32 s1, 1
	s_cselect_b32 s2, -1, 0
	s_wait_alu 0xfffe
	s_and_b32 vcc_lo, exec_lo, s4
	s_wait_alu 0xfffe
	s_cbranch_vccnz .LBB65_36
; %bb.35:
	v_div_scale_f32 v6, null, v4, v4, 1.0
	s_delay_alu instid0(VALU_DEP_1) | instskip(NEXT) | instid1(TRANS32_DEP_1)
	v_rcp_f32_e32 v7, v6
	v_fma_f32 v9, -v6, v7, 1.0
	s_delay_alu instid0(VALU_DEP_1) | instskip(SKIP_1) | instid1(VALU_DEP_1)
	v_fmac_f32_e32 v7, v9, v7
	v_div_scale_f32 v9, vcc_lo, 1.0, v4, 1.0
	v_mul_f32_e32 v10, v9, v7
	s_delay_alu instid0(VALU_DEP_1) | instskip(NEXT) | instid1(VALU_DEP_1)
	v_fma_f32 v11, -v6, v10, v9
	v_fmac_f32_e32 v10, v11, v7
	s_delay_alu instid0(VALU_DEP_1) | instskip(SKIP_1) | instid1(VALU_DEP_1)
	v_fma_f32 v6, -v6, v10, v9
	s_wait_alu 0xfffd
	v_div_fmas_f32 v6, v6, v7, v10
	s_delay_alu instid0(VALU_DEP_1)
	v_div_fixup_f32 v9, v6, v4, 1.0
.LBB65_36:
	s_mul_i32 s3, s30, s22
	v_cmp_eq_u32_e32 vcc_lo, 0, v21
	s_wait_alu 0xfffe
	s_add_co_i32 s3, s3, s33
	s_wait_alu 0xfffe
	v_dual_mov_b32 v11, 0 :: v_dual_add_nc_u32 v4, s3, v20
	s_delay_alu instid0(VALU_DEP_1) | instskip(SKIP_1) | instid1(VALU_DEP_1)
	v_mad_co_u64_u32 v[6:7], null, v4, s23, s[28:29]
	v_lshrrev_b32_e32 v4, 16, v25
	v_cvt_f32_f16_e32 v4, v4
	s_delay_alu instid0(VALU_DEP_3) | instskip(SKIP_1) | instid1(VALU_DEP_3)
	v_mad_co_u64_u32 v[6:7], null, s1, v6, s[8:9]
	v_cvt_f32_f16_e32 v7, v25
	v_mul_f32_e32 v13, v9, v4
	s_delay_alu instid0(VALU_DEP_2) | instskip(NEXT) | instid1(VALU_DEP_4)
	v_mul_f32_e32 v12, v9, v7
	v_lshl_add_u32 v10, v6, 6, v8
	s_delay_alu instid0(VALU_DEP_1) | instskip(NEXT) | instid1(VALU_DEP_1)
	v_lshlrev_b64_e32 v[10:11], 2, v[10:11]
	v_add_co_u32 v9, s0, s16, v10
	s_wait_alu 0xf1ff
	s_delay_alu instid0(VALU_DEP_2)
	v_add_co_ci_u32_e64 v10, null, s17, v11, s0
	s_and_b32 s0, vcc_lo, s4
	global_store_b64 v[9:10], v[12:13], off
	s_wait_alu 0xfffe
	s_and_saveexec_b32 s4, s0
	s_cbranch_execz .LBB65_38
; %bb.37:
	v_ashrrev_i32_e32 v7, 31, v6
	v_dual_mov_b32 v9, v0 :: v_dual_mov_b32 v10, v2
	s_delay_alu instid0(VALU_DEP_2) | instskip(NEXT) | instid1(VALU_DEP_1)
	v_lshlrev_b64_e32 v[6:7], 3, v[6:7]
	v_add_co_u32 v6, vcc_lo, s18, v6
	s_wait_alu 0xfffd
	s_delay_alu instid0(VALU_DEP_2)
	v_add_co_ci_u32_e64 v7, null, s19, v7, vcc_lo
	global_store_b64 v[6:7], v[9:10], off
.LBB65_38:
	s_wait_alu 0xfffe
	s_or_b32 exec_lo, exec_lo, s4
	v_cmp_gt_i32_e32 vcc_lo, s22, v19
	s_and_b32 exec_lo, exec_lo, vcc_lo
	s_cbranch_execz .LBB65_32
; %bb.39:
	v_mov_b32_e32 v0, 1.0
	s_and_not1_b32 vcc_lo, exec_lo, s2
	s_wait_alu 0xfffe
	s_cbranch_vccnz .LBB65_41
; %bb.40:
	v_div_scale_f32 v0, null, v5, v5, 1.0
	s_delay_alu instid0(VALU_DEP_1) | instskip(NEXT) | instid1(TRANS32_DEP_1)
	v_rcp_f32_e32 v2, v0
	v_fma_f32 v4, -v0, v2, 1.0
	s_delay_alu instid0(VALU_DEP_1) | instskip(SKIP_1) | instid1(VALU_DEP_1)
	v_fmac_f32_e32 v2, v4, v2
	v_div_scale_f32 v4, vcc_lo, 1.0, v5, 1.0
	v_mul_f32_e32 v6, v4, v2
	s_delay_alu instid0(VALU_DEP_1) | instskip(NEXT) | instid1(VALU_DEP_1)
	v_fma_f32 v7, -v0, v6, v4
	v_fmac_f32_e32 v6, v7, v2
	s_delay_alu instid0(VALU_DEP_1) | instskip(SKIP_1) | instid1(VALU_DEP_1)
	v_fma_f32 v0, -v0, v6, v4
	s_wait_alu 0xfffd
	v_div_fmas_f32 v0, v0, v2, v6
	s_delay_alu instid0(VALU_DEP_1)
	v_div_fixup_f32 v0, v0, v5, 1.0
.LBB65_41:
	v_cvt_f32_f16_e32 v7, v24
	v_add_nc_u32_e32 v2, s3, v18
	s_delay_alu instid0(VALU_DEP_2) | instskip(NEXT) | instid1(VALU_DEP_2)
	v_dual_mov_b32 v6, 0 :: v_dual_mul_f32 v7, v0, v7
	v_mad_co_u64_u32 v[4:5], null, v2, s23, s[28:29]
	v_lshrrev_b32_e32 v2, 16, v24
	s_delay_alu instid0(VALU_DEP_1) | instskip(NEXT) | instid1(VALU_DEP_3)
	v_cvt_f32_f16_e32 v2, v2
	v_mad_co_u64_u32 v[4:5], null, s1, v4, s[8:9]
	s_delay_alu instid0(VALU_DEP_1) | instskip(NEXT) | instid1(VALU_DEP_3)
	v_lshl_add_u32 v5, v4, 6, v8
	v_mul_f32_e32 v8, v0, v2
	s_delay_alu instid0(VALU_DEP_2) | instskip(NEXT) | instid1(VALU_DEP_1)
	v_lshlrev_b64_e32 v[5:6], 2, v[5:6]
	v_add_co_u32 v5, vcc_lo, s16, v5
	s_wait_alu 0xfffd
	s_delay_alu instid0(VALU_DEP_2)
	v_add_co_ci_u32_e64 v6, null, s17, v6, vcc_lo
	global_store_b64 v[5:6], v[7:8], off
	s_and_b32 exec_lo, exec_lo, s0
	s_cbranch_execz .LBB65_32
; %bb.42:
	v_ashrrev_i32_e32 v5, 31, v4
	v_mov_b32_e32 v2, v1
	s_delay_alu instid0(VALU_DEP_2) | instskip(NEXT) | instid1(VALU_DEP_1)
	v_lshlrev_b64_e32 v[4:5], 3, v[4:5]
	v_add_co_u32 v4, vcc_lo, s18, v4
	s_wait_alu 0xfffd
	s_delay_alu instid0(VALU_DEP_2)
	v_add_co_ci_u32_e64 v5, null, s19, v5, vcc_lo
	global_store_b64 v[4:5], v[2:3], off
	s_nop 0
	s_sendmsg sendmsg(MSG_DEALLOC_VGPRS)
	s_endpgm
	.section	.rodata,"a",@progbits
	.p2align	6, 0x0
	.amdhsa_kernel _ZL15flash_attn_tileILi64ELi64ELi4ELi1ELb0EEvPKcS1_S1_S1_S1_PKiPfP15HIP_vector_typeIfLj2EEffffjfiS5_IjLj3EEiiiiiiiiiiiliiliiiiil
		.amdhsa_group_segment_fixed_size 5376
		.amdhsa_private_segment_fixed_size 32
		.amdhsa_kernarg_size 464
		.amdhsa_user_sgpr_count 2
		.amdhsa_user_sgpr_dispatch_ptr 0
		.amdhsa_user_sgpr_queue_ptr 0
		.amdhsa_user_sgpr_kernarg_segment_ptr 1
		.amdhsa_user_sgpr_dispatch_id 0
		.amdhsa_user_sgpr_private_segment_size 0
		.amdhsa_wavefront_size32 1
		.amdhsa_uses_dynamic_stack 0
		.amdhsa_enable_private_segment 1
		.amdhsa_system_sgpr_workgroup_id_x 1
		.amdhsa_system_sgpr_workgroup_id_y 1
		.amdhsa_system_sgpr_workgroup_id_z 1
		.amdhsa_system_sgpr_workgroup_info 0
		.amdhsa_system_vgpr_workitem_id 1
		.amdhsa_next_free_vgpr 137
		.amdhsa_next_free_sgpr 47
		.amdhsa_reserve_vcc 1
		.amdhsa_float_round_mode_32 0
		.amdhsa_float_round_mode_16_64 0
		.amdhsa_float_denorm_mode_32 3
		.amdhsa_float_denorm_mode_16_64 3
		.amdhsa_fp16_overflow 0
		.amdhsa_workgroup_processor_mode 1
		.amdhsa_memory_ordered 1
		.amdhsa_forward_progress 1
		.amdhsa_inst_pref_size 104
		.amdhsa_round_robin_scheduling 0
		.amdhsa_exception_fp_ieee_invalid_op 0
		.amdhsa_exception_fp_denorm_src 0
		.amdhsa_exception_fp_ieee_div_zero 0
		.amdhsa_exception_fp_ieee_overflow 0
		.amdhsa_exception_fp_ieee_underflow 0
		.amdhsa_exception_fp_ieee_inexact 0
		.amdhsa_exception_int_div_zero 0
	.end_amdhsa_kernel
	.section	.text._ZL15flash_attn_tileILi64ELi64ELi4ELi1ELb0EEvPKcS1_S1_S1_S1_PKiPfP15HIP_vector_typeIfLj2EEffffjfiS5_IjLj3EEiiiiiiiiiiiliiliiiiil,"axG",@progbits,_ZL15flash_attn_tileILi64ELi64ELi4ELi1ELb0EEvPKcS1_S1_S1_S1_PKiPfP15HIP_vector_typeIfLj2EEffffjfiS5_IjLj3EEiiiiiiiiiiiliiliiiiil,comdat
.Lfunc_end65:
	.size	_ZL15flash_attn_tileILi64ELi64ELi4ELi1ELb0EEvPKcS1_S1_S1_S1_PKiPfP15HIP_vector_typeIfLj2EEffffjfiS5_IjLj3EEiiiiiiiiiiiliiliiiiil, .Lfunc_end65-_ZL15flash_attn_tileILi64ELi64ELi4ELi1ELb0EEvPKcS1_S1_S1_S1_PKiPfP15HIP_vector_typeIfLj2EEffffjfiS5_IjLj3EEiiiiiiiiiiiliiliiiiil
                                        ; -- End function
	.set _ZL15flash_attn_tileILi64ELi64ELi4ELi1ELb0EEvPKcS1_S1_S1_S1_PKiPfP15HIP_vector_typeIfLj2EEffffjfiS5_IjLj3EEiiiiiiiiiiiliiliiiiil.num_vgpr, 137
	.set _ZL15flash_attn_tileILi64ELi64ELi4ELi1ELb0EEvPKcS1_S1_S1_S1_PKiPfP15HIP_vector_typeIfLj2EEffffjfiS5_IjLj3EEiiiiiiiiiiiliiliiiiil.num_agpr, 0
	.set _ZL15flash_attn_tileILi64ELi64ELi4ELi1ELb0EEvPKcS1_S1_S1_S1_PKiPfP15HIP_vector_typeIfLj2EEffffjfiS5_IjLj3EEiiiiiiiiiiiliiliiiiil.numbered_sgpr, 47
	.set _ZL15flash_attn_tileILi64ELi64ELi4ELi1ELb0EEvPKcS1_S1_S1_S1_PKiPfP15HIP_vector_typeIfLj2EEffffjfiS5_IjLj3EEiiiiiiiiiiiliiliiiiil.num_named_barrier, 0
	.set _ZL15flash_attn_tileILi64ELi64ELi4ELi1ELb0EEvPKcS1_S1_S1_S1_PKiPfP15HIP_vector_typeIfLj2EEffffjfiS5_IjLj3EEiiiiiiiiiiiliiliiiiil.private_seg_size, 32
	.set _ZL15flash_attn_tileILi64ELi64ELi4ELi1ELb0EEvPKcS1_S1_S1_S1_PKiPfP15HIP_vector_typeIfLj2EEffffjfiS5_IjLj3EEiiiiiiiiiiiliiliiiiil.uses_vcc, 1
	.set _ZL15flash_attn_tileILi64ELi64ELi4ELi1ELb0EEvPKcS1_S1_S1_S1_PKiPfP15HIP_vector_typeIfLj2EEffffjfiS5_IjLj3EEiiiiiiiiiiiliiliiiiil.uses_flat_scratch, 1
	.set _ZL15flash_attn_tileILi64ELi64ELi4ELi1ELb0EEvPKcS1_S1_S1_S1_PKiPfP15HIP_vector_typeIfLj2EEffffjfiS5_IjLj3EEiiiiiiiiiiiliiliiiiil.has_dyn_sized_stack, 0
	.set _ZL15flash_attn_tileILi64ELi64ELi4ELi1ELb0EEvPKcS1_S1_S1_S1_PKiPfP15HIP_vector_typeIfLj2EEffffjfiS5_IjLj3EEiiiiiiiiiiiliiliiiiil.has_recursion, 0
	.set _ZL15flash_attn_tileILi64ELi64ELi4ELi1ELb0EEvPKcS1_S1_S1_S1_PKiPfP15HIP_vector_typeIfLj2EEffffjfiS5_IjLj3EEiiiiiiiiiiiliiliiiiil.has_indirect_call, 0
	.section	.AMDGPU.csdata,"",@progbits
; Kernel info:
; codeLenInByte = 13196
; TotalNumSgprs: 49
; NumVgprs: 137
; ScratchSize: 32
; MemoryBound: 0
; FloatMode: 240
; IeeeMode: 1
; LDSByteSize: 5376 bytes/workgroup (compile time only)
; SGPRBlocks: 0
; VGPRBlocks: 17
; NumSGPRsForWavesPerEU: 49
; NumVGPRsForWavesPerEU: 137
; Occupancy: 10
; WaveLimiterHint : 1
; COMPUTE_PGM_RSRC2:SCRATCH_EN: 1
; COMPUTE_PGM_RSRC2:USER_SGPR: 2
; COMPUTE_PGM_RSRC2:TRAP_HANDLER: 0
; COMPUTE_PGM_RSRC2:TGID_X_EN: 1
; COMPUTE_PGM_RSRC2:TGID_Y_EN: 1
; COMPUTE_PGM_RSRC2:TGID_Z_EN: 1
; COMPUTE_PGM_RSRC2:TIDIG_COMP_CNT: 1
	.section	.text._ZL33flash_attn_stream_k_fixup_uniformILi64ELi4ELi1EEvPfPK15HIP_vector_typeIfLj2EEiiiiiiS1_IjLj3EES5_S5_,"axG",@progbits,_ZL33flash_attn_stream_k_fixup_uniformILi64ELi4ELi1EEvPfPK15HIP_vector_typeIfLj2EEiiiiiiS1_IjLj3EES5_S5_,comdat
	.globl	_ZL33flash_attn_stream_k_fixup_uniformILi64ELi4ELi1EEvPfPK15HIP_vector_typeIfLj2EEiiiiiiS1_IjLj3EES5_S5_ ; -- Begin function _ZL33flash_attn_stream_k_fixup_uniformILi64ELi4ELi1EEvPfPK15HIP_vector_typeIfLj2EEiiiiiiS1_IjLj3EES5_S5_
	.p2align	8
	.type	_ZL33flash_attn_stream_k_fixup_uniformILi64ELi4ELi1EEvPfPK15HIP_vector_typeIfLj2EEiiiiiiS1_IjLj3EES5_S5_,@function
_ZL33flash_attn_stream_k_fixup_uniformILi64ELi4ELi1EEvPfPK15HIP_vector_typeIfLj2EEiiiiiiS1_IjLj3EES5_S5_: ; @_ZL33flash_attn_stream_k_fixup_uniformILi64ELi4ELi1EEvPfPK15HIP_vector_typeIfLj2EEiiiiiiS1_IjLj3EES5_S5_
; %bb.0:
	s_clause 0x1
	s_load_b256 s[4:11], s[0:1], 0x1c
	s_load_b128 s[12:15], s[0:1], 0x3c
	s_wait_kmcnt 0x0
	s_mul_hi_u32 s2, s7, ttmp9
	s_delay_alu instid0(SALU_CYCLE_1) | instskip(NEXT) | instid1(SALU_CYCLE_1)
	s_add_co_i32 s2, ttmp9, s2
	s_lshr_b32 s2, s2, s8
	s_delay_alu instid0(SALU_CYCLE_1) | instskip(SKIP_2) | instid1(SALU_CYCLE_1)
	s_mul_i32 s3, s2, s9
	s_load_b64 s[8:9], s[0:1], 0x10
	s_sub_co_i32 s7, ttmp9, s3
	s_mul_hi_u32 s3, s7, s10
	s_delay_alu instid0(SALU_CYCLE_1) | instskip(NEXT) | instid1(SALU_CYCLE_1)
	s_add_co_i32 s3, s7, s3
	s_lshr_b32 s3, s3, s11
	s_delay_alu instid0(SALU_CYCLE_1) | instskip(NEXT) | instid1(SALU_CYCLE_1)
	s_mul_i32 s10, s3, s12
	s_sub_co_i32 s7, s7, s10
	s_delay_alu instid0(SALU_CYCLE_1) | instskip(NEXT) | instid1(SALU_CYCLE_1)
	s_mul_hi_u32 s10, s7, s13
	s_add_co_i32 s10, s7, s10
	s_delay_alu instid0(SALU_CYCLE_1) | instskip(NEXT) | instid1(SALU_CYCLE_1)
	s_lshr_b32 s11, s10, s14
	s_mul_i32 s10, s11, s15
	s_delay_alu instid0(SALU_CYCLE_1) | instskip(SKIP_2) | instid1(SALU_CYCLE_1)
	s_sub_co_i32 s12, s7, s10
	s_and_b32 s7, ttmp7, 0xffff
	s_lshl_b32 s10, s12, 2
	s_add_co_i32 s13, s10, s7
	s_lshr_b32 s10, ttmp7, 16
	s_wait_kmcnt 0x0
	s_cmp_lt_i32 s13, s8
	s_cselect_b32 s13, -1, 0
	s_add_co_i32 s14, s11, s10
	s_delay_alu instid0(SALU_CYCLE_1) | instskip(SKIP_1) | instid1(SALU_CYCLE_1)
	s_cmp_lt_i32 s14, s5
	s_cselect_b32 s14, -1, 0
	s_and_b32 s13, s13, s14
	s_delay_alu instid0(SALU_CYCLE_1)
	s_and_not1_b32 vcc_lo, exec_lo, s13
	s_cbranch_vccnz .LBB66_6
; %bb.1:
	s_mul_i32 s2, s2, s8
	s_mul_i32 s5, s3, s5
	s_add_co_i32 s2, s2, s7
	s_delay_alu instid0(SALU_CYCLE_1) | instskip(NEXT) | instid1(SALU_CYCLE_1)
	s_mul_i32 s2, s2, s9
	s_add_co_i32 s8, s2, s10
	s_load_b128 s[0:3], s[0:1], 0x0
	s_add_co_i32 s5, s8, s5
	s_mul_i32 s8, s9, s12
	s_add_co_i32 s5, s5, s11
	s_lshl_b32 s8, s8, 8
	s_lshl_b32 s5, s5, 6
	s_add_co_i32 s9, s7, s10
	s_add_co_i32 s8, s8, s5
	s_delay_alu instid0(SALU_CYCLE_1) | instskip(SKIP_3) | instid1(SALU_CYCLE_1)
	v_or_b32_e32 v1, s8, v0
	s_mul_i32 s8, s6, ttmp9
	s_wait_alu 0xfffe
	s_add_co_i32 s5, s8, s6
	s_add_co_i32 s7, s5, -2
	v_ashrrev_i32_e32 v2, 31, v1
	s_delay_alu instid0(VALU_DEP_1) | instskip(SKIP_1) | instid1(VALU_DEP_1)
	v_lshlrev_b64_e32 v[1:2], 2, v[1:2]
	s_wait_kmcnt 0x0
	v_add_co_u32 v1, vcc_lo, s0, v1
	s_delay_alu instid0(VALU_DEP_1)
	v_add_co_ci_u32_e64 v2, null, s1, v2, vcc_lo
	s_lshl_b32 s0, s5, 2
	s_wait_alu 0xfffe
	s_add_co_i32 s0, s9, s0
	global_load_b32 v5, v[1:2], off
	s_wait_alu 0xfffe
	s_add_co_i32 s0, s0, -4
	s_wait_alu 0xfffe
	s_ashr_i32 s1, s0, 31
	s_wait_alu 0xfffe
	s_lshl_b64 s[0:1], s[0:1], 3
	s_cmp_lt_i32 s7, s8
	s_wait_alu 0xfffe
	s_add_nc_u64 s[0:1], s[2:3], s[0:1]
	s_load_b32 s10, s[0:1], 0x4
	s_cbranch_scc1 .LBB66_4
; %bb.2:
	s_load_b32 s0, s[0:1], 0x0
	s_add_co_i32 s7, ttmp9, 1
	s_wait_kmcnt 0x0
	v_mov_b32_e32 v6, s10
	s_mul_i32 s1, s6, s7
	s_lshl_b32 s7, s9, 6
	s_wait_alu 0xfffe
	s_lshl_b32 s11, s1, 8
	s_lshl_b32 s6, s4, 4
	s_wait_alu 0xfffe
	s_add_co_i32 s11, s7, s11
	s_lshl_b32 s1, s1, 2
	s_wait_alu 0xfffe
	v_or_b32_e32 v0, s11, v0
	s_ashr_i32 s7, s6, 31
	s_add_co_i32 s1, s9, s1
	s_lshl_b32 s4, s4, 2
	s_lshl_b64 s[6:7], s[6:7], 2
	v_add_nc_u32_e32 v3, 0xfffffe00, v0
	s_wait_alu 0xfffe
	s_add_co_i32 s4, s1, s4
	s_add_nc_u64 s[6:7], s[2:3], s[6:7]
	s_add_co_i32 s1, s5, -1
	s_add_co_i32 s4, s4, -8
.LBB66_3:                               ; =>This Inner Loop Header: Depth=1
	v_ashrrev_i32_e32 v4, 31, v3
	s_ashr_i32 s5, s4, 31
	v_mov_b32_e32 v10, v6
	s_lshl_b64 s[10:11], s[4:5], 3
	s_wait_loadcnt 0x0
	v_mov_b32_e32 v9, v5
	v_lshlrev_b64_e32 v[7:8], 2, v[3:4]
	s_wait_alu 0xfffe
	s_add_nc_u64 s[10:11], s[2:3], s[10:11]
	v_max_num_f32_e64 v4, s0, s0
	s_load_b64 s[10:11], s[10:11], 0x0
	v_add_nc_u32_e32 v3, 0xffffff00, v3
	v_add_co_u32 v7, vcc_lo, s6, v7
	s_wait_alu 0xfffd
	v_add_co_ci_u32_e64 v8, null, s7, v8, vcc_lo
	v_readfirstlane_b32 s5, v4
	global_load_b32 v0, v[7:8], off
	s_wait_kmcnt 0x0
	v_max_num_f32_e64 v4, s10, s10
	s_delay_alu instid0(VALU_DEP_1) | instskip(SKIP_1) | instid1(SALU_CYCLE_3)
	v_readfirstlane_b32 s9, v4
	s_max_num_f32 s5, s5, s9
	s_sub_f32 s0, s0, s5
	s_sub_f32 s9, s10, s5
	s_wait_alu 0xfffe
	s_delay_alu instid0(SALU_CYCLE_1) | instskip(NEXT) | instid1(SALU_CYCLE_1)
	s_mul_f32 s10, s0, 0x3fb8aa3b
	s_mul_f32 s12, s9, 0x3fb8aa3b
	s_wait_alu 0xfffe
	s_delay_alu instid0(SALU_CYCLE_1)
	s_xor_b32 s13, s10, 0x80000000
	s_rndne_f32 s14, s10
	s_fmamk_f32 s13, s0, 0x3fb8aa3b, s13
	s_cmp_nlt_f32 s0, 0xc2ce8ed0
	s_rndne_f32 s15, s12
	s_wait_alu 0xfffe
	s_sub_f32 s10, s10, s14
	s_fmamk_f32 s13, s0, 0x32a5705f, s13
	s_cvt_i32_f32 s14, s14
	s_cselect_b32 vcc_lo, -1, 0
	s_cmp_ngt_f32 s0, 0x42b17218
	s_wait_alu 0xfffe
	s_add_f32 s10, s10, s13
	s_sub_f32 s13, s12, s15
	s_wait_alu 0xfffe
	s_delay_alu instid0(SALU_CYCLE_1) | instskip(SKIP_1) | instid1(TRANS32_DEP_1)
	v_s_exp_f32 s10, s10
	s_wait_alu 0xf1ff
	v_ldexp_f32 v4, s10, s14
	s_cvt_i32_f32 s10, s15
	s_delay_alu instid0(VALU_DEP_1) | instskip(SKIP_3) | instid1(VALU_DEP_1)
	v_cndmask_b32_e32 v4, 0, v4, vcc_lo
	s_cselect_b32 vcc_lo, -1, 0
	s_cmp_ge_f32 s0, 0xc1a00000
	s_wait_alu 0xfffe
	v_cndmask_b32_e32 v4, 0x7f800000, v4, vcc_lo
	s_cselect_b32 vcc_lo, -1, 0
	s_xor_b32 s0, s12, 0x80000000
	s_cmp_nlt_f32 s9, 0xc2ce8ed0
	s_wait_alu 0xfffe
	s_fmamk_f32 s0, s9, 0x3fb8aa3b, s0
	s_wait_alu 0xfffe
	s_delay_alu instid0(SALU_CYCLE_2) | instskip(SKIP_1) | instid1(SALU_CYCLE_2)
	s_fmamk_f32 s0, s9, 0x32a5705f, s0
	s_wait_alu 0xfffe
	s_add_f32 s0, s13, s0
	s_wait_alu 0xfffe
	s_delay_alu instid0(SALU_CYCLE_2) | instskip(SKIP_1) | instid1(TRANS32_DEP_1)
	v_s_exp_f32 s0, s0
	s_wait_alu 0xf1ff
	v_ldexp_f32 v7, s0, s10
	s_cselect_b32 s0, -1, 0
	s_cmp_ngt_f32 s9, 0x42b17218
	s_wait_alu 0xfffe
	s_delay_alu instid0(VALU_DEP_1) | instskip(SKIP_3) | instid1(VALU_DEP_1)
	v_cndmask_b32_e64 v7, 0, v7, s0
	s_cselect_b32 s0, -1, 0
	s_cmp_ge_f32 s9, 0xc1a00000
	s_wait_alu 0xfffe
	v_cndmask_b32_e64 v7, 0x7f800000, v7, s0
	s_cselect_b32 s0, -1, 0
	s_add_co_i32 s1, s1, -1
	s_add_co_i32 s4, s4, -4
	s_wait_alu 0xfffe
	s_cmp_le_i32 s1, s8
	v_cndmask_b32_e64 v7, 0, v7, s0
	s_mov_b32 s0, s5
	s_wait_loadcnt 0x0
	s_delay_alu instid0(VALU_DEP_1) | instskip(NEXT) | instid1(VALU_DEP_1)
	v_dual_mul_f32 v5, v0, v7 :: v_dual_cndmask_b32 v4, 0, v4
	v_dual_mul_f32 v8, s11, v7 :: v_dual_fmac_f32 v5, v9, v4
	s_delay_alu instid0(VALU_DEP_1) | instskip(NEXT) | instid1(VALU_DEP_1)
	v_mov_b32_e32 v6, v8
	v_fmac_f32_e32 v6, v10, v4
	s_cbranch_scc0 .LBB66_3
	s_branch .LBB66_5
.LBB66_4:
	s_wait_kmcnt 0x0
	v_mov_b32_e32 v6, s10
.LBB66_5:
	s_wait_loadcnt 0x0
	s_delay_alu instid0(VALU_DEP_1) | instskip(NEXT) | instid1(VALU_DEP_1)
	v_div_scale_f32 v0, null, v6, v6, v5
	v_rcp_f32_e32 v3, v0
	s_delay_alu instid0(TRANS32_DEP_1) | instskip(NEXT) | instid1(VALU_DEP_1)
	v_fma_f32 v4, -v0, v3, 1.0
	v_fmac_f32_e32 v3, v4, v3
	v_div_scale_f32 v4, vcc_lo, v5, v6, v5
	s_delay_alu instid0(VALU_DEP_1) | instskip(NEXT) | instid1(VALU_DEP_1)
	v_mul_f32_e32 v7, v4, v3
	v_fma_f32 v8, -v0, v7, v4
	s_delay_alu instid0(VALU_DEP_1) | instskip(NEXT) | instid1(VALU_DEP_1)
	v_fmac_f32_e32 v7, v8, v3
	v_fma_f32 v0, -v0, v7, v4
	s_wait_alu 0xfffd
	s_delay_alu instid0(VALU_DEP_1) | instskip(NEXT) | instid1(VALU_DEP_1)
	v_div_fmas_f32 v0, v0, v3, v7
	v_div_fixup_f32 v0, v0, v6, v5
	global_store_b32 v[1:2], v0, off
.LBB66_6:
	s_endpgm
	.section	.rodata,"a",@progbits
	.p2align	6, 0x0
	.amdhsa_kernel _ZL33flash_attn_stream_k_fixup_uniformILi64ELi4ELi1EEvPfPK15HIP_vector_typeIfLj2EEiiiiiiS1_IjLj3EES5_S5_
		.amdhsa_group_segment_fixed_size 0
		.amdhsa_private_segment_fixed_size 0
		.amdhsa_kernarg_size 76
		.amdhsa_user_sgpr_count 2
		.amdhsa_user_sgpr_dispatch_ptr 0
		.amdhsa_user_sgpr_queue_ptr 0
		.amdhsa_user_sgpr_kernarg_segment_ptr 1
		.amdhsa_user_sgpr_dispatch_id 0
		.amdhsa_user_sgpr_private_segment_size 0
		.amdhsa_wavefront_size32 1
		.amdhsa_uses_dynamic_stack 0
		.amdhsa_enable_private_segment 0
		.amdhsa_system_sgpr_workgroup_id_x 1
		.amdhsa_system_sgpr_workgroup_id_y 1
		.amdhsa_system_sgpr_workgroup_id_z 1
		.amdhsa_system_sgpr_workgroup_info 0
		.amdhsa_system_vgpr_workitem_id 0
		.amdhsa_next_free_vgpr 11
		.amdhsa_next_free_sgpr 16
		.amdhsa_reserve_vcc 1
		.amdhsa_float_round_mode_32 0
		.amdhsa_float_round_mode_16_64 0
		.amdhsa_float_denorm_mode_32 3
		.amdhsa_float_denorm_mode_16_64 3
		.amdhsa_fp16_overflow 0
		.amdhsa_workgroup_processor_mode 1
		.amdhsa_memory_ordered 1
		.amdhsa_forward_progress 1
		.amdhsa_inst_pref_size 9
		.amdhsa_round_robin_scheduling 0
		.amdhsa_exception_fp_ieee_invalid_op 0
		.amdhsa_exception_fp_denorm_src 0
		.amdhsa_exception_fp_ieee_div_zero 0
		.amdhsa_exception_fp_ieee_overflow 0
		.amdhsa_exception_fp_ieee_underflow 0
		.amdhsa_exception_fp_ieee_inexact 0
		.amdhsa_exception_int_div_zero 0
	.end_amdhsa_kernel
	.section	.text._ZL33flash_attn_stream_k_fixup_uniformILi64ELi4ELi1EEvPfPK15HIP_vector_typeIfLj2EEiiiiiiS1_IjLj3EES5_S5_,"axG",@progbits,_ZL33flash_attn_stream_k_fixup_uniformILi64ELi4ELi1EEvPfPK15HIP_vector_typeIfLj2EEiiiiiiS1_IjLj3EES5_S5_,comdat
.Lfunc_end66:
	.size	_ZL33flash_attn_stream_k_fixup_uniformILi64ELi4ELi1EEvPfPK15HIP_vector_typeIfLj2EEiiiiiiS1_IjLj3EES5_S5_, .Lfunc_end66-_ZL33flash_attn_stream_k_fixup_uniformILi64ELi4ELi1EEvPfPK15HIP_vector_typeIfLj2EEiiiiiiS1_IjLj3EES5_S5_
                                        ; -- End function
	.set _ZL33flash_attn_stream_k_fixup_uniformILi64ELi4ELi1EEvPfPK15HIP_vector_typeIfLj2EEiiiiiiS1_IjLj3EES5_S5_.num_vgpr, 11
	.set _ZL33flash_attn_stream_k_fixup_uniformILi64ELi4ELi1EEvPfPK15HIP_vector_typeIfLj2EEiiiiiiS1_IjLj3EES5_S5_.num_agpr, 0
	.set _ZL33flash_attn_stream_k_fixup_uniformILi64ELi4ELi1EEvPfPK15HIP_vector_typeIfLj2EEiiiiiiS1_IjLj3EES5_S5_.numbered_sgpr, 16
	.set _ZL33flash_attn_stream_k_fixup_uniformILi64ELi4ELi1EEvPfPK15HIP_vector_typeIfLj2EEiiiiiiS1_IjLj3EES5_S5_.num_named_barrier, 0
	.set _ZL33flash_attn_stream_k_fixup_uniformILi64ELi4ELi1EEvPfPK15HIP_vector_typeIfLj2EEiiiiiiS1_IjLj3EES5_S5_.private_seg_size, 0
	.set _ZL33flash_attn_stream_k_fixup_uniformILi64ELi4ELi1EEvPfPK15HIP_vector_typeIfLj2EEiiiiiiS1_IjLj3EES5_S5_.uses_vcc, 1
	.set _ZL33flash_attn_stream_k_fixup_uniformILi64ELi4ELi1EEvPfPK15HIP_vector_typeIfLj2EEiiiiiiS1_IjLj3EES5_S5_.uses_flat_scratch, 0
	.set _ZL33flash_attn_stream_k_fixup_uniformILi64ELi4ELi1EEvPfPK15HIP_vector_typeIfLj2EEiiiiiiS1_IjLj3EES5_S5_.has_dyn_sized_stack, 0
	.set _ZL33flash_attn_stream_k_fixup_uniformILi64ELi4ELi1EEvPfPK15HIP_vector_typeIfLj2EEiiiiiiS1_IjLj3EES5_S5_.has_recursion, 0
	.set _ZL33flash_attn_stream_k_fixup_uniformILi64ELi4ELi1EEvPfPK15HIP_vector_typeIfLj2EEiiiiiiS1_IjLj3EES5_S5_.has_indirect_call, 0
	.section	.AMDGPU.csdata,"",@progbits
; Kernel info:
; codeLenInByte = 1120
; TotalNumSgprs: 18
; NumVgprs: 11
; ScratchSize: 0
; MemoryBound: 0
; FloatMode: 240
; IeeeMode: 1
; LDSByteSize: 0 bytes/workgroup (compile time only)
; SGPRBlocks: 0
; VGPRBlocks: 1
; NumSGPRsForWavesPerEU: 18
; NumVGPRsForWavesPerEU: 11
; Occupancy: 16
; WaveLimiterHint : 0
; COMPUTE_PGM_RSRC2:SCRATCH_EN: 0
; COMPUTE_PGM_RSRC2:USER_SGPR: 2
; COMPUTE_PGM_RSRC2:TRAP_HANDLER: 0
; COMPUTE_PGM_RSRC2:TGID_X_EN: 1
; COMPUTE_PGM_RSRC2:TGID_Y_EN: 1
; COMPUTE_PGM_RSRC2:TGID_Z_EN: 1
; COMPUTE_PGM_RSRC2:TIDIG_COMP_CNT: 0
	.section	.text._ZL33flash_attn_stream_k_fixup_generalILi64ELi4ELi1EEvPfPK15HIP_vector_typeIfLj2EEiiiiS1_IjLj3EES5_S5_S5_,"axG",@progbits,_ZL33flash_attn_stream_k_fixup_generalILi64ELi4ELi1EEvPfPK15HIP_vector_typeIfLj2EEiiiiS1_IjLj3EES5_S5_S5_,comdat
	.globl	_ZL33flash_attn_stream_k_fixup_generalILi64ELi4ELi1EEvPfPK15HIP_vector_typeIfLj2EEiiiiS1_IjLj3EES5_S5_S5_ ; -- Begin function _ZL33flash_attn_stream_k_fixup_generalILi64ELi4ELi1EEvPfPK15HIP_vector_typeIfLj2EEiiiiS1_IjLj3EES5_S5_S5_
	.p2align	8
	.type	_ZL33flash_attn_stream_k_fixup_generalILi64ELi4ELi1EEvPfPK15HIP_vector_typeIfLj2EEiiiiS1_IjLj3EES5_S5_S5_,@function
_ZL33flash_attn_stream_k_fixup_generalILi64ELi4ELi1EEvPfPK15HIP_vector_typeIfLj2EEiiiiS1_IjLj3EES5_S5_S5_: ; @_ZL33flash_attn_stream_k_fixup_generalILi64ELi4ELi1EEvPfPK15HIP_vector_typeIfLj2EEiiiiS1_IjLj3EES5_S5_S5_
; %bb.0:
	s_clause 0x1
	s_load_b128 s[4:7], s[0:1], 0x10
	s_load_b32 s16, s[0:1], 0x50
	s_mov_b32 s2, ttmp9
	s_ashr_i32 s3, ttmp9, 31
	s_mov_b32 s17, 0
	s_delay_alu instid0(SALU_CYCLE_1) | instskip(SKIP_3) | instid1(SALU_CYCLE_1)
	s_mov_b32 s8, s17
	s_wait_kmcnt 0x0
	s_ashr_i32 s19, s7, 31
	s_mov_b32 s18, s7
	s_mul_u64 s[2:3], s[18:19], s[2:3]
	s_delay_alu instid0(SALU_CYCLE_1) | instskip(NEXT) | instid1(SALU_CYCLE_1)
	s_mov_b32 s9, s3
	s_cmp_lg_u64 s[8:9], 0
	s_cbranch_scc0 .LBB67_21
; %bb.1:
	s_add_nc_u64 s[8:9], s[16:17], 0
	s_mov_b32 s15, s17
	s_xor_b64 s[8:9], s[8:9], 0
	s_mov_b32 s23, s17
	s_cvt_f32_u32 s7, s8
	s_cvt_f32_u32 s10, s9
	s_sub_nc_u64 s[12:13], 0, s[8:9]
	s_delay_alu instid0(SALU_CYCLE_2) | instskip(NEXT) | instid1(SALU_CYCLE_3)
	s_fmamk_f32 s7, s10, 0x4f800000, s7
	v_s_rcp_f32 s7, s7
	s_delay_alu instid0(TRANS32_DEP_1) | instskip(SKIP_1) | instid1(SALU_CYCLE_2)
	s_mul_f32 s7, s7, 0x5f7ffffc
	s_wait_alu 0xfffe
	s_mul_f32 s10, s7, 0x2f800000
	s_delay_alu instid0(SALU_CYCLE_3) | instskip(NEXT) | instid1(SALU_CYCLE_3)
	s_trunc_f32 s10, s10
	s_fmamk_f32 s7, s10, 0xcf800000, s7
	s_cvt_u32_f32 s11, s10
	s_wait_alu 0xfffe
	s_delay_alu instid0(SALU_CYCLE_1) | instskip(NEXT) | instid1(SALU_CYCLE_3)
	s_cvt_u32_f32 s10, s7
	s_mul_u64 s[20:21], s[12:13], s[10:11]
	s_delay_alu instid0(SALU_CYCLE_1)
	s_mul_hi_u32 s25, s10, s21
	s_mul_i32 s24, s10, s21
	s_mul_hi_u32 s14, s10, s20
	s_mul_i32 s22, s11, s20
	s_add_nc_u64 s[14:15], s[14:15], s[24:25]
	s_mul_hi_u32 s7, s11, s20
	s_mul_hi_u32 s26, s11, s21
	s_add_co_u32 s14, s14, s22
	s_wait_alu 0xfffe
	s_add_co_ci_u32 s22, s15, s7
	s_mul_i32 s20, s11, s21
	s_add_co_ci_u32 s21, s26, 0
	s_delay_alu instid0(SALU_CYCLE_1)
	s_add_nc_u64 s[14:15], s[22:23], s[20:21]
	s_mov_b32 s21, s17
	s_add_co_u32 s10, s10, s14
	s_cselect_b32 s7, -1, 0
	s_wait_alu 0xfffe
	s_cmp_lg_u32 s7, 0
	s_add_co_ci_u32 s11, s11, s15
	s_mov_b32 s15, s17
	s_mul_u64 s[12:13], s[12:13], s[10:11]
	s_delay_alu instid0(SALU_CYCLE_1)
	s_mul_hi_u32 s23, s10, s13
	s_mul_i32 s22, s10, s13
	s_mul_hi_u32 s14, s10, s12
	s_mul_i32 s20, s11, s12
	s_add_nc_u64 s[14:15], s[14:15], s[22:23]
	s_mul_hi_u32 s7, s11, s12
	s_mul_hi_u32 s24, s11, s13
	s_mul_i32 s12, s11, s13
	s_add_co_u32 s13, s14, s20
	s_wait_alu 0xfffe
	s_add_co_ci_u32 s20, s15, s7
	s_add_co_ci_u32 s13, s24, 0
	s_mov_b32 s15, s17
	s_add_nc_u64 s[12:13], s[20:21], s[12:13]
	s_delay_alu instid0(SALU_CYCLE_1) | instskip(SKIP_1) | instid1(SALU_CYCLE_1)
	s_add_co_u32 s7, s10, s12
	s_cselect_b32 s10, -1, 0
	s_cmp_lg_u32 s10, 0
	s_add_co_ci_u32 s20, s11, s13
	s_ashr_i32 s10, s3, 31
	s_delay_alu instid0(SALU_CYCLE_1) | instskip(NEXT) | instid1(SALU_CYCLE_1)
	s_mov_b32 s11, s10
	s_add_nc_u64 s[12:13], s[2:3], s[10:11]
	s_delay_alu instid0(SALU_CYCLE_1) | instskip(NEXT) | instid1(SALU_CYCLE_1)
	s_xor_b64 s[12:13], s[12:13], s[10:11]
	s_mul_hi_u32 s23, s12, s20
	s_mul_i32 s22, s12, s20
	s_wait_alu 0xfffe
	s_mul_hi_u32 s14, s12, s7
	s_mul_hi_u32 s24, s13, s7
	s_mul_i32 s7, s13, s7
	s_add_nc_u64 s[14:15], s[14:15], s[22:23]
	s_mul_hi_u32 s3, s13, s20
	s_wait_alu 0xfffe
	s_add_co_u32 s7, s14, s7
	s_mul_i32 s22, s13, s20
	s_add_co_ci_u32 s20, s15, s24
	s_add_co_ci_u32 s23, s3, 0
	s_delay_alu instid0(SALU_CYCLE_1) | instskip(NEXT) | instid1(SALU_CYCLE_1)
	s_add_nc_u64 s[14:15], s[20:21], s[22:23]
	s_mul_u64 s[20:21], s[8:9], s[14:15]
	s_delay_alu instid0(SALU_CYCLE_1)
	s_sub_co_u32 s3, s12, s20
	s_cselect_b32 s7, -1, 0
	s_sub_co_i32 s12, s13, s21
	s_wait_alu 0xfffe
	s_cmp_lg_u32 s7, 0
	s_sub_co_ci_u32 s12, s12, s9
	s_sub_co_u32 s20, s3, s8
	s_cselect_b32 s22, -1, 0
	s_delay_alu instid0(SALU_CYCLE_1) | instskip(SKIP_2) | instid1(SALU_CYCLE_1)
	s_cmp_lg_u32 s22, 0
	s_add_nc_u64 s[22:23], s[14:15], 1
	s_sub_co_ci_u32 s12, s12, 0
	s_cmp_ge_u32 s12, s9
	s_cselect_b32 s24, -1, 0
	s_cmp_ge_u32 s20, s8
	s_cselect_b32 s20, -1, 0
	s_cmp_eq_u32 s12, s9
	s_cselect_b32 s12, s20, s24
	s_add_nc_u64 s[24:25], s[14:15], 2
	s_cmp_lg_u32 s12, 0
	s_cselect_b32 s12, s24, s22
	s_cselect_b32 s20, s25, s23
	s_cmp_lg_u32 s7, 0
	s_sub_co_ci_u32 s7, s13, s21
	s_wait_alu 0xfffe
	s_cmp_ge_u32 s7, s9
	s_cselect_b32 s13, -1, 0
	s_cmp_ge_u32 s3, s8
	s_cselect_b32 s3, -1, 0
	s_cmp_eq_u32 s7, s9
	s_cselect_b32 s3, s3, s13
	s_delay_alu instid0(SALU_CYCLE_1) | instskip(SKIP_4) | instid1(SALU_CYCLE_1)
	s_cmp_lg_u32 s3, 0
	s_mov_b32 s3, s17
	s_cselect_b32 s9, s20, s15
	s_cselect_b32 s8, s12, s14
	s_xor_b64 s[10:11], s[10:11], 0
	s_xor_b64 s[8:9], s[8:9], s[10:11]
	s_delay_alu instid0(SALU_CYCLE_1)
	s_sub_nc_u64 s[20:21], s[8:9], s[10:11]
	s_and_not1_b32 vcc_lo, exec_lo, s3
	s_cbranch_vccnz .LBB67_3
.LBB67_2:
	v_cvt_f32_u32_e32 v1, s16
	s_sub_co_i32 s7, 0, s16
	s_delay_alu instid0(VALU_DEP_1) | instskip(NEXT) | instid1(TRANS32_DEP_1)
	v_rcp_iflag_f32_e32 v1, v1
	v_mul_f32_e32 v1, 0x4f7ffffe, v1
	s_delay_alu instid0(VALU_DEP_1) | instskip(NEXT) | instid1(VALU_DEP_1)
	v_cvt_u32_f32_e32 v1, v1
	v_readfirstlane_b32 s3, v1
	s_wait_alu 0xfffe
	s_mul_i32 s7, s7, s3
	s_wait_alu 0xfffe
	s_mul_hi_u32 s7, s3, s7
	s_wait_alu 0xfffe
	s_add_co_i32 s3, s3, s7
	s_delay_alu instid0(SALU_CYCLE_1) | instskip(NEXT) | instid1(SALU_CYCLE_1)
	s_mul_hi_u32 s3, s2, s3
	s_mul_i32 s7, s3, s16
	s_wait_alu 0xfffe
	s_sub_co_i32 s2, s2, s7
	s_add_co_i32 s7, s3, 1
	s_sub_co_i32 s8, s2, s16
	s_cmp_ge_u32 s2, s16
	s_wait_alu 0xfffe
	s_cselect_b32 s3, s7, s3
	s_cselect_b32 s2, s8, s2
	s_add_co_i32 s7, s3, 1
	s_cmp_ge_u32 s2, s16
	s_wait_alu 0xfffe
	s_cselect_b32 s20, s7, s3
.LBB67_3:
	s_add_co_i32 s2, ttmp9, 1
	s_mov_b32 s8, 0
	s_ashr_i32 s3, s2, 31
	s_delay_alu instid0(SALU_CYCLE_1) | instskip(NEXT) | instid1(SALU_CYCLE_1)
	s_mul_u64 s[2:3], s[18:19], s[2:3]
	s_mov_b32 s9, s3
	s_delay_alu instid0(SALU_CYCLE_1)
	s_cmp_lg_u64 s[8:9], 0
	s_cbranch_scc0 .LBB67_22
; %bb.4:
	s_add_nc_u64 s[10:11], s[16:17], 0
	s_mov_b32 s23, s8
	s_xor_b64 s[10:11], s[10:11], 0
	s_mov_b32 s27, s8
	s_cvt_f32_u32 s7, s10
	s_cvt_f32_u32 s9, s11
	s_sub_nc_u64 s[14:15], 0, s[10:11]
	s_wait_alu 0xfffe
	s_delay_alu instid0(SALU_CYCLE_1) | instskip(SKIP_1) | instid1(SALU_CYCLE_2)
	s_fmamk_f32 s7, s9, 0x4f800000, s7
	s_wait_alu 0xfffe
	v_s_rcp_f32 s7, s7
	s_delay_alu instid0(TRANS32_DEP_1) | instskip(SKIP_1) | instid1(SALU_CYCLE_2)
	s_mul_f32 s7, s7, 0x5f7ffffc
	s_wait_alu 0xfffe
	s_mul_f32 s9, s7, 0x2f800000
	s_delay_alu instid0(SALU_CYCLE_3) | instskip(NEXT) | instid1(SALU_CYCLE_3)
	s_trunc_f32 s9, s9
	s_fmamk_f32 s7, s9, 0xcf800000, s7
	s_cvt_u32_f32 s13, s9
	s_wait_alu 0xfffe
	s_delay_alu instid0(SALU_CYCLE_1) | instskip(NEXT) | instid1(SALU_CYCLE_3)
	s_cvt_u32_f32 s12, s7
	s_mul_u64 s[24:25], s[14:15], s[12:13]
	s_delay_alu instid0(SALU_CYCLE_1)
	s_mul_hi_u32 s29, s12, s25
	s_mul_i32 s28, s12, s25
	s_mul_hi_u32 s22, s12, s24
	s_mul_i32 s9, s13, s24
	s_add_nc_u64 s[22:23], s[22:23], s[28:29]
	s_mul_hi_u32 s7, s13, s24
	s_mul_hi_u32 s21, s13, s25
	s_add_co_u32 s9, s22, s9
	s_wait_alu 0xfffe
	s_add_co_ci_u32 s26, s23, s7
	s_mul_i32 s24, s13, s25
	s_add_co_ci_u32 s25, s21, 0
	s_delay_alu instid0(SALU_CYCLE_1)
	s_add_nc_u64 s[22:23], s[26:27], s[24:25]
	s_mov_b32 s25, s8
	s_add_co_u32 s12, s12, s22
	s_cselect_b32 s7, -1, 0
	s_wait_alu 0xfffe
	s_cmp_lg_u32 s7, 0
	s_add_co_ci_u32 s13, s13, s23
	s_mov_b32 s23, s8
	s_mul_u64 s[14:15], s[14:15], s[12:13]
	s_delay_alu instid0(SALU_CYCLE_1)
	s_mul_hi_u32 s27, s12, s15
	s_mul_i32 s26, s12, s15
	s_mul_hi_u32 s22, s12, s14
	s_mul_i32 s9, s13, s14
	s_add_nc_u64 s[22:23], s[22:23], s[26:27]
	s_mul_hi_u32 s7, s13, s14
	s_mul_hi_u32 s21, s13, s15
	s_add_co_u32 s9, s22, s9
	s_wait_alu 0xfffe
	s_add_co_ci_u32 s24, s23, s7
	s_mul_i32 s14, s13, s15
	s_add_co_ci_u32 s15, s21, 0
	s_mov_b32 s23, s8
	s_add_nc_u64 s[14:15], s[24:25], s[14:15]
	s_delay_alu instid0(SALU_CYCLE_1) | instskip(SKIP_1) | instid1(SALU_CYCLE_1)
	s_add_co_u32 s7, s12, s14
	s_cselect_b32 s9, -1, 0
	s_cmp_lg_u32 s9, 0
	s_add_co_ci_u32 s9, s13, s15
	s_ashr_i32 s12, s3, 31
	s_delay_alu instid0(SALU_CYCLE_1) | instskip(NEXT) | instid1(SALU_CYCLE_1)
	s_mov_b32 s13, s12
	s_add_nc_u64 s[14:15], s[2:3], s[12:13]
	s_delay_alu instid0(SALU_CYCLE_1) | instskip(NEXT) | instid1(SALU_CYCLE_1)
	s_xor_b64 s[14:15], s[14:15], s[12:13]
	s_mul_hi_u32 s27, s14, s9
	s_mul_i32 s26, s14, s9
	s_wait_alu 0xfffe
	s_mul_hi_u32 s22, s14, s7
	s_mul_hi_u32 s21, s15, s7
	s_mul_i32 s7, s15, s7
	s_add_nc_u64 s[22:23], s[22:23], s[26:27]
	s_mul_hi_u32 s3, s15, s9
	s_wait_alu 0xfffe
	s_add_co_u32 s7, s22, s7
	s_add_co_ci_u32 s24, s23, s21
	s_mul_i32 s26, s15, s9
	s_add_co_ci_u32 s27, s3, 0
	s_delay_alu instid0(SALU_CYCLE_1) | instskip(NEXT) | instid1(SALU_CYCLE_1)
	s_add_nc_u64 s[22:23], s[24:25], s[26:27]
	s_mul_u64 s[24:25], s[10:11], s[22:23]
	s_add_nc_u64 s[26:27], s[22:23], 1
	s_sub_co_u32 s3, s14, s24
	s_cselect_b32 s7, -1, 0
	s_sub_co_i32 s9, s15, s25
	s_wait_alu 0xfffe
	s_cmp_lg_u32 s7, 0
	s_add_nc_u64 s[28:29], s[22:23], 2
	s_sub_co_ci_u32 s9, s9, s11
	s_sub_co_u32 s14, s3, s10
	s_cselect_b32 s21, -1, 0
	s_delay_alu instid0(SALU_CYCLE_1) | instskip(SKIP_1) | instid1(SALU_CYCLE_1)
	s_cmp_lg_u32 s21, 0
	s_sub_co_ci_u32 s9, s9, 0
	s_cmp_ge_u32 s9, s11
	s_cselect_b32 s21, -1, 0
	s_cmp_ge_u32 s14, s10
	s_cselect_b32 s14, -1, 0
	s_cmp_eq_u32 s9, s11
	s_cselect_b32 s9, s14, s21
	s_delay_alu instid0(SALU_CYCLE_1)
	s_cmp_lg_u32 s9, 0
	s_cselect_b32 s9, s28, s26
	s_cselect_b32 s14, s29, s27
	s_cmp_lg_u32 s7, 0
	s_sub_co_ci_u32 s7, s15, s25
	s_wait_alu 0xfffe
	s_cmp_ge_u32 s7, s11
	s_cselect_b32 s15, -1, 0
	s_cmp_ge_u32 s3, s10
	s_cselect_b32 s3, -1, 0
	s_cmp_eq_u32 s7, s11
	s_cselect_b32 s3, s3, s15
	s_delay_alu instid0(SALU_CYCLE_1) | instskip(SKIP_3) | instid1(SALU_CYCLE_1)
	s_cmp_lg_u32 s3, 0
	s_cselect_b32 s11, s14, s23
	s_cselect_b32 s10, s9, s22
	s_xor_b64 s[12:13], s[12:13], 0
	s_xor_b64 s[10:11], s[10:11], s[12:13]
	s_delay_alu instid0(SALU_CYCLE_1)
	s_sub_nc_u64 s[10:11], s[10:11], s[12:13]
	s_load_b96 s[12:14], s[0:1], 0x44
	s_and_not1_b32 vcc_lo, exec_lo, s8
	s_cbranch_vccnz .LBB67_6
.LBB67_5:
	v_cvt_f32_u32_e32 v1, s16
	s_sub_co_i32 s7, 0, s16
	s_delay_alu instid0(VALU_DEP_1) | instskip(NEXT) | instid1(TRANS32_DEP_1)
	v_rcp_iflag_f32_e32 v1, v1
	v_mul_f32_e32 v1, 0x4f7ffffe, v1
	s_delay_alu instid0(VALU_DEP_1) | instskip(NEXT) | instid1(VALU_DEP_1)
	v_cvt_u32_f32_e32 v1, v1
	v_readfirstlane_b32 s3, v1
	s_wait_alu 0xfffe
	s_mul_i32 s7, s7, s3
	s_wait_alu 0xfffe
	s_mul_hi_u32 s7, s3, s7
	s_wait_alu 0xfffe
	s_add_co_i32 s3, s3, s7
	s_delay_alu instid0(SALU_CYCLE_1) | instskip(NEXT) | instid1(SALU_CYCLE_1)
	s_mul_hi_u32 s3, s2, s3
	s_mul_i32 s7, s3, s16
	s_wait_alu 0xfffe
	s_sub_co_i32 s2, s2, s7
	s_add_co_i32 s7, s3, 1
	s_sub_co_i32 s8, s2, s16
	s_cmp_ge_u32 s2, s16
	s_wait_alu 0xfffe
	s_cselect_b32 s3, s7, s3
	s_cselect_b32 s2, s8, s2
	s_add_co_i32 s7, s3, 1
	s_cmp_ge_u32 s2, s16
	s_wait_alu 0xfffe
	s_cselect_b32 s10, s7, s3
.LBB67_6:
	s_mov_b32 s21, 0
	s_wait_kmcnt 0x0
	s_mov_b32 s22, s12
	s_mov_b32 s23, s21
	s_cmp_eq_u32 s20, s10
	s_mul_u64 s[2:3], s[20:21], s[22:23]
	s_cselect_b32 s7, -1, 0
	s_add_co_i32 s2, s3, s20
	s_mov_b32 s11, s21
	s_lshr_b32 s12, s2, s13
	s_mul_u64 s[2:3], s[10:11], s[22:23]
	s_mul_i32 s2, s12, s14
	s_delay_alu instid0(SALU_CYCLE_1) | instskip(SKIP_2) | instid1(SALU_CYCLE_1)
	s_cmp_eq_u32 s2, s20
	s_cselect_b32 s2, -1, 0
	s_add_co_i32 s3, s3, s10
	s_lshr_b32 s3, s3, s13
	s_delay_alu instid0(SALU_CYCLE_1)
	s_cmp_eq_u32 s12, s3
	s_mul_i32 s3, s3, s14
	s_cselect_b32 s8, -1, 0
	s_cmp_lg_u32 s3, s10
	s_cselect_b32 s3, -1, 0
	s_wait_alu 0xfffe
	s_or_b32 s2, s7, s2
	s_and_b32 s3, s8, s3
	s_delay_alu instid0(SALU_CYCLE_1) | instskip(NEXT) | instid1(SALU_CYCLE_1)
	s_or_b32 s2, s2, s3
	s_and_b32 vcc_lo, exec_lo, s2
	s_cbranch_vccnz .LBB67_24
; %bb.7:
	s_load_b256 s[24:31], s[0:1], 0x20
	s_mov_b32 s3, s21
	s_and_b32 s15, ttmp7, 0xffff
	s_wait_kmcnt 0x0
	s_mov_b32 s2, s24
	s_delay_alu instid0(SALU_CYCLE_1) | instskip(NEXT) | instid1(SALU_CYCLE_1)
	s_mul_u64 s[2:3], s[20:21], s[2:3]
	s_add_co_i32 s2, s3, s20
	s_delay_alu instid0(SALU_CYCLE_1) | instskip(SKIP_4) | instid1(SALU_CYCLE_1)
	s_lshr_b32 s3, s2, s25
	s_load_b32 s2, s[0:1], 0x40
	s_mul_i32 s7, s3, s26
	s_wait_alu 0xfffe
	s_sub_co_i32 s8, s20, s7
	s_mul_hi_u32 s7, s8, s27
	s_wait_alu 0xfffe
	s_add_co_i32 s7, s8, s7
	s_wait_alu 0xfffe
	s_lshr_b32 s7, s7, s28
	s_wait_alu 0xfffe
	s_mul_i32 s9, s7, s29
	s_delay_alu instid0(SALU_CYCLE_1) | instskip(NEXT) | instid1(SALU_CYCLE_1)
	s_sub_co_i32 s8, s8, s9
	s_mul_hi_u32 s9, s8, s30
	s_delay_alu instid0(SALU_CYCLE_1) | instskip(NEXT) | instid1(SALU_CYCLE_1)
	s_add_co_i32 s9, s8, s9
	s_lshr_b32 s24, s9, s31
	s_mov_b32 s9, s21
	s_wait_kmcnt 0x0
	s_mul_i32 s2, s24, s2
	s_delay_alu instid0(SALU_CYCLE_1) | instskip(NEXT) | instid1(SALU_CYCLE_1)
	s_sub_co_i32 s8, s8, s2
	s_mul_u64 s[10:11], s[8:9], s[22:23]
	s_delay_alu instid0(SALU_CYCLE_1) | instskip(NEXT) | instid1(SALU_CYCLE_1)
	s_add_co_i32 s2, s8, s11
	s_lshr_b32 s21, s2, s13
	s_delay_alu instid0(SALU_CYCLE_1) | instskip(NEXT) | instid1(SALU_CYCLE_1)
	s_lshl_b32 s2, s21, 2
	s_add_co_i32 s8, s2, s15
	s_lshr_b32 s2, ttmp7, 16
	s_cmp_lt_i32 s8, s4
	s_cselect_b32 s8, -1, 0
	s_add_co_i32 s9, s24, s2
	s_delay_alu instid0(SALU_CYCLE_1) | instskip(SKIP_1) | instid1(SALU_CYCLE_1)
	s_cmp_lt_i32 s9, s6
	s_cselect_b32 s9, -1, 0
	s_and_b32 s8, s8, s9
	s_delay_alu instid0(SALU_CYCLE_1)
	s_and_not1_b32 vcc_lo, exec_lo, s8
	s_cbranch_vccnz .LBB67_24
; %bb.8:
	s_mul_i32 s3, s3, s4
	s_mul_i32 s7, s7, s6
	s_add_co_i32 s3, s3, s15
	s_load_b128 s[8:11], s[0:1], 0x0
	s_mul_i32 s3, s3, s5
	s_mul_i32 s1, s5, s21
	s_add_co_i32 s3, s3, s2
	s_lshl_b32 s1, s1, 8
	s_add_co_i32 s0, s3, s7
	s_add_co_i32 s15, s15, s2
	s_add_co_i32 s0, s0, s24
	v_cvt_f32_u32_e32 v4, s16
	s_lshl_b32 s0, s0, 6
	s_add_co_i32 s34, ttmp9, -1
	s_add_co_i32 s1, s1, s0
	s_delay_alu instid0(VALU_DEP_1)
	v_rcp_iflag_f32_e32 v4, v4
	v_or_b32_e32 v1, s1, v0
	s_add_nc_u64 s[0:1], s[16:17], 0
	v_lshl_or_b32 v0, s15, 6, v0
	s_wait_alu 0xfffe
	s_xor_b64 s[6:7], s[0:1], 0
	s_lshl_b32 s0, ttmp9, 2
	v_ashrrev_i32_e32 v2, 31, v1
	s_wait_alu 0xfffe
	s_cvt_f32_u32 s1, s6
	s_cvt_f32_u32 s2, s7
	s_add_co_i32 s0, s0, s15
	s_sub_nc_u64 s[30:31], 0, s[6:7]
	v_lshlrev_b64_e32 v[1:2], 2, v[1:2]
	s_wait_alu 0xfffe
	s_fmamk_f32 s2, s2, 0x4f800000, s1
	s_ashr_i32 s1, s0, 31
	s_wait_alu 0xfffe
	s_lshl_b64 s[0:1], s[0:1], 3
	v_s_rcp_f32 s2, s2
	s_wait_kmcnt 0x0
	v_add_co_u32 v1, vcc_lo, s8, v1
	s_delay_alu instid0(VALU_DEP_1)
	v_add_co_ci_u32_e64 v2, null, s9, v2, vcc_lo
	s_wait_alu 0xfffe
	s_add_nc_u64 s[0:1], s[10:11], s[0:1]
	s_mov_b32 s8, 0
	s_load_b64 s[26:27], s[0:1], 0x0
	global_load_b32 v3, v[1:2], off
	s_mul_f32 s2, s2, 0x5f7ffffc
	v_mul_f32_e32 v4, 0x4f7ffffe, v4
	s_lshl_b32 s0, s16, 4
	s_wait_alu 0xfffe
	s_mul_f32 s1, s2, 0x2f800000
	s_wait_alu 0xfffe
	s_delay_alu instid0(SALU_CYCLE_2)
	s_trunc_f32 s3, s1
	s_mov_b32 s1, s8
	s_wait_alu 0xfffe
	s_lshl_b64 s[0:1], s[0:1], 2
	s_fmamk_f32 s2, s3, 0xcf800000, s2
	s_cvt_u32_f32 s29, s3
	s_wait_alu 0xfffe
	s_add_nc_u64 s[24:25], s[10:11], s[0:1]
	s_cvt_u32_f32 s28, s2
	s_wait_kmcnt 0x0
	v_mov_b32_e32 v5, s27
	v_cvt_u32_f32_e32 v4, v4
.LBB67_9:                               ; =>This Inner Loop Header: Depth=1
	s_wait_alu 0xfffe
	s_ashr_i32 s35, s34, 31
	s_mov_b32 s2, -1
	s_wait_alu 0xfffe
	s_mul_u64 s[0:1], s[34:35], s[18:19]
                                        ; implicit-def: $sgpr38_sgpr39
	s_wait_alu 0xfffe
	s_mov_b32 s9, s1
	s_wait_alu 0xfffe
	s_cmp_lg_u64 s[8:9], 0
	s_cbranch_scc0 .LBB67_11
; %bb.10:                               ;   in Loop: Header=BB67_9 Depth=1
	s_mul_u64 s[2:3], s[30:31], s[28:29]
	s_mov_b32 s37, s8
	s_wait_alu 0xfffe
	s_mul_hi_u32 s5, s28, s3
	s_mul_i32 s4, s28, s3
	s_mul_hi_u32 s36, s28, s2
	s_mul_hi_u32 s9, s29, s2
	s_wait_alu 0xfffe
	s_add_nc_u64 s[4:5], s[36:37], s[4:5]
	s_mul_i32 s2, s29, s2
	s_mul_hi_u32 s17, s29, s3
	s_wait_alu 0xfffe
	s_add_co_u32 s2, s4, s2
	s_add_co_ci_u32 s2, s5, s9
	s_add_co_ci_u32 s5, s17, 0
	s_mul_i32 s4, s29, s3
	s_mov_b32 s3, s8
	s_mov_b32 s39, s8
	s_wait_alu 0xfffe
	s_add_nc_u64 s[2:3], s[2:3], s[4:5]
	s_wait_alu 0xfffe
	s_add_co_u32 s2, s28, s2
	s_cselect_b32 s4, -1, 0
	s_wait_alu 0xfffe
	s_cmp_lg_u32 s4, 0
	s_add_co_ci_u32 s3, s29, s3
	s_wait_alu 0xfffe
	s_mul_u64 s[4:5], s[30:31], s[2:3]
	s_wait_alu 0xfffe
	s_mul_hi_u32 s37, s2, s5
	s_mul_i32 s36, s2, s5
	s_mul_hi_u32 s38, s2, s4
	s_mul_hi_u32 s9, s3, s4
	s_mul_i32 s4, s3, s4
	s_wait_alu 0xfffe
	s_add_nc_u64 s[36:37], s[38:39], s[36:37]
	s_mul_hi_u32 s17, s3, s5
	s_wait_alu 0xfffe
	s_add_co_u32 s4, s36, s4
	s_add_co_ci_u32 s4, s37, s9
	s_add_co_ci_u32 s37, s17, 0
	s_mul_i32 s36, s3, s5
	s_mov_b32 s5, s8
	s_wait_alu 0xfffe
	s_add_nc_u64 s[4:5], s[4:5], s[36:37]
	s_mov_b32 s37, s8
	s_wait_alu 0xfffe
	s_add_co_u32 s9, s2, s4
	s_cselect_b32 s2, -1, 0
	s_wait_alu 0xfffe
	s_cmp_lg_u32 s2, 0
	s_add_co_ci_u32 s17, s3, s5
	s_ashr_i32 s2, s1, 31
	s_wait_alu 0xfffe
	s_mov_b32 s3, s2
	s_wait_alu 0xfffe
	s_add_nc_u64 s[4:5], s[0:1], s[2:3]
	s_wait_alu 0xfffe
	s_xor_b64 s[4:5], s[4:5], s[2:3]
	s_wait_alu 0xfffe
	s_mul_hi_u32 s39, s4, s17
	s_mul_i32 s38, s4, s17
	s_mul_hi_u32 s36, s4, s9
	s_mul_i32 s21, s5, s9
	s_wait_alu 0xfffe
	s_add_nc_u64 s[36:37], s[36:37], s[38:39]
	s_mul_hi_u32 s9, s5, s9
	s_mul_hi_u32 s1, s5, s17
	s_wait_alu 0xfffe
	s_add_co_u32 s21, s36, s21
	s_add_co_ci_u32 s36, s37, s9
	s_add_co_ci_u32 s39, s1, 0
	s_mul_i32 s38, s5, s17
	s_mov_b32 s37, s8
	s_wait_alu 0xfffe
	s_add_nc_u64 s[36:37], s[36:37], s[38:39]
	s_wait_alu 0xfffe
	s_mul_u64 s[38:39], s[6:7], s[36:37]
	s_add_nc_u64 s[40:41], s[36:37], 1
	s_sub_co_u32 s1, s4, s38
	s_cselect_b32 s4, -1, 0
	s_sub_co_i32 s9, s5, s39
	s_wait_alu 0xfffe
	s_cmp_lg_u32 s4, 0
	s_add_nc_u64 s[42:43], s[36:37], 2
	s_sub_co_ci_u32 s9, s9, s7
	s_sub_co_u32 s17, s1, s6
	s_cselect_b32 s21, -1, 0
	s_delay_alu instid0(SALU_CYCLE_1)
	s_cmp_lg_u32 s21, 0
	s_wait_alu 0xfffe
	s_sub_co_ci_u32 s9, s9, 0
	s_wait_alu 0xfffe
	s_cmp_ge_u32 s9, s7
	s_cselect_b32 s21, -1, 0
	s_cmp_ge_u32 s17, s6
	s_cselect_b32 s17, -1, 0
	s_cmp_eq_u32 s9, s7
	s_wait_alu 0xfffe
	s_cselect_b32 s9, s17, s21
	s_wait_alu 0xfffe
	s_cmp_lg_u32 s9, 0
	s_cselect_b32 s9, s42, s40
	s_cselect_b32 s17, s43, s41
	s_cmp_lg_u32 s4, 0
	s_sub_co_ci_u32 s4, s5, s39
	s_wait_alu 0xfffe
	s_cmp_ge_u32 s4, s7
	s_cselect_b32 s5, -1, 0
	s_cmp_ge_u32 s1, s6
	s_cselect_b32 s1, -1, 0
	s_cmp_eq_u32 s4, s7
	s_wait_alu 0xfffe
	s_cselect_b32 s1, s1, s5
	s_wait_alu 0xfffe
	s_cmp_lg_u32 s1, 0
	s_cselect_b32 s5, s17, s37
	s_cselect_b32 s4, s9, s36
	s_xor_b64 s[2:3], s[2:3], 0
	s_wait_alu 0xfffe
	s_xor_b64 s[4:5], s[4:5], s[2:3]
	s_wait_alu 0xfffe
	s_sub_nc_u64 s[38:39], s[4:5], s[2:3]
	s_mov_b32 s2, 0
.LBB67_11:                              ;   in Loop: Header=BB67_9 Depth=1
	s_wait_alu 0xfffe
	s_and_not1_b32 vcc_lo, exec_lo, s2
	s_wait_alu 0xfffe
	s_cbranch_vccnz .LBB67_13
; %bb.12:                               ;   in Loop: Header=BB67_9 Depth=1
	v_readfirstlane_b32 s1, v4
	s_sub_co_i32 s2, 0, s16
	s_wait_alu 0xfffe
	s_mul_i32 s2, s2, s1
	s_wait_alu 0xfffe
	s_mul_hi_u32 s2, s1, s2
	s_wait_alu 0xfffe
	s_add_co_i32 s1, s1, s2
	s_wait_alu 0xfffe
	s_mul_hi_u32 s1, s0, s1
	s_wait_alu 0xfffe
	s_mul_i32 s2, s1, s16
	s_wait_alu 0xfffe
	s_sub_co_i32 s0, s0, s2
	s_add_co_i32 s2, s1, 1
	s_wait_alu 0xfffe
	s_sub_co_i32 s3, s0, s16
	s_cmp_ge_u32 s0, s16
	s_cselect_b32 s1, s2, s1
	s_wait_alu 0xfffe
	s_cselect_b32 s0, s3, s0
	s_add_co_i32 s2, s1, 1
	s_wait_alu 0xfffe
	s_cmp_ge_u32 s0, s16
	s_cselect_b32 s38, s2, s1
.LBB67_13:                              ;   in Loop: Header=BB67_9 Depth=1
	v_readfirstlane_b32 s9, v0
	s_cmp_lg_u32 s20, s38
	s_mov_b32 s0, -1
                                        ; implicit-def: $sgpr21
                                        ; implicit-def: $vgpr6
                                        ; implicit-def: $vgpr7
                                        ; implicit-def: $sgpr17
                                        ; implicit-def: $sgpr27
	s_cbranch_scc1 .LBB67_16
; %bb.14:                               ;   in Loop: Header=BB67_9 Depth=1
	s_wait_alu 0xfffe
	s_and_not1_b32 vcc_lo, exec_lo, s0
	s_wait_alu 0xfffe
	s_cbranch_vccz .LBB67_19
.LBB67_15:                              ;   in Loop: Header=BB67_9 Depth=1
	s_and_not1_b32 vcc_lo, exec_lo, s21
	s_wait_alu 0xfffe
	s_cbranch_vccnz .LBB67_20
	s_branch .LBB67_23
.LBB67_16:                              ;   in Loop: Header=BB67_9 Depth=1
	s_add_co_i32 s0, s34, s16
	s_mov_b32 s1, s8
	s_wait_alu 0xfffe
	s_lshl_b32 s0, s0, 2
	v_max_num_f32_e64 v6, s26, s26
	s_wait_alu 0xfffe
	s_add_co_i32 s0, s0, s15
	s_mov_b32 s39, s8
	s_wait_alu 0xfffe
	s_lshl_b64 s[0:1], s[0:1], 3
	s_mul_u64 s[40:41], s[38:39], s[22:23]
	s_wait_alu 0xfffe
	s_add_nc_u64 s[0:1], s[10:11], s[0:1]
	s_mov_b32 s27, s20
	s_load_b64 s[36:37], s[0:1], 0x0
	v_readfirstlane_b32 s0, v6
	s_wait_kmcnt 0x0
	v_max_num_f32_e64 v7, s36, s36
	s_delay_alu instid0(VALU_DEP_1) | instskip(SKIP_2) | instid1(SALU_CYCLE_2)
	v_readfirstlane_b32 s1, v7
	s_max_num_f32 s9, s0, s1
	s_wait_alu 0xfffe
	s_sub_f32 s33, s26, s9
	s_sub_f32 s35, s36, s9
	s_wait_alu 0xfffe
	s_delay_alu instid0(SALU_CYCLE_1)
	s_cmp_nlt_f32 s33, 0xc2ce8ed0
	s_cselect_b32 s0, -1, 0
	s_cmp_ngt_f32 s33, 0x42b17218
	s_cselect_b32 s1, -1, 0
	s_cmp_ge_f32 s33, 0xc1a00000
	s_cselect_b32 s2, -1, 0
	s_cmp_nlt_f32 s35, 0xc2ce8ed0
	s_cselect_b32 s3, -1, 0
	s_cmp_ngt_f32 s35, 0x42b17218
	s_cselect_b32 s4, -1, 0
	s_cmp_ge_f32 s35, 0xc1a00000
	s_cselect_b32 s5, -1, 0
	s_add_co_i32 s17, s41, s38
	s_wait_alu 0xfffe
	s_lshr_b32 s17, s17, s13
	s_wait_alu 0xfffe
	s_mul_i32 s21, s17, s14
	s_delay_alu instid0(SALU_CYCLE_1)
	s_cmp_eq_u32 s21, s38
	s_cselect_b32 s21, -1, 0
	s_cmp_lt_u32 s17, s12
	s_cselect_b32 s17, -1, 0
	s_wait_alu 0xfffe
	s_or_b32 s17, s17, s21
	s_mov_b32 s21, -1
	s_wait_alu 0xfffe
	s_and_b32 vcc_lo, exec_lo, s17
	s_mov_b32 s17, s34
	s_wait_alu 0xfffe
	s_cbranch_vccnz .LBB67_18
; %bb.17:                               ;   in Loop: Header=BB67_9 Depth=1
	s_add_co_i32 s17, s34, -1
	s_mov_b32 s21, 0
	s_mov_b32 s27, s38
.LBB67_18:                              ;   in Loop: Header=BB67_9 Depth=1
	v_lshl_add_u32 v6, s34, 8, v0
	s_mul_f32 s36, s35, 0x3fb8aa3b
	s_mul_f32 s38, s33, 0x3fb8aa3b
	s_wait_alu 0xfffe
	s_delay_alu instid0(SALU_CYCLE_1)
	s_xor_b32 s39, s36, 0x80000000
	v_ashrrev_i32_e32 v7, 31, v6
	s_rndne_f32 s40, s36
	s_fmamk_f32 s39, s35, 0x3fb8aa3b, s39
	s_xor_b32 s41, s38, 0x80000000
	s_rndne_f32 s42, s38
	v_lshlrev_b64_e32 v[6:7], 2, v[6:7]
	s_sub_f32 s36, s36, s40
	s_fmamk_f32 s35, s35, 0x32a5705f, s39
	s_fmamk_f32 s39, s33, 0x3fb8aa3b, s41
	s_sub_f32 s38, s38, s42
	s_delay_alu instid0(VALU_DEP_1)
	v_add_co_u32 v6, vcc_lo, s24, v6
	s_wait_alu 0xfffd
	v_add_co_ci_u32_e64 v7, null, s25, v7, vcc_lo
	s_wait_alu 0xfffe
	s_add_f32 s35, s36, s35
	s_fmamk_f32 s33, s33, 0x32a5705f, s39
	s_cvt_i32_f32 s36, s40
	global_load_b32 v6, v[6:7], off
	s_wait_alu 0xfffe
	v_s_exp_f32 s35, s35
	s_add_f32 s33, s38, s33
	s_wait_alu 0xfffe
	s_delay_alu instid0(SALU_CYCLE_2) | instskip(NEXT) | instid1(TRANS32_DEP_2)
	v_s_exp_f32 s33, s33
	v_ldexp_f32 v7, s35, s36
	s_cvt_i32_f32 s35, s42
	s_wait_alu 0xf1fe
	s_delay_alu instid0(TRANS32_DEP_1) | instid1(SALU_CYCLE_2)
	v_ldexp_f32 v8, s33, s35
	s_delay_alu instid0(VALU_DEP_2) | instskip(NEXT) | instid1(VALU_DEP_2)
	v_cndmask_b32_e64 v7, 0, v7, s3
	v_cndmask_b32_e64 v8, 0, v8, s0
	s_delay_alu instid0(VALU_DEP_2) | instskip(NEXT) | instid1(VALU_DEP_2)
	v_cndmask_b32_e64 v7, 0x7f800000, v7, s4
	v_cndmask_b32_e64 v8, 0x7f800000, v8, s1
	;; [unrolled: 3-line block ×3, first 2 shown]
	s_wait_loadcnt 0x0
	s_delay_alu instid0(VALU_DEP_2) | instskip(SKIP_1) | instid1(VALU_DEP_1)
	v_mul_f32_e32 v6, v6, v7
	v_mul_f32_e32 v7, s37, v7
	v_fmac_f32_e32 v7, v5, v8
	s_delay_alu instid0(VALU_DEP_3)
	v_fmac_f32_e32 v6, v3, v8
	s_cbranch_execnz .LBB67_15
.LBB67_19:                              ;   in Loop: Header=BB67_9 Depth=1
	s_wait_loadcnt 0x0
	v_dual_mov_b32 v7, v5 :: v_dual_mov_b32 v6, v3
	s_add_co_i32 s17, s34, -1
	s_mov_b32 s27, s20
	s_mov_b32 s9, s26
	s_cbranch_execz .LBB67_23
.LBB67_20:                              ;   in Loop: Header=BB67_9 Depth=1
	v_mov_b32_e32 v5, v7
	s_wait_loadcnt 0x0
	v_mov_b32_e32 v3, v6
	s_wait_alu 0xfffe
	s_mov_b32 s20, s27
	s_mov_b32 s34, s17
	;; [unrolled: 1-line block ×3, first 2 shown]
	s_branch .LBB67_9
.LBB67_21:
                                        ; implicit-def: $sgpr20_sgpr21
	s_branch .LBB67_2
.LBB67_22:
                                        ; implicit-def: $sgpr10_sgpr11
	s_load_b96 s[12:14], s[0:1], 0x44
	s_branch .LBB67_5
.LBB67_23:
	v_div_scale_f32 v0, null, v7, v7, v6
	s_wait_loadcnt 0x0
	s_delay_alu instid0(VALU_DEP_1) | instskip(NEXT) | instid1(TRANS32_DEP_1)
	v_rcp_f32_e32 v3, v0
	v_fma_f32 v4, -v0, v3, 1.0
	s_delay_alu instid0(VALU_DEP_1) | instskip(SKIP_1) | instid1(VALU_DEP_1)
	v_fmac_f32_e32 v3, v4, v3
	v_div_scale_f32 v4, vcc_lo, v6, v7, v6
	v_mul_f32_e32 v5, v4, v3
	s_delay_alu instid0(VALU_DEP_1) | instskip(NEXT) | instid1(VALU_DEP_1)
	v_fma_f32 v8, -v0, v5, v4
	v_fmac_f32_e32 v5, v8, v3
	s_delay_alu instid0(VALU_DEP_1) | instskip(SKIP_1) | instid1(VALU_DEP_1)
	v_fma_f32 v0, -v0, v5, v4
	s_wait_alu 0xfffd
	v_div_fmas_f32 v0, v0, v3, v5
	s_delay_alu instid0(VALU_DEP_1)
	v_div_fixup_f32 v0, v0, v7, v6
	global_store_b32 v[1:2], v0, off
.LBB67_24:
	s_endpgm
	.section	.rodata,"a",@progbits
	.p2align	6, 0x0
	.amdhsa_kernel _ZL33flash_attn_stream_k_fixup_generalILi64ELi4ELi1EEvPfPK15HIP_vector_typeIfLj2EEiiiiS1_IjLj3EES5_S5_S5_
		.amdhsa_group_segment_fixed_size 0
		.amdhsa_private_segment_fixed_size 0
		.amdhsa_kernarg_size 336
		.amdhsa_user_sgpr_count 2
		.amdhsa_user_sgpr_dispatch_ptr 0
		.amdhsa_user_sgpr_queue_ptr 0
		.amdhsa_user_sgpr_kernarg_segment_ptr 1
		.amdhsa_user_sgpr_dispatch_id 0
		.amdhsa_user_sgpr_private_segment_size 0
		.amdhsa_wavefront_size32 1
		.amdhsa_uses_dynamic_stack 0
		.amdhsa_enable_private_segment 0
		.amdhsa_system_sgpr_workgroup_id_x 1
		.amdhsa_system_sgpr_workgroup_id_y 1
		.amdhsa_system_sgpr_workgroup_id_z 1
		.amdhsa_system_sgpr_workgroup_info 0
		.amdhsa_system_vgpr_workitem_id 0
		.amdhsa_next_free_vgpr 9
		.amdhsa_next_free_sgpr 44
		.amdhsa_reserve_vcc 1
		.amdhsa_float_round_mode_32 0
		.amdhsa_float_round_mode_16_64 0
		.amdhsa_float_denorm_mode_32 3
		.amdhsa_float_denorm_mode_16_64 3
		.amdhsa_fp16_overflow 0
		.amdhsa_workgroup_processor_mode 1
		.amdhsa_memory_ordered 1
		.amdhsa_forward_progress 1
		.amdhsa_inst_pref_size 28
		.amdhsa_round_robin_scheduling 0
		.amdhsa_exception_fp_ieee_invalid_op 0
		.amdhsa_exception_fp_denorm_src 0
		.amdhsa_exception_fp_ieee_div_zero 0
		.amdhsa_exception_fp_ieee_overflow 0
		.amdhsa_exception_fp_ieee_underflow 0
		.amdhsa_exception_fp_ieee_inexact 0
		.amdhsa_exception_int_div_zero 0
	.end_amdhsa_kernel
	.section	.text._ZL33flash_attn_stream_k_fixup_generalILi64ELi4ELi1EEvPfPK15HIP_vector_typeIfLj2EEiiiiS1_IjLj3EES5_S5_S5_,"axG",@progbits,_ZL33flash_attn_stream_k_fixup_generalILi64ELi4ELi1EEvPfPK15HIP_vector_typeIfLj2EEiiiiS1_IjLj3EES5_S5_S5_,comdat
.Lfunc_end67:
	.size	_ZL33flash_attn_stream_k_fixup_generalILi64ELi4ELi1EEvPfPK15HIP_vector_typeIfLj2EEiiiiS1_IjLj3EES5_S5_S5_, .Lfunc_end67-_ZL33flash_attn_stream_k_fixup_generalILi64ELi4ELi1EEvPfPK15HIP_vector_typeIfLj2EEiiiiS1_IjLj3EES5_S5_S5_
                                        ; -- End function
	.set _ZL33flash_attn_stream_k_fixup_generalILi64ELi4ELi1EEvPfPK15HIP_vector_typeIfLj2EEiiiiS1_IjLj3EES5_S5_S5_.num_vgpr, 9
	.set _ZL33flash_attn_stream_k_fixup_generalILi64ELi4ELi1EEvPfPK15HIP_vector_typeIfLj2EEiiiiS1_IjLj3EES5_S5_S5_.num_agpr, 0
	.set _ZL33flash_attn_stream_k_fixup_generalILi64ELi4ELi1EEvPfPK15HIP_vector_typeIfLj2EEiiiiS1_IjLj3EES5_S5_S5_.numbered_sgpr, 44
	.set _ZL33flash_attn_stream_k_fixup_generalILi64ELi4ELi1EEvPfPK15HIP_vector_typeIfLj2EEiiiiS1_IjLj3EES5_S5_S5_.num_named_barrier, 0
	.set _ZL33flash_attn_stream_k_fixup_generalILi64ELi4ELi1EEvPfPK15HIP_vector_typeIfLj2EEiiiiS1_IjLj3EES5_S5_S5_.private_seg_size, 0
	.set _ZL33flash_attn_stream_k_fixup_generalILi64ELi4ELi1EEvPfPK15HIP_vector_typeIfLj2EEiiiiS1_IjLj3EES5_S5_S5_.uses_vcc, 1
	.set _ZL33flash_attn_stream_k_fixup_generalILi64ELi4ELi1EEvPfPK15HIP_vector_typeIfLj2EEiiiiS1_IjLj3EES5_S5_S5_.uses_flat_scratch, 0
	.set _ZL33flash_attn_stream_k_fixup_generalILi64ELi4ELi1EEvPfPK15HIP_vector_typeIfLj2EEiiiiS1_IjLj3EES5_S5_S5_.has_dyn_sized_stack, 0
	.set _ZL33flash_attn_stream_k_fixup_generalILi64ELi4ELi1EEvPfPK15HIP_vector_typeIfLj2EEiiiiS1_IjLj3EES5_S5_S5_.has_recursion, 0
	.set _ZL33flash_attn_stream_k_fixup_generalILi64ELi4ELi1EEvPfPK15HIP_vector_typeIfLj2EEiiiiS1_IjLj3EES5_S5_S5_.has_indirect_call, 0
	.section	.AMDGPU.csdata,"",@progbits
; Kernel info:
; codeLenInByte = 3556
; TotalNumSgprs: 46
; NumVgprs: 9
; ScratchSize: 0
; MemoryBound: 0
; FloatMode: 240
; IeeeMode: 1
; LDSByteSize: 0 bytes/workgroup (compile time only)
; SGPRBlocks: 0
; VGPRBlocks: 1
; NumSGPRsForWavesPerEU: 46
; NumVGPRsForWavesPerEU: 9
; Occupancy: 16
; WaveLimiterHint : 0
; COMPUTE_PGM_RSRC2:SCRATCH_EN: 0
; COMPUTE_PGM_RSRC2:USER_SGPR: 2
; COMPUTE_PGM_RSRC2:TRAP_HANDLER: 0
; COMPUTE_PGM_RSRC2:TGID_X_EN: 1
; COMPUTE_PGM_RSRC2:TGID_Y_EN: 1
; COMPUTE_PGM_RSRC2:TGID_Z_EN: 1
; COMPUTE_PGM_RSRC2:TIDIG_COMP_CNT: 0
	.section	.text._ZL15flash_attn_tileILi64ELi64ELi2ELi1ELb0EEvPKcS1_S1_S1_S1_PKiPfP15HIP_vector_typeIfLj2EEffffjfiS5_IjLj3EEiiiiiiiiiiiliiliiiiil,"axG",@progbits,_ZL15flash_attn_tileILi64ELi64ELi2ELi1ELb0EEvPKcS1_S1_S1_S1_PKiPfP15HIP_vector_typeIfLj2EEffffjfiS5_IjLj3EEiiiiiiiiiiiliiliiiiil,comdat
	.globl	_ZL15flash_attn_tileILi64ELi64ELi2ELi1ELb0EEvPKcS1_S1_S1_S1_PKiPfP15HIP_vector_typeIfLj2EEffffjfiS5_IjLj3EEiiiiiiiiiiiliiliiiiil ; -- Begin function _ZL15flash_attn_tileILi64ELi64ELi2ELi1ELb0EEvPKcS1_S1_S1_S1_PKiPfP15HIP_vector_typeIfLj2EEffffjfiS5_IjLj3EEiiiiiiiiiiiliiliiiiil
	.p2align	8
	.type	_ZL15flash_attn_tileILi64ELi64ELi2ELi1ELb0EEvPKcS1_S1_S1_S1_PKiPfP15HIP_vector_typeIfLj2EEffffjfiS5_IjLj3EEiiiiiiiiiiiliiliiiiil,@function
_ZL15flash_attn_tileILi64ELi64ELi2ELi1ELb0EEvPKcS1_S1_S1_S1_PKiPfP15HIP_vector_typeIfLj2EEffffjfiS5_IjLj3EEiiiiiiiiiiiliiliiiiil: ; @_ZL15flash_attn_tileILi64ELi64ELi2ELi1ELb0EEvPKcS1_S1_S1_S1_PKiPfP15HIP_vector_typeIfLj2EEffffjfiS5_IjLj3EEiiiiiiiiiiiliiliiiiil
; %bb.0:
	s_clause 0x1
	s_load_b128 s[20:23], s[0:1], 0x5c
	s_load_b64 s[2:3], s[0:1], 0x80
	s_lshr_b32 s6, ttmp7, 16
	s_load_b64 s[38:39], s[0:1], 0xb8
	s_mov_b32 s37, 0
	s_mov_b64 s[34:35], 0
	s_wait_kmcnt 0x0
	s_cvt_f32_u32 s4, s23
	s_sub_co_i32 s5, 0, s23
	s_delay_alu instid0(SALU_CYCLE_2) | instskip(NEXT) | instid1(TRANS32_DEP_1)
	v_rcp_iflag_f32_e32 v1, s4
	v_readfirstlane_b32 s4, v1
	s_mul_f32 s4, s4, 0x4f7ffffe
	s_wait_alu 0xfffe
	s_delay_alu instid0(SALU_CYCLE_2) | instskip(SKIP_1) | instid1(SALU_CYCLE_2)
	s_cvt_u32_f32 s4, s4
	s_wait_alu 0xfffe
	s_mul_i32 s5, s5, s4
	s_wait_alu 0xfffe
	s_mul_hi_u32 s5, s4, s5
	s_wait_alu 0xfffe
	s_add_co_i32 s4, s4, s5
	s_wait_alu 0xfffe
	s_mul_hi_u32 s4, s6, s4
	s_wait_alu 0xfffe
	s_mul_i32 s5, s4, s23
	s_add_co_i32 s7, s4, 1
	s_wait_alu 0xfffe
	s_sub_co_i32 s5, s6, s5
	s_wait_alu 0xfffe
	s_sub_co_i32 s8, s5, s23
	s_cmp_ge_u32 s5, s23
	s_cselect_b32 s4, s7, s4
	s_cselect_b32 s5, s8, s5
	s_wait_alu 0xfffe
	s_add_co_i32 s7, s4, 1
	s_cmp_ge_u32 s5, s23
	s_cselect_b32 s28, s7, s4
	s_abs_i32 s4, s3
	s_abs_i32 s9, s23
	s_wait_alu 0xfffe
	s_cvt_f32_u32 s5, s4
	s_sub_co_i32 s7, 0, s4
	s_mul_i32 s8, s28, s23
	s_xor_b32 s3, s23, s3
	s_wait_alu 0xfffe
	v_rcp_iflag_f32_e32 v1, s5
	s_sub_co_i32 s30, s6, s8
	s_ashr_i32 s3, s3, 31
	s_delay_alu instid0(TRANS32_DEP_1) | instskip(SKIP_2) | instid1(SALU_CYCLE_2)
	v_readfirstlane_b32 s5, v1
	s_mul_f32 s5, s5, 0x4f7ffffe
	s_wait_alu 0xfffe
	s_cvt_u32_f32 s5, s5
	s_wait_alu 0xfffe
	s_delay_alu instid0(SALU_CYCLE_2) | instskip(NEXT) | instid1(SALU_CYCLE_1)
	s_mul_i32 s7, s7, s5
	s_mul_hi_u32 s7, s5, s7
	s_delay_alu instid0(SALU_CYCLE_1)
	s_add_co_i32 s5, s5, s7
	s_wait_alu 0xfffe
	s_mul_hi_u32 s5, s9, s5
	s_wait_alu 0xfffe
	s_mul_i32 s6, s5, s4
	s_add_co_i32 s7, s5, 1
	s_sub_co_i32 s6, s9, s6
	s_delay_alu instid0(SALU_CYCLE_1)
	s_sub_co_i32 s8, s6, s4
	s_cmp_ge_u32 s6, s4
	s_cselect_b32 s5, s7, s5
	s_cselect_b32 s6, s8, s6
	s_wait_alu 0xfffe
	s_add_co_i32 s7, s5, 1
	s_cmp_ge_u32 s6, s4
	s_cselect_b32 s4, s7, s5
	s_abs_i32 s36, s30
	s_wait_alu 0xfffe
	s_xor_b32 s4, s4, s3
	s_wait_alu 0xfffe
	s_sub_co_i32 s29, s4, s3
	s_delay_alu instid0(SALU_CYCLE_1) | instskip(NEXT) | instid1(SALU_CYCLE_1)
	s_abs_i32 s3, s29
	s_cvt_f32_u32 s4, s3
	s_sub_co_i32 s25, 0, s3
	s_wait_alu 0xfffe
	s_delay_alu instid0(SALU_CYCLE_1) | instskip(SKIP_1) | instid1(TRANS32_DEP_1)
	v_rcp_iflag_f32_e32 v1, s4
	s_load_b512 s[4:19], s[0:1], 0x0
	v_readfirstlane_b32 s24, v1
	s_mul_f32 s24, s24, 0x4f7ffffe
	s_delay_alu instid0(SALU_CYCLE_3) | instskip(NEXT) | instid1(SALU_CYCLE_3)
	s_cvt_u32_f32 s24, s24
	s_mul_i32 s25, s25, s24
	s_delay_alu instid0(SALU_CYCLE_1) | instskip(NEXT) | instid1(SALU_CYCLE_1)
	s_mul_hi_u32 s25, s24, s25
	s_add_co_i32 s40, s24, s25
	s_wait_kmcnt 0x0
	s_cmp_eq_u64 s[10:11], 0
	s_cbranch_scc1 .LBB68_2
; %bb.1:
	s_abs_i32 s26, s38
	s_delay_alu instid0(SALU_CYCLE_1) | instskip(NEXT) | instid1(SALU_CYCLE_3)
	s_cvt_f32_u32 s24, s26
	v_rcp_iflag_f32_e32 v1, s24
	s_delay_alu instid0(TRANS32_DEP_1) | instskip(SKIP_2) | instid1(SALU_CYCLE_2)
	v_readfirstlane_b32 s24, v1
	s_mul_f32 s24, s24, 0x4f7ffffe
	s_wait_alu 0xfffe
	s_cvt_u32_f32 s27, s24
	s_sub_co_i32 s24, 0, s26
	s_wait_alu 0xfffe
	s_delay_alu instid0(SALU_CYCLE_1) | instskip(SKIP_4) | instid1(SALU_CYCLE_1)
	s_mul_i32 s24, s24, s27
	s_wait_alu 0xfffe
	s_mul_hi_u32 s31, s27, s24
	s_load_b64 s[24:25], s[0:1], 0xc8
	s_add_co_i32 s27, s27, s31
	s_mul_hi_u32 s27, s28, s27
	s_delay_alu instid0(SALU_CYCLE_1) | instskip(NEXT) | instid1(SALU_CYCLE_1)
	s_mul_i32 s27, s27, s26
	s_sub_co_i32 s27, s28, s27
	s_delay_alu instid0(SALU_CYCLE_1) | instskip(SKIP_2) | instid1(SALU_CYCLE_1)
	s_sub_co_i32 s31, s27, s26
	s_cmp_ge_u32 s27, s26
	s_cselect_b32 s27, s31, s27
	s_sub_co_i32 s31, s27, s26
	s_cmp_ge_u32 s27, s26
	s_cselect_b32 s26, s31, s27
	s_delay_alu instid0(SALU_CYCLE_1)
	s_ashr_i32 s27, s26, 31
	s_wait_kmcnt 0x0
	s_mul_u64 s[24:25], s[24:25], s[26:27]
	s_wait_alu 0xfffe
	s_add_nc_u64 s[34:35], s[10:11], s[24:25]
.LBB68_2:
	s_clause 0x1
	s_load_b128 s[24:27], s[0:1], 0x40
	s_load_b32 s10, s[0:1], 0x50
	v_mov_b32_e32 v24, 1.0
	s_mov_b32 s41, s37
	s_wait_kmcnt 0x0
	s_cmp_le_f32 s25, 0
	s_cbranch_scc1 .LBB68_4
; %bb.3:
	v_sub_co_u32 v1, s10, s30, s10
	s_and_b32 s25, s10, exec_lo
	s_cselect_b32 s25, s26, s27
	s_add_co_i32 s26, s30, 1
	v_readfirstlane_b32 s11, v1
	s_lshl_b32 s11, s11, 1
	s_wait_alu 0xfffe
	s_or_b32 s11, s11, 1
	s_and_b32 s10, s10, exec_lo
	s_wait_alu 0xfffe
	s_cselect_b32 s10, s26, s11
	s_cmp_neq_f32 s25, 1.0
	s_wait_alu 0xfffe
	s_cvt_f32_i32 s10, s10
	s_wait_alu 0xfffe
	s_delay_alu instid0(SALU_CYCLE_2)
	s_cselect_b32 s11, s10, 1.0
	s_wait_alu 0xfffe
	s_cmp_neq_f32 s11, 0
	s_cselect_b32 s10, s25, 1.0
	s_wait_alu 0xfffe
	v_frexp_mant_f32_e64 v1, |s10|
	s_delay_alu instid0(VALU_DEP_1) | instskip(SKIP_3) | instid1(SALU_CYCLE_1)
	v_readfirstlane_b32 s25, v1
	v_cvt_f64_f32_e64 v[1:2], |s10|
	s_cmp_lt_f32 s25, 0x3f2aaaab
	s_cselect_b32 s26, -1, 0
	s_and_b32 s27, s26, exec_lo
	s_cselect_b32 s27, 2.0, 1.0
	s_delay_alu instid0(SALU_CYCLE_1) | instskip(SKIP_1) | instid1(SALU_CYCLE_2)
	s_mul_f32 s25, s25, s27
	s_wait_alu 0xfffe
	s_add_f32 s27, s25, 1.0
	s_add_f32 s33, s25, -1.0
	s_delay_alu instid0(SALU_CYCLE_2) | instskip(SKIP_1) | instid1(SALU_CYCLE_3)
	v_s_rcp_f32 s31, s27
	s_add_f32 s43, s27, -1.0
	s_sub_f32 s25, s25, s43
	s_delay_alu instid0(TRANS32_DEP_1) | instskip(NEXT) | instid1(SALU_CYCLE_3)
	s_mul_f32 s38, s33, s31
	s_mul_f32 s42, s27, s38
	s_delay_alu instid0(SALU_CYCLE_3) | instskip(NEXT) | instid1(VALU_DEP_1)
	s_xor_b32 s44, s42, 0x80000000
	v_frexp_exp_i32_f64_e32 v1, v[1:2]
	s_fmac_f32 s44, s38, s27
	s_wait_alu 0xfffe
	s_delay_alu instid0(SALU_CYCLE_2) | instskip(NEXT) | instid1(SALU_CYCLE_3)
	s_fmac_f32 s44, s38, s25
	s_add_f32 s25, s42, s44
	s_wait_alu 0xfffe
	s_delay_alu instid0(SALU_CYCLE_2) | instskip(SKIP_2) | instid1(SALU_CYCLE_1)
	s_sub_f32 s27, s33, s25
	s_sub_f32 s42, s25, s42
	s_wait_alu 0xfffe
	s_sub_f32 s33, s33, s27
	s_delay_alu instid0(SALU_CYCLE_1) | instskip(NEXT) | instid1(SALU_CYCLE_2)
	s_sub_f32 s42, s42, s44
	s_sub_f32 s25, s33, s25
	s_wait_alu 0xfffe
	s_delay_alu instid0(SALU_CYCLE_2) | instskip(SKIP_2) | instid1(SALU_CYCLE_1)
	s_add_f32 s25, s42, s25
	s_mov_b32 s42, 0x3e76c4e1
	s_wait_alu 0xfffe
	s_add_f32 s25, s27, s25
	s_wait_alu 0xfffe
	s_delay_alu instid0(SALU_CYCLE_2) | instskip(SKIP_1) | instid1(SALU_CYCLE_2)
	s_mul_f32 s25, s31, s25
	s_wait_alu 0xfffe
	s_add_f32 s27, s38, s25
	s_wait_alu 0xfffe
	s_delay_alu instid0(SALU_CYCLE_2) | instskip(SKIP_2) | instid1(SALU_CYCLE_1)
	s_sub_f32 s31, s27, s38
	s_mul_f32 s33, s27, s27
	s_wait_alu 0xfffe
	s_sub_f32 s25, s25, s31
	s_delay_alu instid0(SALU_CYCLE_1) | instskip(SKIP_4) | instid1(SALU_CYCLE_2)
	s_xor_b32 s31, s33, 0x80000000
	s_wait_alu 0xfffe
	s_fmac_f32 s31, s27, s27
	s_add_f32 s38, s25, s25
	s_wait_alu 0xfffe
	s_fmac_f32 s31, s27, s38
	s_wait_alu 0xfffe
	s_delay_alu instid0(SALU_CYCLE_2) | instskip(NEXT) | instid1(SALU_CYCLE_3)
	s_add_f32 s38, s33, s31
	s_fmaak_f32 s42, s38, s42, 0x3e91f4c4
	s_sub_f32 s33, s38, s33
	s_delay_alu instid0(SALU_CYCLE_2) | instskip(NEXT) | instid1(SALU_CYCLE_2)
	s_fmaak_f32 s42, s38, s42, 0x3ecccdef
	s_sub_f32 s31, s31, s33
	s_mul_f32 s33, s27, s38
	s_delay_alu instid0(SALU_CYCLE_1) | instskip(NEXT) | instid1(SALU_CYCLE_2)
	s_mul_f32 s43, s38, s42
	s_xor_b32 s45, s33, 0x80000000
	s_delay_alu instid0(SALU_CYCLE_2) | instskip(SKIP_2) | instid1(SALU_CYCLE_2)
	s_xor_b32 s44, s43, 0x80000000
	s_fmac_f32 s45, s38, s27
	s_fmac_f32 s44, s38, s42
	;; [unrolled: 1-line block ×3, first 2 shown]
	s_wait_alu 0xfffe
	s_delay_alu instid0(SALU_CYCLE_1) | instskip(NEXT) | instid1(SALU_CYCLE_1)
	s_fmac_f32 s44, s31, s42
	s_fmac_f32 s45, s31, s27
	s_delay_alu instid0(SALU_CYCLE_2) | instskip(NEXT) | instid1(SALU_CYCLE_3)
	s_add_f32 s42, s43, s44
	s_sub_f32 s43, s42, s43
	s_add_f32 s46, s42, 0x3f2aaaaa
	s_delay_alu instid0(SALU_CYCLE_2) | instskip(NEXT) | instid1(SALU_CYCLE_2)
	s_sub_f32 s43, s44, s43
	s_add_f32 s44, s46, 0xbf2aaaaa
	s_delay_alu instid0(SALU_CYCLE_2) | instskip(NEXT) | instid1(SALU_CYCLE_2)
	s_add_f32 s38, s43, 0x31739010
	s_sub_f32 s42, s42, s44
	s_delay_alu instid0(SALU_CYCLE_3) | instskip(SKIP_2) | instid1(SALU_CYCLE_1)
	s_add_f32 s31, s38, s42
	s_add_f32 s38, s33, s45
	s_wait_alu 0xfffe
	s_add_f32 s42, s46, s31
	s_delay_alu instid0(SALU_CYCLE_1) | instskip(NEXT) | instid1(SALU_CYCLE_2)
	s_sub_f32 s33, s38, s33
	s_mul_f32 s43, s38, s42
	s_sub_f32 s44, s46, s42
	s_delay_alu instid0(SALU_CYCLE_1) | instskip(NEXT) | instid1(SALU_CYCLE_1)
	s_sub_f32 s33, s45, s33
	s_xor_b32 s46, s43, 0x80000000
	s_delay_alu instid0(SALU_CYCLE_1)
	s_add_f32 s31, s31, s44
	s_fmac_f32 s46, s38, s42
	v_readfirstlane_b32 s44, v1
	v_ldexp_f32 v1, s27, 1
	s_cmp_lg_u32 s26, 0
	s_wait_alu 0xfffe
	s_fmac_f32 s46, s38, s31
	s_sub_co_ci_u32 s26, s44, 0
	v_readfirstlane_b32 s27, v1
	s_delay_alu instid0(SALU_CYCLE_1)
	s_fmac_f32 s46, s33, s42
	s_wait_alu 0xfffe
	s_cvt_f32_i32 s26, s26
	v_ldexp_f32 v1, s25, 1
	s_add_f32 s31, s43, s46
	s_wait_alu 0xfffe
	s_mul_f32 s25, s26, 0x3f317218
	s_delay_alu instid0(VALU_DEP_1)
	v_readfirstlane_b32 s42, v1
	s_add_f32 s33, s27, s31
	s_sub_f32 s38, s31, s43
	s_wait_alu 0xfffe
	s_xor_b32 s43, s25, 0x80000000
	s_sub_f32 s27, s33, s27
	s_sub_f32 s38, s46, s38
	s_fmamk_f32 s43, s26, 0x3f317218, s43
	s_wait_alu 0xfffe
	s_sub_f32 s27, s31, s27
	s_add_f32 s31, s42, s38
	s_fmamk_f32 s26, s26, 0xb102e308, s43
	s_wait_alu 0xfffe
	s_delay_alu instid0(SALU_CYCLE_1) | instskip(NEXT) | instid1(SALU_CYCLE_1)
	s_add_f32 s27, s31, s27
	s_add_f32 s31, s25, s26
	s_wait_alu 0xfffe
	s_delay_alu instid0(SALU_CYCLE_1) | instskip(NEXT) | instid1(SALU_CYCLE_1)
	s_add_f32 s38, s33, s27
	s_sub_f32 s25, s31, s25
	s_delay_alu instid0(SALU_CYCLE_2)
	s_add_f32 s42, s31, s38
	s_sub_f32 s33, s38, s33
	s_wait_alu 0xfffe
	s_sub_f32 s25, s26, s25
	s_sub_f32 s43, s42, s31
	;; [unrolled: 1-line block ×3, first 2 shown]
	s_delay_alu instid0(SALU_CYCLE_2)
	s_sub_f32 s44, s42, s43
	s_sub_f32 s27, s38, s43
	s_wait_alu 0xfffe
	s_add_f32 s33, s25, s26
	s_sub_f32 s31, s31, s44
	s_wait_alu 0xfffe
	s_delay_alu instid0(SALU_CYCLE_2) | instskip(SKIP_2) | instid1(SALU_CYCLE_1)
	s_add_f32 s27, s27, s31
	s_sub_f32 s31, s33, s25
	s_wait_alu 0xfffe
	s_add_f32 s27, s33, s27
	s_delay_alu instid0(SALU_CYCLE_1) | instskip(SKIP_4) | instid1(SALU_CYCLE_2)
	s_sub_f32 s33, s33, s31
	s_sub_f32 s26, s26, s31
	s_wait_alu 0xfffe
	s_add_f32 s38, s42, s27
	s_sub_f32 s25, s25, s33
	s_sub_f32 s31, s38, s42
	s_wait_alu 0xfffe
	s_delay_alu instid0(SALU_CYCLE_1) | instskip(NEXT) | instid1(SALU_CYCLE_1)
	s_add_f32 s25, s26, s25
	s_sub_f32 s26, s27, s31
	s_wait_alu 0xfffe
	s_delay_alu instid0(SALU_CYCLE_2) | instskip(SKIP_1) | instid1(SALU_CYCLE_2)
	s_add_f32 s25, s25, s26
	s_wait_alu 0xfffe
	s_add_f32 s26, s38, s25
	s_wait_alu 0xfffe
	s_delay_alu instid0(SALU_CYCLE_2) | instskip(SKIP_2) | instid1(SALU_CYCLE_1)
	s_mul_f32 s27, s11, s26
	s_sub_f32 s31, s26, s38
	s_wait_alu 0xfffe
	s_xor_b32 s33, s27, 0x80000000
	s_delay_alu instid0(SALU_CYCLE_1) | instskip(SKIP_2) | instid1(SALU_CYCLE_2)
	s_sub_f32 s25, s25, s31
	s_fmac_f32 s33, s11, s26
	s_wait_alu 0xfffe
	s_fmac_f32 s33, s11, s25
	v_cmp_class_f32_e64 s25, s27, 0x204
	s_delay_alu instid0(SALU_CYCLE_2) | instskip(SKIP_2) | instid1(SALU_CYCLE_1)
	s_add_f32 s26, s27, s33
	s_and_b32 s25, s25, exec_lo
	s_wait_alu 0xfffe
	s_sub_f32 s25, s26, s27
	s_cselect_b32 s26, s27, s26
	s_wait_alu 0xfffe
	s_and_b32 s27, s26, 0x7fffffff
	s_sub_f32 s25, s33, s25
	s_wait_alu 0xfffe
	s_cmp_neq_f32 s27, 0x7f800000
	s_delay_alu instid0(SALU_CYCLE_1)
	s_cselect_b32 s25, s25, 0
	s_cmp_eq_f32 s26, 0x42b17218
	s_cselect_b32 s27, 0x37000000, 0
	s_wait_alu 0xfffe
	s_sub_f32 s26, s26, s27
	s_add_f32 s25, s27, s25
	s_wait_alu 0xfffe
	s_delay_alu instid0(SALU_CYCLE_1) | instskip(SKIP_1) | instid1(SALU_CYCLE_2)
	s_mul_f32 s31, s26, 0x3fb8aa3b
	s_wait_alu 0xfffe
	s_xor_b32 s33, s31, 0x80000000
	s_rndne_f32 s38, s31
	s_fmamk_f32 s33, s26, 0x3fb8aa3b, s33
	s_cmp_nlt_f32 s26, 0xc2ce8ed0
	s_delay_alu instid0(SALU_CYCLE_1) | instskip(NEXT) | instid1(SALU_CYCLE_1)
	s_sub_f32 s31, s31, s38
	s_fmamk_f32 s33, s26, 0x32a5705f, s33
	s_cselect_b32 vcc_lo, -1, 0
	s_cmp_ngt_f32 s26, 0x42b17218
	s_trunc_f32 s26, s11
	s_wait_alu 0xfffe
	s_add_f32 s31, s31, s33
	s_cvt_i32_f32 s33, s38
	s_wait_alu 0xfffe
	s_delay_alu instid0(SALU_CYCLE_1) | instskip(SKIP_1) | instid1(TRANS32_DEP_1)
	v_s_exp_f32 s31, s31
	s_wait_alu 0xf1ff
	v_ldexp_f32 v1, s31, s33
	s_mul_f32 s31, s11, 0.5
	s_delay_alu instid0(VALU_DEP_1)
	v_cndmask_b32_e32 v1, 0, v1, vcc_lo
	s_cselect_b32 vcc_lo, -1, 0
	s_cmp_eq_f32 s26, s11
	s_wait_alu 0xfffe
	s_trunc_f32 s33, s31
	v_cndmask_b32_e32 v1, 0x7f800000, v1, vcc_lo
	s_cselect_b32 s38, -1, 0
	s_wait_alu 0xfffe
	s_cmp_neq_f32 s33, s31
	s_delay_alu instid0(VALU_DEP_1)
	v_fma_f32 v2, s25, v1, v1
	v_cmp_class_f32_e64 vcc_lo, v1, 0x204
	s_cselect_b32 s27, -1, 0
	s_wait_alu 0xfffe
	s_and_b32 s25, s38, s27
	s_wait_alu 0xfffd
	v_cndmask_b32_e32 v1, v2, v1, vcc_lo
	s_wait_alu 0xfffe
	s_and_b32 s27, s25, exec_lo
	s_cselect_b32 s27, s10, 1.0
	s_cmp_eq_f32 s26, s11
	v_cmp_class_f32_e64 s26, s10, 0x204
	s_wait_alu 0xfffe
	v_bfi_b32 v1, 0x7fffffff, v1, s27
	s_cselect_b32 vcc_lo, -1, 0
	s_cmp_lt_f32 s10, 0
	s_wait_alu 0xfffe
	s_delay_alu instid0(VALU_DEP_1) | instskip(SKIP_3) | instid1(VALU_DEP_1)
	v_cndmask_b32_e32 v2, 0x7fc00000, v1, vcc_lo
	s_cselect_b32 vcc_lo, -1, 0
	s_cmp_eq_f32 s10, 0
	s_wait_alu 0xfffe
	v_cndmask_b32_e32 v1, v1, v2, vcc_lo
	s_cselect_b32 s27, -1, 0
	s_wait_alu 0xfffe
	s_or_b32 vcc_lo, s27, s26
	s_cmp_lt_f32 s11, 0
	s_cselect_b32 s11, -1, 0
	s_wait_alu 0xfffe
	s_xor_b32 s11, s11, s27
	s_wait_alu 0xfffe
	s_and_b32 s11, s11, exec_lo
	s_cselect_b32 s11, 0, 0x7f800000
	s_and_b32 s25, s25, exec_lo
	s_cselect_b32 s25, s10, 0
	s_cmp_o_f32 s10, s10
	s_wait_alu 0xfffe
	v_mov_b32_e32 v2, s25
	s_delay_alu instid0(VALU_DEP_1) | instskip(NEXT) | instid1(VALU_DEP_1)
	v_bfi_b32 v2, 0x7fffffff, s11, v2
	v_cndmask_b32_e32 v1, v1, v2, vcc_lo
	s_cselect_b32 vcc_lo, -1, 0
	s_wait_alu 0xfffe
	s_delay_alu instid0(VALU_DEP_1)
	v_cndmask_b32_e32 v24, 0x7fc00000, v1, vcc_lo
.LBB68_4:
	v_bfe_u32 v23, v0, 10, 10
	s_load_b96 s[44:46], s[0:1], 0x70
	v_and_b32_e32 v0, 0x3ff, v0
	s_ashr_i32 s31, s30, 31
	v_mov_b32_e32 v25, 0
	v_lshl_add_u32 v1, ttmp9, 1, v23
	v_lshl_add_u32 v27, v23, 7, 0x1200
	s_delay_alu instid0(VALU_DEP_2) | instskip(NEXT) | instid1(VALU_DEP_1)
	v_mul_hi_u32 v2, s20, v1
	v_add_nc_u32_e32 v2, v1, v2
	s_wait_kmcnt 0x0
	s_mul_i32 s10, s30, s45
	s_ashr_i32 s45, s44, 31
	s_delay_alu instid0(VALU_DEP_1) | instskip(SKIP_2) | instid1(VALU_DEP_1)
	v_lshrrev_b32_e32 v2, s21, v2
	s_lshr_b64 s[20:21], s[44:45], 2
	s_lshr_b32 s11, s45, 2
	v_mul_lo_u32 v2, v2, s22
	s_delay_alu instid0(VALU_DEP_1) | instskip(SKIP_1) | instid1(VALU_DEP_1)
	v_sub_nc_u32_e32 v26, v1, v2
	s_wait_alu 0xfffe
	v_mad_co_u64_u32 v[2:3], null, s20, v26, 0
	s_mul_i32 s20, s28, s46
	s_wait_alu 0xfffe
	s_ashr_i32 s21, s20, 31
	s_wait_alu 0xfffe
	s_add_nc_u64 s[4:5], s[4:5], s[20:21]
	v_mad_co_u64_u32 v[3:4], null, s11, v26, v[3:4]
	s_ashr_i32 s11, s10, 31
	v_lshlrev_b32_e32 v4, 3, v0
	s_wait_alu 0xfffe
	s_add_nc_u64 s[4:5], s[4:5], s[10:11]
	s_ashr_i32 s10, s29, 31
	s_cmp_eq_u64 s[14:15], 0
	v_lshlrev_b64_e32 v[2:3], 2, v[2:3]
	s_wait_alu 0xfffe
	s_delay_alu instid0(VALU_DEP_1) | instskip(SKIP_1) | instid1(VALU_DEP_2)
	v_add_co_u32 v2, vcc_lo, s4, v2
	s_wait_alu 0xfffd
	v_add_co_ci_u32_e64 v3, null, s5, v3, vcc_lo
	s_mul_u64 s[4:5], s[36:37], s[40:41]
	v_add_co_u32 v2, vcc_lo, v2, v4
	s_wait_alu 0xfffd
	v_add_co_ci_u32_e64 v3, null, 0, v3, vcc_lo
	v_lshl_add_u32 v4, v0, 2, v27
	global_load_b64 v[2:3], v[2:3], off
	s_wait_loadcnt 0x0
	v_fma_mixlo_f16 v3, s24, v3, 0
	v_fma_mixlo_f16 v2, s24, v2, 0
	s_delay_alu instid0(VALU_DEP_2) | instskip(NEXT) | instid1(VALU_DEP_2)
	v_lshlrev_b32_e32 v3, 16, v3
	v_and_b32_e32 v2, 0xffff, v2
	s_delay_alu instid0(VALU_DEP_1)
	v_or_b32_e32 v2, v3, v2
	ds_store_b32 v4, v2
	s_wait_dscnt 0x0
	s_barrier_signal -1
	s_barrier_wait -1
	global_inv scope:SCOPE_SE
	s_cbranch_scc1 .LBB68_6
; %bb.5:
	s_load_b32 s2, s[0:1], 0xd0
	s_mov_b32 s21, 0
	s_wait_kmcnt 0x0
	s_mul_i32 s2, s2, s28
	s_delay_alu instid0(SALU_CYCLE_1)
	s_add_co_i32 s20, s2, ttmp9
	s_wait_alu 0xfffe
	s_lshl_b64 s[20:21], s[20:21], 2
	s_wait_alu 0xfffe
	s_add_nc_u64 s[14:15], s[14:15], s[20:21]
	s_load_b32 s2, s[14:15], 0x0
.LBB68_6:
	s_clause 0x2
	s_load_b64 s[14:15], s[0:1], 0x8c
	s_load_b128 s[24:27], s[0:1], 0x98
	s_load_b64 s[20:21], s[0:1], 0xa8
	s_mul_i32 s4, s5, s3
	s_ashr_i32 s33, s39, 1
	s_wait_alu 0xfffe
	s_sub_co_i32 s36, s36, s4
	s_mov_b32 s29, 0
	s_xor_b32 s37, s31, s10
	s_add_co_i32 s38, s5, 1
	s_sub_co_i32 s39, s36, s3
	v_lshrrev_b32_e32 v29, 3, v0
	v_lshlrev_b32_e32 v21, 2, v0
	v_mul_u32_u24_e32 v28, 0x90, v0
	v_mbcnt_lo_u32_b32 v20, -1, 0
	s_wait_kmcnt 0x0
	s_ashr_i32 s4, s14, 2
	s_ashr_i32 s14, s26, 2
	s_cmp_ge_u32 s36, s3
	s_mul_u64 s[10:11], s[24:25], s[28:29]
	s_cselect_b32 s5, s38, s5
	s_wait_alu 0xfffe
	s_add_nc_u64 s[24:25], s[6:7], s[10:11]
	s_cselect_b32 s6, s39, s36
	s_add_co_i32 s7, s5, 1
	s_cmp_ge_u32 s6, s3
	s_mul_u64 s[20:21], s[20:21], s[28:29]
	s_cselect_b32 s3, s7, s5
	s_wait_alu 0xfffe
	s_add_nc_u64 s[20:21], s[8:9], s[20:21]
	s_xor_b32 s5, s3, s37
	s_and_b32 s6, ttmp7, 0xffff
	s_wait_alu 0xfffe
	s_sub_co_i32 s5, s5, s37
	s_sub_co_i32 s3, s2, 32
	s_wait_alu 0xfffe
	s_mul_i32 s8, s5, s15
	s_mul_i32 s26, s5, s27
	s_lshl_b32 s10, s6, 5
	s_ashr_i32 s9, s8, 31
	s_wait_alu 0xfffe
	s_ashr_i32 s27, s26, 31
	s_cmp_ge_i32 s10, s3
	s_add_nc_u64 s[8:9], s[24:25], s[8:9]
	s_wait_alu 0xfffe
	s_add_nc_u64 s[20:21], s[20:21], s[26:27]
	s_cbranch_scc1 .LBB68_12
; %bb.7:
	v_lshl_add_u32 v2, v23, 2, v29
	s_ashr_i32 s5, s4, 31
	s_lshl_b32 s11, s4, 3
	s_cmp_lg_u64 s[34:35], 0
	v_dual_mov_b32 v22, 0 :: v_dual_and_b32 v11, 28, v21
	v_mul_lo_u32 v5, s4, v2
	v_mul_lo_u32 v12, s14, v2
	s_cselect_b32 s7, -1, 0
	s_lshl_b32 s15, s14, 3
	v_mad_co_u64_u32 v[3:4], null, v26, s33, v[0:1]
	v_dual_mov_b32 v43, 0xfeffffff :: v_dual_lshlrev_b32 v4, 2, v11
	s_wait_alu 0xfffe
	s_delay_alu instid0(VALU_DEP_4) | instskip(NEXT) | instid1(VALU_DEP_4)
	v_add_nc_u32_e32 v7, s11, v5
	v_add_nc_u32_e32 v14, s15, v12
	v_ashrrev_i32_e32 v6, 31, v5
	v_ashrrev_i32_e32 v13, 31, v12
	v_lshl_add_u32 v30, v23, 6, 0x1300
	v_add_nc_u32_e32 v9, s11, v7
	v_add_nc_u32_e32 v18, s15, v14
	v_ashrrev_i32_e32 v8, 31, v7
	v_ashrrev_i32_e32 v15, 31, v14
	v_mad_u32_u24 v32, 0x90, v2, v4
	v_add_nc_u32_e32 v16, s11, v9
	v_add_nc_u32_e32 v41, s15, v18
	v_ashrrev_i32_e32 v10, 31, v9
	v_ashrrev_i32_e32 v19, 31, v18
	v_lshl_or_b32 v33, v2, 7, v4
	v_ashrrev_i32_e32 v17, 31, v16
	v_ashrrev_i32_e32 v42, 31, v41
	v_lshlrev_b64_e32 v[4:5], 2, v[5:6]
	v_lshlrev_b32_e32 v40, 2, v11
	v_lshlrev_b64_e32 v[6:7], 2, v[7:8]
	v_lshlrev_b64_e32 v[8:9], 2, v[9:10]
	v_lshlrev_b64_e32 v[10:11], 2, v[16:17]
	v_lshlrev_b64_e32 v[12:13], 2, v[12:13]
	v_lshlrev_b64_e32 v[14:15], 2, v[14:15]
	v_lshlrev_b64_e32 v[16:17], 2, v[18:19]
	v_lshlrev_b64_e32 v[18:19], 2, v[41:42]
	v_lshl_add_u32 v31, v0, 1, v30
	v_add_nc_u32_e32 v34, 0x480, v32
	v_add_nc_u32_e32 v35, 0x900, v32
	;; [unrolled: 1-line block ×6, first 2 shown]
	v_mbcnt_lo_u32_b32 v41, -1, 0
	v_mov_b32_e32 v42, 0
	s_ashr_i32 s15, s14, 31
	s_add_nc_u64 s[24:25], s[0:1], 0xd0
.LBB68_8:                               ; =>This Inner Loop Header: Depth=1
	s_ashr_i32 s11, s10, 31
	s_wait_alu 0xfffe
	s_mul_u64 s[26:27], s[10:11], s[4:5]
	s_wait_alu 0xfffe
	s_lshl_b64 s[26:27], s[26:27], 2
	s_wait_alu 0xfffe
	s_add_nc_u64 s[26:27], s[8:9], s[26:27]
	s_wait_alu 0xfffe
	v_add_co_u32 v2, vcc_lo, s26, v4
	s_wait_alu 0xfffd
	v_add_co_ci_u32_e64 v25, null, s27, v5, vcc_lo
	v_add_co_u32 v46, vcc_lo, s26, v6
	s_wait_alu 0xfffd
	v_add_co_ci_u32_e64 v47, null, s27, v7, vcc_lo
	;; [unrolled: 3-line block ×8, first 2 shown]
	s_clause 0x3
	global_load_b128 v[44:47], v[44:45], off
	global_load_b128 v[48:51], v[48:49], off
	;; [unrolled: 1-line block ×4, first 2 shown]
	v_dual_mov_b32 v2, 0 :: v_dual_mov_b32 v25, 0
	s_and_not1_b32 vcc_lo, exec_lo, s7
	s_wait_loadcnt 0x3
	ds_store_b128 v32, v[44:47]
	s_wait_loadcnt 0x2
	ds_store_b128 v34, v[48:51]
	;; [unrolled: 2-line block ×4, first 2 shown]
	s_wait_dscnt 0x0
	s_barrier_signal -1
	s_barrier_wait -1
	global_inv scope:SCOPE_SE
	ds_load_b128 v[44:47], v28
	ds_load_b128 v[48:51], v27
	s_wait_dscnt 0x0
	;;#ASMSTART
	v_dot2_f32_f16 v2, v44, v48, v2
	;;#ASMEND
	;;#ASMSTART
	v_dot2_f32_f16 v2, v45, v49, v2
	;;#ASMEND
	;;#ASMSTART
	v_dot2_f32_f16 v2, v46, v50, v2
	;;#ASMEND
	;;#ASMSTART
	v_dot2_f32_f16 v2, v47, v51, v2
	;;#ASMEND
	ds_load_b128 v[44:47], v28 offset:16
	ds_load_b128 v[48:51], v27 offset:16
	s_wait_dscnt 0x0
	;;#ASMSTART
	v_dot2_f32_f16 v2, v44, v48, v2
	;;#ASMEND
	;;#ASMSTART
	v_dot2_f32_f16 v2, v45, v49, v2
	;;#ASMEND
	;;#ASMSTART
	v_dot2_f32_f16 v2, v46, v50, v2
	;;#ASMEND
	;;#ASMSTART
	v_dot2_f32_f16 v2, v47, v51, v2
	;;#ASMEND
	ds_load_b128 v[44:47], v28 offset:32
	ds_load_b128 v[48:51], v27 offset:32
	;; [unrolled: 15-line block ×7, first 2 shown]
	s_wait_dscnt 0x0
	;;#ASMSTART
	v_dot2_f32_f16 v2, v44, v48, v2
	;;#ASMEND
	;;#ASMSTART
	v_dot2_f32_f16 v2, v45, v49, v2
	;;#ASMEND
	;; [unrolled: 3-line block ×4, first 2 shown]
	s_wait_alu 0xfffe
	s_cbranch_vccnz .LBB68_10
; %bb.9:                                ;   in Loop: Header=BB68_8 Depth=1
	v_add_nc_u32_e32 v44, s10, v3
	s_delay_alu instid0(VALU_DEP_1) | instskip(NEXT) | instid1(VALU_DEP_1)
	v_ashrrev_i32_e32 v45, 31, v44
	v_lshlrev_b64_e32 v[44:45], 1, v[44:45]
	s_delay_alu instid0(VALU_DEP_1) | instskip(SKIP_1) | instid1(VALU_DEP_2)
	v_add_co_u32 v44, vcc_lo, s34, v44
	s_wait_alu 0xfffd
	v_add_co_ci_u32_e64 v45, null, s35, v45, vcc_lo
	global_load_u16 v25, v[44:45], off
	s_wait_loadcnt 0x0
	v_cvt_f32_f16_e32 v25, v25
	s_delay_alu instid0(VALU_DEP_1)
	v_mul_f32_e32 v25, v24, v25
.LBB68_10:                              ;   in Loop: Header=BB68_8 Depth=1
	s_mul_u64 s[26:27], s[10:11], s[14:15]
	s_wait_loadcnt 0x0
	s_wait_alu 0xfffe
	s_lshl_b64 s[26:27], s[26:27], 2
	s_barrier_signal -1
	s_wait_alu 0xfffe
	s_add_nc_u64 s[26:27], s[20:21], s[26:27]
	s_barrier_wait -1
	s_wait_alu 0xfffe
	v_add_co_u32 v44, vcc_lo, s26, v12
	s_wait_alu 0xfffd
	v_add_co_ci_u32_e64 v45, null, s27, v13, vcc_lo
	v_add_co_u32 v46, vcc_lo, s26, v14
	s_wait_alu 0xfffd
	v_add_co_ci_u32_e64 v47, null, s27, v15, vcc_lo
	;; [unrolled: 3-line block ×8, first 2 shown]
	global_inv scope:SCOPE_SE
	s_clause 0x3
	global_load_b128 v[44:47], v[44:45], off
	global_load_b128 v[48:51], v[48:49], off
	;; [unrolled: 1-line block ×4, first 2 shown]
	v_xor_b32_e32 v60, 16, v41
	v_dual_add_f32 v25, v2, v25 :: v_dual_max_num_f32 v2, v43, v43
	s_delay_alu instid0(VALU_DEP_2) | instskip(SKIP_1) | instid1(VALU_DEP_2)
	v_cmp_gt_i32_e32 vcc_lo, 32, v60
	s_wait_alu 0xfffd
	v_dual_add_f32 v61, 0x40051340, v25 :: v_dual_cndmask_b32 v60, v41, v60
	s_delay_alu instid0(VALU_DEP_1) | instskip(SKIP_1) | instid1(VALU_DEP_1)
	v_max_num_f32_e32 v2, v2, v61
	v_xor_b32_e32 v61, 8, v41
	v_cmp_gt_i32_e32 vcc_lo, 32, v61
	s_wait_alu 0xfffd
	v_dual_cndmask_b32 v61, v41, v61 :: v_dual_lshlrev_b32 v60, 2, v60
	ds_bpermute_b32 v60, v60, v2
	s_wait_dscnt 0x0
	v_dual_max_num_f32 v60, v60, v60 :: v_dual_lshlrev_b32 v61, 2, v61
	s_delay_alu instid0(VALU_DEP_1) | instskip(SKIP_2) | instid1(VALU_DEP_1)
	v_max_num_f32_e32 v2, v2, v60
	ds_bpermute_b32 v60, v61, v2
	v_xor_b32_e32 v61, 4, v41
	v_cmp_gt_i32_e32 vcc_lo, 32, v61
	s_wait_alu 0xfffd
	v_cndmask_b32_e32 v61, v41, v61, vcc_lo
	s_wait_dscnt 0x0
	s_delay_alu instid0(VALU_DEP_1) | instskip(NEXT) | instid1(VALU_DEP_1)
	v_dual_max_num_f32 v60, v60, v60 :: v_dual_lshlrev_b32 v61, 2, v61
	v_max_num_f32_e32 v2, v2, v60
	ds_bpermute_b32 v60, v61, v2
	v_xor_b32_e32 v61, 2, v41
	s_delay_alu instid0(VALU_DEP_1) | instskip(SKIP_3) | instid1(VALU_DEP_1)
	v_cmp_gt_i32_e32 vcc_lo, 32, v61
	s_wait_alu 0xfffd
	v_cndmask_b32_e32 v61, v41, v61, vcc_lo
	s_wait_dscnt 0x0
	v_dual_max_num_f32 v60, v60, v60 :: v_dual_lshlrev_b32 v61, 2, v61
	s_delay_alu instid0(VALU_DEP_1) | instskip(SKIP_2) | instid1(VALU_DEP_1)
	v_max_num_f32_e32 v2, v2, v60
	ds_bpermute_b32 v60, v61, v2
	v_xor_b32_e32 v61, 1, v41
	v_cmp_gt_i32_e32 vcc_lo, 32, v61
	s_wait_alu 0xfffd
	v_cndmask_b32_e32 v61, v41, v61, vcc_lo
	s_wait_dscnt 0x0
	s_delay_alu instid0(VALU_DEP_1) | instskip(NEXT) | instid1(VALU_DEP_1)
	v_dual_max_num_f32 v60, v60, v60 :: v_dual_lshlrev_b32 v61, 2, v61
	v_max_num_f32_e32 v2, v2, v60
	ds_bpermute_b32 v60, v61, v2
	s_wait_dscnt 0x0
	v_max_num_f32_e32 v60, v60, v60
	s_delay_alu instid0(VALU_DEP_1) | instskip(NEXT) | instid1(VALU_DEP_1)
	v_max_num_f32_e32 v2, v2, v60
	v_sub_f32_e32 v25, v25, v2
	s_delay_alu instid0(VALU_DEP_1) | instskip(SKIP_1) | instid1(VALU_DEP_2)
	v_mul_f32_e32 v60, 0x3fb8aa3b, v25
	v_cmp_ngt_f32_e32 vcc_lo, 0xc2ce8ed0, v25
	v_fma_f32 v61, 0x3fb8aa3b, v25, -v60
	v_rndne_f32_e32 v62, v60
	s_delay_alu instid0(VALU_DEP_1) | instskip(NEXT) | instid1(VALU_DEP_1)
	v_dual_fmac_f32 v61, 0x32a5705f, v25 :: v_dual_sub_f32 v60, v60, v62
	v_dual_add_f32 v60, v60, v61 :: v_dual_sub_f32 v61, v43, v2
	v_cvt_i32_f32_e32 v43, v62
	s_delay_alu instid0(VALU_DEP_2) | instskip(NEXT) | instid1(VALU_DEP_2)
	v_exp_f32_e32 v60, v60
	v_mul_f32_e32 v62, 0x3fb8aa3b, v61
	s_delay_alu instid0(VALU_DEP_1) | instskip(NEXT) | instid1(TRANS32_DEP_1)
	v_rndne_f32_e32 v63, v62
	v_ldexp_f32 v43, v60, v43
	v_fma_f32 v60, 0x3fb8aa3b, v61, -v62
	s_delay_alu instid0(VALU_DEP_3) | instskip(SKIP_1) | instid1(VALU_DEP_2)
	v_sub_f32_e32 v62, v62, v63
	s_wait_alu 0xfffd
	v_dual_cndmask_b32 v43, 0, v43 :: v_dual_fmac_f32 v60, 0x32a5705f, v61
	v_cmp_nlt_f32_e32 vcc_lo, 0x42b17218, v25
	s_wait_alu 0xfffd
	s_delay_alu instid0(VALU_DEP_2) | instskip(NEXT) | instid1(VALU_DEP_3)
	v_cndmask_b32_e32 v25, 0x7f800000, v43, vcc_lo
	v_add_f32_e32 v43, v62, v60
	v_cvt_i32_f32_e32 v62, v63
	v_cmp_ngt_f32_e32 vcc_lo, 0xc2ce8ed0, v61
	s_delay_alu instid0(VALU_DEP_4) | instskip(NEXT) | instid1(VALU_DEP_4)
	v_cvt_f16_f32_e32 v60, v25
	v_exp_f32_e32 v63, v43
	ds_store_b16 v31, v60
	s_wait_loadcnt 0x3
	ds_store_b128 v33, v[44:47]
	s_wait_loadcnt 0x2
	ds_store_b128 v37, v[48:51]
	;; [unrolled: 2-line block ×4, first 2 shown]
	s_wait_dscnt 0x0
	s_barrier_signal -1
	s_barrier_wait -1
	global_inv scope:SCOPE_SE
	ds_load_b128 v[43:46], v30
	v_ldexp_f32 v47, v63, v62
	ds_load_2addr_b32 v[51:52], v21 offset1:32
	s_wait_alu 0xfffd
	v_cndmask_b32_e32 v47, 0, v47, vcc_lo
	v_cmp_nlt_f32_e32 vcc_lo, 0x42b17218, v61
	s_wait_alu 0xfffd
	s_delay_alu instid0(VALU_DEP_2)
	v_cndmask_b32_e32 v57, 0x7f800000, v47, vcc_lo
	ds_load_b128 v[47:50], v30 offset:16
	v_cvt_f16_f32_e32 v53, v57
	v_fmac_f32_e32 v25, v42, v57
	s_wait_dscnt 0x2
	v_and_b32_e32 v55, 0xffff, v43
	v_lshrrev_b32_e32 v43, 16, v43
	v_and_b32_e32 v56, 0xffff, v53
	ds_load_2addr_b32 v[53:54], v21 offset0:64 offset1:96
	v_and_b32_e32 v59, 0xffff, v44
	v_mul_u32_u24_e32 v55, 0x10001, v55
	v_mul_u32_u24_e32 v43, 0x10001, v43
	;; [unrolled: 1-line block ×3, first 2 shown]
	s_wait_dscnt 0x2
	s_delay_alu instid0(VALU_DEP_3)
	v_pk_mul_f16 v51, v51, v55
	ds_load_2addr_b32 v[55:56], v21 offset0:128 offset1:160
	v_pk_fma_f16 v22, v22, v58, v51
	v_lshrrev_b32_e32 v51, 16, v44
	v_mul_u32_u24_e32 v58, 0x10001, v59
	v_add_nc_u32_e32 v59, 0x800, v21
	s_delay_alu instid0(VALU_DEP_4)
	v_pk_fma_f16 v22, v52, v43, v22
	ds_load_2addr_b32 v[43:44], v21 offset0:192 offset1:224
	v_and_b32_e32 v52, 0xffff, v45
	v_mul_u32_u24_e32 v51, 0x10001, v51
	v_lshrrev_b32_e32 v45, 16, v45
	s_wait_dscnt 0x2
	v_pk_fma_f16 v22, v53, v58, v22
	v_add_nc_u32_e32 v58, 0x400, v21
	v_mul_u32_u24_e32 v53, 0x10001, v52
	v_mul_u32_u24_e32 v45, 0x10001, v45
	s_delay_alu instid0(VALU_DEP_4)
	v_pk_fma_f16 v22, v54, v51, v22
	ds_load_2addr_b32 v[51:52], v58 offset1:32
	v_and_b32_e32 v54, 0xffff, v46
	v_lshrrev_b32_e32 v46, 16, v46
	s_wait_dscnt 0x2
	v_pk_fma_f16 v22, v55, v53, v22
	s_delay_alu instid0(VALU_DEP_3)
	v_mul_u32_u24_e32 v55, 0x10001, v54
	ds_load_2addr_b32 v[53:54], v58 offset0:64 offset1:96
	v_mul_u32_u24_e32 v46, 0x10001, v46
	v_pk_fma_f16 v22, v56, v45, v22
	v_and_b32_e32 v45, 0xffff, v47
	s_wait_dscnt 0x2
	s_delay_alu instid0(VALU_DEP_2) | instskip(SKIP_1) | instid1(VALU_DEP_3)
	v_pk_fma_f16 v22, v43, v55, v22
	v_lshrrev_b32_e32 v43, 16, v47
	v_mul_u32_u24_e32 v45, 0x10001, v45
	ds_load_2addr_b32 v[55:56], v58 offset0:128 offset1:160
	v_lshrrev_b32_e32 v47, 16, v48
	v_pk_fma_f16 v22, v44, v46, v22
	v_and_b32_e32 v44, 0xffff, v48
	v_mul_u32_u24_e32 v43, 0x10001, v43
	s_delay_alu instid0(VALU_DEP_4) | instskip(SKIP_3) | instid1(VALU_DEP_2)
	v_mul_u32_u24_e32 v47, 0x10001, v47
	s_wait_dscnt 0x2
	v_pk_fma_f16 v22, v51, v45, v22
	v_mul_u32_u24_e32 v48, 0x10001, v44
	v_pk_fma_f16 v22, v52, v43, v22
	ds_load_b128 v[43:46], v30 offset:32
	ds_load_2addr_b32 v[51:52], v58 offset0:192 offset1:224
	v_and_b32_e32 v58, 0xffff, v49
	s_wait_dscnt 0x3
	v_pk_fma_f16 v22, v53, v48, v22
	v_lshrrev_b32_e32 v48, 16, v49
	s_delay_alu instid0(VALU_DEP_3) | instskip(SKIP_1) | instid1(VALU_DEP_4)
	v_mul_u32_u24_e32 v49, 0x10001, v58
	v_lshrrev_b32_e32 v58, 16, v50
	v_pk_fma_f16 v22, v54, v47, v22
	ds_load_2addr_b32 v[53:54], v59 offset1:32
	v_and_b32_e32 v47, 0xffff, v50
	v_mul_u32_u24_e32 v48, 0x10001, v48
	v_mul_u32_u24_e32 v58, 0x10001, v58
	s_wait_dscnt 0x3
	v_pk_fma_f16 v22, v55, v49, v22
	v_mul_u32_u24_e32 v60, 0x10001, v47
	s_delay_alu instid0(VALU_DEP_2)
	v_pk_fma_f16 v22, v56, v48, v22
	ds_load_b128 v[47:50], v30 offset:48
	ds_load_2addr_b32 v[55:56], v59 offset0:64 offset1:96
	s_wait_dscnt 0x4
	v_and_b32_e32 v61, 0xffff, v43
	v_lshrrev_b32_e32 v43, 16, v43
	s_wait_dscnt 0x3
	v_pk_fma_f16 v22, v51, v60, v22
	s_delay_alu instid0(VALU_DEP_3) | instskip(NEXT) | instid1(VALU_DEP_3)
	v_mul_u32_u24_e32 v60, 0x10001, v61
	v_mul_u32_u24_e32 v43, 0x10001, v43
	s_delay_alu instid0(VALU_DEP_3)
	v_pk_fma_f16 v22, v52, v58, v22
	ds_load_2addr_b32 v[51:52], v59 offset0:128 offset1:160
	v_and_b32_e32 v58, 0xffff, v44
	s_wait_dscnt 0x3
	v_pk_fma_f16 v22, v53, v60, v22
	v_lshrrev_b32_e32 v53, 16, v44
	s_delay_alu instid0(VALU_DEP_3) | instskip(NEXT) | instid1(VALU_DEP_3)
	v_mul_u32_u24_e32 v58, 0x10001, v58
	v_pk_fma_f16 v22, v54, v43, v22
	ds_load_2addr_b32 v[43:44], v59 offset0:192 offset1:224
	v_and_b32_e32 v54, 0xffff, v45
	v_mul_u32_u24_e32 v53, 0x10001, v53
	v_lshrrev_b32_e32 v45, 16, v45
	s_wait_dscnt 0x2
	v_pk_fma_f16 v22, v55, v58, v22
	v_add_nc_u32_e32 v55, 0xc00, v21
	v_mul_u32_u24_e32 v58, 0x10001, v54
	v_mul_u32_u24_e32 v45, 0x10001, v45
	s_delay_alu instid0(VALU_DEP_4)
	v_pk_fma_f16 v22, v56, v53, v22
	ds_load_2addr_b32 v[53:54], v55 offset1:32
	v_and_b32_e32 v56, 0xffff, v46
	s_wait_dscnt 0x2
	v_pk_fma_f16 v22, v51, v58, v22
	v_lshrrev_b32_e32 v51, 16, v46
	s_delay_alu instid0(VALU_DEP_3) | instskip(NEXT) | instid1(VALU_DEP_3)
	v_mul_u32_u24_e32 v56, 0x10001, v56
	v_pk_fma_f16 v22, v52, v45, v22
	ds_load_2addr_b32 v[45:46], v55 offset0:64 offset1:96
	v_and_b32_e32 v52, 0xffff, v47
	v_mul_u32_u24_e32 v51, 0x10001, v51
	v_lshrrev_b32_e32 v47, 16, v47
	s_wait_dscnt 0x2
	v_pk_fma_f16 v22, v43, v56, v22
	v_and_b32_e32 v56, 0xffff, v48
	v_mul_u32_u24_e32 v52, 0x10001, v52
	v_lshrrev_b32_e32 v48, 16, v48
	v_mul_u32_u24_e32 v47, 0x10001, v47
	v_pk_fma_f16 v22, v44, v51, v22
	ds_load_2addr_b32 v[43:44], v55 offset0:128 offset1:160
	v_mul_u32_u24_e32 v48, 0x10001, v48
	s_wait_dscnt 0x2
	v_pk_fma_f16 v22, v53, v52, v22
	v_mul_u32_u24_e32 v53, 0x10001, v56
	ds_load_2addr_b32 v[51:52], v55 offset0:192 offset1:224
	s_wait_loadcnt_dscnt 0x0
	s_barrier_signal -1
	v_pk_fma_f16 v22, v54, v47, v22
	v_and_b32_e32 v47, 0xffff, v49
	s_barrier_wait -1
	global_inv scope:SCOPE_SE
	s_load_b32 s11, s[24:25], 0x4
	v_pk_fma_f16 v22, v45, v53, v22
	v_lshrrev_b32_e32 v45, 16, v49
	v_mul_u32_u24_e32 v47, 0x10001, v47
	s_delay_alu instid0(VALU_DEP_3) | instskip(SKIP_1) | instid1(VALU_DEP_4)
	v_pk_fma_f16 v22, v46, v48, v22
	v_and_b32_e32 v46, 0xffff, v50
	v_mul_u32_u24_e32 v45, 0x10001, v45
	s_delay_alu instid0(VALU_DEP_3) | instskip(SKIP_1) | instid1(VALU_DEP_4)
	v_pk_fma_f16 v22, v43, v47, v22
	v_lshrrev_b32_e32 v43, 16, v50
	v_mul_u32_u24_e32 v46, 0x10001, v46
	s_delay_alu instid0(VALU_DEP_3) | instskip(NEXT) | instid1(VALU_DEP_3)
	v_pk_fma_f16 v22, v44, v45, v22
	v_mul_u32_u24_e32 v43, 0x10001, v43
	s_wait_kmcnt 0x0
	s_lshl_b32 s11, s11, 5
	s_delay_alu instid0(VALU_DEP_2)
	v_pk_fma_f16 v22, v51, v46, v22
	s_wait_alu 0xfffe
	s_add_co_i32 s10, s11, s10
	s_wait_alu 0xfffe
	s_cmp_lt_i32 s10, s3
	v_pk_fma_f16 v22, v52, v43, v22
	s_cbranch_scc0 .LBB68_13
; %bb.11:                               ;   in Loop: Header=BB68_8 Depth=1
	v_dual_mov_b32 v43, v2 :: v_dual_mov_b32 v42, v25
	s_branch .LBB68_8
.LBB68_12:
	v_mov_b32_e32 v2, 0xfeffffff
	v_mov_b32_e32 v22, 0
.LBB68_13:
	v_lshlrev_b32_e32 v6, 1, v0
	s_cmp_gt_i32 s2, s10
	s_cbranch_scc1 .LBB68_16
; %bb.14:
	v_mbcnt_lo_u32_b32 v10, -1, 0
	v_mov_b32_e32 v9, 32
	s_delay_alu instid0(VALU_DEP_2)
	v_xor_b32_e32 v5, 16, v10
	v_xor_b32_e32 v3, 8, v10
	v_xor_b32_e32 v4, 4, v10
	v_xor_b32_e32 v7, 2, v10
	v_xor_b32_e32 v8, 1, v10
	s_cbranch_execz .LBB68_17
; %bb.15:
	v_mov_b32_e32 v20, v10
	s_branch .LBB68_22
.LBB68_16:
                                        ; implicit-def: $vgpr10
                                        ; implicit-def: $vgpr9
                                        ; implicit-def: $vgpr5
                                        ; implicit-def: $vgpr3
                                        ; implicit-def: $vgpr4
                                        ; implicit-def: $vgpr7
                                        ; implicit-def: $vgpr8
.LBB68_17:
	v_lshl_add_u32 v10, v23, 2, v29
	s_ashr_i32 s11, s10, 31
	s_ashr_i32 s5, s4, 31
	s_mov_b32 s36, 0
	s_wait_alu 0xfffe
	s_mul_u64 s[26:27], s[10:11], s[4:5]
	v_mul_lo_u32 v7, s4, v10
	s_mov_b32 s37, s36
	s_mov_b32 s38, s36
	v_and_b32_e32 v5, 28, v21
	s_sub_co_i32 s7, s2, s10
	s_wait_alu 0xfffe
	s_lshl_b64 s[2:3], s[26:27], 2
	s_mov_b64 s[24:25], src_private_base
	s_add_nc_u64 s[8:9], s[8:9], s[2:3]
	v_ashrrev_i32_e32 v8, 31, v7
	v_lshlrev_b32_e32 v9, 2, v5
	v_mov_b32_e32 v15, 0
	s_lshl_b32 s4, s4, 3
	s_delay_alu instid0(VALU_DEP_3) | instskip(SKIP_2) | instid1(VALU_DEP_2)
	v_lshlrev_b64_e32 v[3:4], 2, v[7:8]
	s_wait_alu 0xfffe
	v_add_nc_u32_e32 v7, s4, v7
	v_add_co_u32 v3, vcc_lo, s8, v3
	s_wait_alu 0xfffd
	s_delay_alu instid0(VALU_DEP_3) | instskip(NEXT) | instid1(VALU_DEP_2)
	v_add_co_ci_u32_e64 v4, null, s9, v4, vcc_lo
	v_add_co_u32 v8, vcc_lo, v3, v9
	s_wait_alu 0xfffd
	s_delay_alu instid0(VALU_DEP_2)
	v_add_co_ci_u32_e64 v11, null, 0, v4, vcc_lo
	v_cmp_gt_i32_e32 vcc_lo, s7, v10
	v_dual_mov_b32 v3, s36 :: v_dual_mov_b32 v4, s37
	v_mov_b32_e32 v5, s38
	s_clause 0x1
	scratch_store_b32 off, v15, off
	scratch_store_b96 off, v[3:5], off offset:4
	s_wait_alu 0xfffd
	v_cndmask_b32_e32 v12, s25, v11, vcc_lo
	v_cndmask_b32_e32 v11, 0, v8, vcc_lo
	v_ashrrev_i32_e32 v8, 31, v7
	v_mad_u32_u24 v29, 0x90, v10, v9
	flat_load_b128 v[16:19], v[11:12]
	v_lshlrev_b64_e32 v[11:12], 2, v[7:8]
	s_clause 0x1
	scratch_store_b32 off, v15, off
	scratch_store_b96 off, v[3:5], off offset:4
	v_add_nc_u32_e32 v7, s4, v7
	v_add_co_u32 v8, s2, s8, v11
	s_delay_alu instid0(VALU_DEP_1) | instskip(SKIP_1) | instid1(VALU_DEP_3)
	v_add_co_ci_u32_e64 v12, null, s9, v12, s2
	v_add_nc_u32_e32 v11, 8, v10
	v_add_co_u32 v8, s2, v8, v9
	s_wait_alu 0xf1ff
	s_delay_alu instid0(VALU_DEP_3) | instskip(NEXT) | instid1(VALU_DEP_3)
	v_add_co_ci_u32_e64 v12, null, 0, v12, s2
	v_cmp_gt_i32_e64 s2, s7, v11
	s_wait_alu 0xf1ff
	s_delay_alu instid0(VALU_DEP_1)
	v_cndmask_b32_e64 v13, s25, v12, s2
	v_cndmask_b32_e64 v12, 0, v8, s2
	v_ashrrev_i32_e32 v8, 31, v7
	s_wait_loadcnt_dscnt 0x0
	ds_store_b128 v29, v[16:19]
	flat_load_b128 v[16:19], v[12:13]
	v_lshlrev_b64_e32 v[12:13], 2, v[7:8]
	v_add_nc_u32_e32 v7, s4, v7
	s_delay_alu instid0(VALU_DEP_2) | instskip(SKIP_1) | instid1(VALU_DEP_3)
	v_add_co_u32 v8, s3, s8, v12
	s_wait_alu 0xf1ff
	v_add_co_ci_u32_e64 v13, null, s9, v13, s3
	v_add_nc_u32_e32 v12, 16, v10
	s_delay_alu instid0(VALU_DEP_3) | instskip(SKIP_1) | instid1(VALU_DEP_3)
	v_add_co_u32 v8, s3, v8, v9
	s_wait_alu 0xf1ff
	v_add_co_ci_u32_e64 v13, null, 0, v13, s3
	s_delay_alu instid0(VALU_DEP_3)
	v_cmp_gt_i32_e64 s3, s7, v12
	s_clause 0x1
	scratch_store_b32 off, v15, off
	scratch_store_b96 off, v[3:5], off offset:4
	s_wait_alu 0xf1ff
	v_cndmask_b32_e64 v14, s25, v13, s3
	v_cndmask_b32_e64 v13, 0, v8, s3
	v_ashrrev_i32_e32 v8, 31, v7
	s_delay_alu instid0(VALU_DEP_1) | instskip(NEXT) | instid1(VALU_DEP_1)
	v_lshlrev_b64_e32 v[7:8], 2, v[7:8]
	v_add_co_u32 v7, s4, s8, v7
	s_wait_alu 0xf1ff
	s_delay_alu instid0(VALU_DEP_2)
	v_add_co_ci_u32_e64 v8, null, s9, v8, s4
	s_mov_b32 s8, exec_lo
	v_add_co_u32 v7, s4, v7, v9
	s_wait_alu 0xf1ff
	v_add_co_ci_u32_e64 v8, null, 0, v8, s4
	s_wait_loadcnt_dscnt 0x0
	ds_store_b128 v29, v[16:19] offset:1152
	flat_load_b128 v[16:19], v[13:14]
	v_add_nc_u32_e32 v13, 24, v10
	s_clause 0x1
	scratch_store_b32 off, v15, off
	scratch_store_b96 off, v[3:5], off offset:4
	v_dual_mov_b32 v3, 0 :: v_dual_mov_b32 v4, v2
	v_cmp_gt_i32_e64 s4, s7, v13
	s_wait_alu 0xf1ff
	s_delay_alu instid0(VALU_DEP_1)
	v_cndmask_b32_e64 v8, s25, v8, s4
	v_cndmask_b32_e64 v7, 0, v7, s4
	s_wait_loadcnt_dscnt 0x0
	ds_store_b128 v29, v[16:19] offset:2304
	flat_load_b128 v[16:19], v[7:8]
	s_wait_loadcnt_dscnt 0x0
	ds_store_b128 v29, v[16:19] offset:3456
	s_wait_storecnt_dscnt 0x0
	s_barrier_signal -1
	s_barrier_wait -1
	global_inv scope:SCOPE_SE
	ds_load_b128 v[16:19], v28
	ds_load_b128 v[29:32], v27
	s_wait_dscnt 0x0
	;;#ASMSTART
	v_dot2_f32_f16 v15, v16, v29, v15
	;;#ASMEND
	;;#ASMSTART
	v_dot2_f32_f16 v15, v17, v30, v15
	;;#ASMEND
	;;#ASMSTART
	v_dot2_f32_f16 v15, v18, v31, v15
	;;#ASMEND
	;;#ASMSTART
	v_dot2_f32_f16 v15, v19, v32, v15
	;;#ASMEND
	ds_load_b128 v[16:19], v28 offset:16
	ds_load_b128 v[29:32], v27 offset:16
	s_wait_dscnt 0x0
	;;#ASMSTART
	v_dot2_f32_f16 v15, v16, v29, v15
	;;#ASMEND
	;;#ASMSTART
	v_dot2_f32_f16 v15, v17, v30, v15
	;;#ASMEND
	;;#ASMSTART
	v_dot2_f32_f16 v15, v18, v31, v15
	;;#ASMEND
	;;#ASMSTART
	v_dot2_f32_f16 v15, v19, v32, v15
	;;#ASMEND
	ds_load_b128 v[16:19], v28 offset:32
	ds_load_b128 v[29:32], v27 offset:32
	;; [unrolled: 15-line block ×7, first 2 shown]
	s_wait_dscnt 0x0
	;;#ASMSTART
	v_dot2_f32_f16 v15, v16, v27, v15
	;;#ASMEND
	;;#ASMSTART
	v_dot2_f32_f16 v15, v17, v28, v15
	;;#ASMEND
	;;#ASMSTART
	v_dot2_f32_f16 v15, v18, v29, v15
	;;#ASMEND
	;;#ASMSTART
	v_dot2_f32_f16 v15, v19, v30, v15
	;;#ASMEND
	v_cmpx_gt_i32_e64 s7, v0
	s_cbranch_execz .LBB68_21
; %bb.18:
	s_cmp_eq_u64 s[34:35], 0
	s_cbranch_scc1 .LBB68_20
; %bb.19:
	v_mul_lo_u32 v3, v26, s33
	s_delay_alu instid0(VALU_DEP_1) | instskip(NEXT) | instid1(VALU_DEP_1)
	v_add3_u32 v3, v3, v0, s10
	v_ashrrev_i32_e32 v4, 31, v3
	s_delay_alu instid0(VALU_DEP_1) | instskip(NEXT) | instid1(VALU_DEP_1)
	v_lshlrev_b64_e32 v[3:4], 1, v[3:4]
	v_add_co_u32 v3, s5, s34, v3
	s_wait_alu 0xf1ff
	s_delay_alu instid0(VALU_DEP_2) | instskip(SKIP_3) | instid1(VALU_DEP_1)
	v_add_co_ci_u32_e64 v4, null, s35, v4, s5
	global_load_u16 v3, v[3:4], off
	s_wait_loadcnt 0x0
	v_cvt_f32_f16_e32 v3, v3
	v_mul_f32_e32 v3, v24, v3
.LBB68_20:
	s_delay_alu instid0(VALU_DEP_1) | instskip(NEXT) | instid1(VALU_DEP_1)
	v_dual_add_f32 v15, v15, v3 :: v_dual_max_num_f32 v4, v2, v2
	v_add_f32_e32 v3, 0x40051340, v15
	s_delay_alu instid0(VALU_DEP_1)
	v_max_num_f32_e32 v4, v4, v3
.LBB68_21:
	s_wait_alu 0xfffe
	s_or_b32 exec_lo, exec_lo, s8
	v_xor_b32_e32 v5, 16, v20
	s_ashr_i32 s15, s14, 31
	s_mov_b32 s8, 0
	s_wait_alu 0xfffe
	s_mul_u64 s[10:11], s[10:11], s[14:15]
	s_mov_b32 s9, s8
	v_cmp_gt_i32_e64 s5, 32, v5
	s_wait_alu 0xfffe
	s_lshl_b64 s[26:27], s[10:11], 2
	s_mov_b32 s10, s8
	v_mul_lo_u32 v29, s14, v10
	s_wait_alu 0xfffe
	v_mov_b32_e32 v28, s10
	v_cndmask_b32_e64 v3, v20, v5, s5
	s_add_nc_u64 s[20:21], s[20:21], s[26:27]
	s_mov_b64 s[24:25], src_private_base
	v_mov_b32_e32 v26, s8
	s_wait_loadcnt 0x0
	v_lshlrev_b32_e32 v3, 2, v3
	v_ashrrev_i32_e32 v30, 31, v29
	s_barrier_signal -1
	s_barrier_wait -1
	global_inv scope:SCOPE_SE
	ds_bpermute_b32 v7, v3, v4
	v_xor_b32_e32 v3, 8, v20
	v_max_num_f32_e32 v4, v4, v4
	v_lshl_or_b32 v10, v10, 7, v9
	v_lshl_or_b32 v12, v12, 7, v9
	v_lshlrev_b32_e32 v19, 6, v23
	v_cmp_gt_i32_e64 s5, 32, v3
	v_mov_b32_e32 v27, s9
	s_wait_alu 0xf1ff
	s_delay_alu instid0(VALU_DEP_2) | instskip(SKIP_1) | instid1(VALU_DEP_1)
	v_cndmask_b32_e64 v8, v20, v3, s5
	s_wait_dscnt 0x0
	v_dual_max_num_f32 v7, v7, v7 :: v_dual_lshlrev_b32 v8, 2, v8
	s_delay_alu instid0(VALU_DEP_1) | instskip(SKIP_1) | instid1(VALU_DEP_1)
	v_max_num_f32_e32 v7, v4, v7
	v_xor_b32_e32 v4, 4, v20
	v_cmp_gt_i32_e64 s5, 32, v4
	s_wait_alu 0xf1ff
	s_delay_alu instid0(VALU_DEP_1) | instskip(NEXT) | instid1(VALU_DEP_1)
	v_cndmask_b32_e64 v14, v20, v4, s5
	v_lshlrev_b32_e32 v14, 2, v14
	ds_bpermute_b32 v8, v8, v7
	s_wait_dscnt 0x0
	v_max_num_f32_e32 v8, v8, v8
	s_delay_alu instid0(VALU_DEP_1) | instskip(SKIP_4) | instid1(VALU_DEP_1)
	v_max_num_f32_e32 v8, v7, v8
	v_xor_b32_e32 v7, 2, v20
	ds_bpermute_b32 v14, v14, v8
	v_cmp_gt_i32_e64 s5, 32, v7
	s_wait_alu 0xf1ff
	v_cndmask_b32_e64 v16, v20, v7, s5
	s_delay_alu instid0(VALU_DEP_1) | instskip(SKIP_2) | instid1(VALU_DEP_1)
	v_lshlrev_b32_e32 v16, 2, v16
	s_wait_dscnt 0x0
	v_max_num_f32_e32 v14, v14, v14
	v_max_num_f32_e32 v14, v8, v14
	v_xor_b32_e32 v8, 1, v20
	ds_bpermute_b32 v16, v16, v14
	v_cmp_gt_i32_e64 s5, 32, v8
	s_wait_alu 0xf1ff
	s_delay_alu instid0(VALU_DEP_1) | instskip(SKIP_1) | instid1(VALU_DEP_1)
	v_cndmask_b32_e64 v17, v20, v8, s5
	s_wait_dscnt 0x0
	v_dual_max_num_f32 v16, v16, v16 :: v_dual_lshlrev_b32 v17, 2, v17
	s_delay_alu instid0(VALU_DEP_1) | instskip(SKIP_3) | instid1(VALU_DEP_1)
	v_max_num_f32_e32 v14, v14, v16
	ds_bpermute_b32 v16, v17, v14
	s_wait_dscnt 0x0
	v_max_num_f32_e32 v16, v16, v16
	v_max_num_f32_e32 v14, v14, v16
	s_delay_alu instid0(VALU_DEP_1) | instskip(NEXT) | instid1(VALU_DEP_1)
	v_sub_f32_e32 v17, v15, v14
	v_mul_f32_e32 v15, 0x3fb8aa3b, v17
	v_cmp_ngt_f32_e64 s5, 0xc2ce8ed0, v17
	s_delay_alu instid0(VALU_DEP_2) | instskip(SKIP_1) | instid1(VALU_DEP_1)
	v_fma_f32 v16, 0x3fb8aa3b, v17, -v15
	v_rndne_f32_e32 v18, v15
	v_dual_fmac_f32 v16, 0x32a5705f, v17 :: v_dual_sub_f32 v15, v15, v18
	s_delay_alu instid0(VALU_DEP_1) | instskip(SKIP_1) | instid1(VALU_DEP_2)
	v_add_f32_e32 v15, v15, v16
	v_cvt_i32_f32_e32 v16, v18
	v_exp_f32_e32 v15, v15
	s_delay_alu instid0(TRANS32_DEP_1) | instskip(SKIP_2) | instid1(VALU_DEP_2)
	v_ldexp_f32 v18, v15, v16
	v_lshlrev_b64_e32 v[15:16], 2, v[29:30]
	s_wait_alu 0xf1ff
	v_cndmask_b32_e64 v18, 0, v18, s5
	s_wait_alu 0xfffe
	s_delay_alu instid0(VALU_DEP_2) | instskip(SKIP_4) | instid1(VALU_DEP_1)
	v_add_co_u32 v15, s5, s20, v15
	s_wait_alu 0xf1ff
	v_add_co_ci_u32_e64 v16, null, s21, v16, s5
	v_cmp_nlt_f32_e64 s5, 0x42b17218, v17
	s_wait_alu 0xf1ff
	v_cndmask_b32_e64 v17, 0x7f800000, v18, s5
	v_add_co_u32 v15, s5, v15, v9
	s_wait_alu 0xf1ff
	v_add_co_ci_u32_e64 v16, null, 0, v16, s5
	v_cmp_gt_u32_e64 s5, s7, v0
	s_delay_alu instid0(VALU_DEP_3) | instskip(SKIP_1) | instid1(VALU_DEP_2)
	v_cndmask_b32_e32 v15, 0, v15, vcc_lo
	s_wait_alu 0xf1ff
	v_cndmask_b32_e64 v31, 0, v17, s5
	s_lshl_b32 s5, s14, 3
	v_add3_u32 v17, 0x1300, v19, v6
	s_wait_alu 0xfffe
	v_dual_sub_f32 v2, v2, v14 :: v_dual_add_nc_u32 v23, s5, v29
	v_mov_b32_e32 v32, 0
	v_cvt_f16_f32_e32 v18, v31
	v_cndmask_b32_e32 v16, s25, v16, vcc_lo
	s_clause 0x1
	scratch_store_b32 off, v32, off
	scratch_store_b96 off, v[26:28], off offset:4
	ds_store_b16 v17, v18
	flat_load_b128 v[15:18], v[15:16]
	v_ashrrev_i32_e32 v24, 31, v23
	s_clause 0x1
	scratch_store_b32 off, v32, off
	scratch_store_b96 off, v[26:28], off offset:4
	v_lshlrev_b64_e32 v[29:30], 2, v[23:24]
	v_add_nc_u32_e32 v23, s5, v23
	s_delay_alu instid0(VALU_DEP_2) | instskip(SKIP_1) | instid1(VALU_DEP_3)
	v_add_co_u32 v24, vcc_lo, s20, v29
	s_wait_alu 0xfffd
	v_add_co_ci_u32_e64 v29, null, s21, v30, vcc_lo
	s_delay_alu instid0(VALU_DEP_2) | instskip(SKIP_1) | instid1(VALU_DEP_2)
	v_add_co_u32 v24, vcc_lo, v24, v9
	s_wait_alu 0xfffd
	v_add_co_ci_u32_e64 v29, null, 0, v29, vcc_lo
	s_delay_alu instid0(VALU_DEP_1) | instskip(NEXT) | instid1(VALU_DEP_3)
	v_cndmask_b32_e64 v30, s25, v29, s2
	v_cndmask_b32_e64 v29, 0, v24, s2
	v_ashrrev_i32_e32 v24, 31, v23
	s_wait_loadcnt_dscnt 0x0
	ds_store_b128 v10, v[15:18]
	flat_load_b128 v[15:18], v[29:30]
	v_lshlrev_b64_e32 v[29:30], 2, v[23:24]
	s_clause 0x1
	scratch_store_b32 off, v32, off
	scratch_store_b96 off, v[26:28], off offset:4
	v_add_co_u32 v10, vcc_lo, s20, v29
	s_wait_alu 0xfffd
	v_add_co_ci_u32_e64 v24, null, s21, v30, vcc_lo
	v_lshl_or_b32 v29, v11, 7, v9
	s_delay_alu instid0(VALU_DEP_3) | instskip(SKIP_1) | instid1(VALU_DEP_3)
	v_add_co_u32 v10, vcc_lo, v10, v9
	s_wait_alu 0xfffd
	v_add_co_ci_u32_e64 v24, null, 0, v24, vcc_lo
	s_delay_alu instid0(VALU_DEP_2) | instskip(NEXT) | instid1(VALU_DEP_2)
	v_cndmask_b32_e64 v10, 0, v10, s3
	v_cndmask_b32_e64 v11, s25, v24, s3
	s_wait_loadcnt_dscnt 0x0
	ds_store_b128 v29, v[15:18]
	flat_load_b128 v[15:18], v[10:11]
	v_add_nc_u32_e32 v10, s5, v23
	s_clause 0x1
	scratch_store_b32 off, v32, off
	scratch_store_b96 off, v[26:28], off offset:4
	v_ashrrev_i32_e32 v11, 31, v10
	s_delay_alu instid0(VALU_DEP_1) | instskip(NEXT) | instid1(VALU_DEP_1)
	v_lshlrev_b64_e32 v[10:11], 2, v[10:11]
	v_add_co_u32 v10, vcc_lo, s20, v10
	s_wait_alu 0xfffd
	s_delay_alu instid0(VALU_DEP_2) | instskip(NEXT) | instid1(VALU_DEP_2)
	v_add_co_ci_u32_e64 v11, null, s21, v11, vcc_lo
	v_add_co_u32 v10, vcc_lo, v10, v9
	s_wait_alu 0xfffd
	s_delay_alu instid0(VALU_DEP_2) | instskip(SKIP_1) | instid1(VALU_DEP_3)
	v_add_co_ci_u32_e64 v11, null, 0, v11, vcc_lo
	v_lshl_or_b32 v9, v13, 7, v9
	v_cndmask_b32_e64 v10, 0, v10, s4
	v_cmp_ngt_f32_e32 vcc_lo, 0xc2ce8ed0, v2
	s_delay_alu instid0(VALU_DEP_4) | instskip(SKIP_4) | instid1(VALU_DEP_1)
	v_cndmask_b32_e64 v11, s25, v11, s4
	s_wait_loadcnt_dscnt 0x0
	ds_store_b128 v12, v[15:18]
	flat_load_b128 v[15:18], v[10:11]
	v_mul_f32_e32 v10, 0x3fb8aa3b, v2
	v_fma_f32 v11, 0x3fb8aa3b, v2, -v10
	v_rndne_f32_e32 v12, v10
	s_delay_alu instid0(VALU_DEP_1) | instskip(SKIP_1) | instid1(VALU_DEP_2)
	v_dual_fmac_f32 v11, 0x32a5705f, v2 :: v_dual_sub_f32 v10, v10, v12
	v_cvt_i32_f32_e32 v23, v12
	v_add_f32_e32 v10, v10, v11
	s_delay_alu instid0(VALU_DEP_1) | instskip(NEXT) | instid1(TRANS32_DEP_1)
	v_exp_f32_e32 v13, v10
	v_ldexp_f32 v13, v13, v23
	s_wait_alu 0xfffd
	s_delay_alu instid0(VALU_DEP_1) | instskip(SKIP_2) | instid1(VALU_DEP_2)
	v_cndmask_b32_e32 v13, 0, v13, vcc_lo
	v_cmp_nlt_f32_e32 vcc_lo, 0x42b17218, v2
	s_wait_alu 0xfffd
	v_cndmask_b32_e32 v2, 0x7f800000, v13, vcc_lo
	s_delay_alu instid0(VALU_DEP_1) | instskip(SKIP_1) | instid1(VALU_DEP_2)
	v_cvt_f16_f32_e32 v13, v2
	v_dual_fmac_f32 v31, v25, v2 :: v_dual_mov_b32 v2, v14
	v_and_b32_e32 v13, 0xffff, v13
	s_delay_alu instid0(VALU_DEP_2) | instskip(NEXT) | instid1(VALU_DEP_2)
	v_mov_b32_e32 v25, v31
	v_mul_u32_u24_e32 v13, 0x10001, v13
	s_wait_loadcnt_dscnt 0x0
	ds_store_b128 v9, v[15:18]
	s_wait_storecnt_dscnt 0x0
	s_barrier_signal -1
	s_barrier_wait -1
	global_inv scope:SCOPE_SE
	ds_load_b128 v[9:12], v19 offset:4864
	ds_load_b128 v[15:18], v19 offset:4880
	ds_load_2addr_b32 v[23:24], v21 offset1:32
	ds_load_2addr_b32 v[26:27], v21 offset0:64 offset1:96
	s_wait_dscnt 0x3
	v_and_b32_e32 v28, 0xffff, v9
	v_lshrrev_b32_e32 v9, 16, v9
	v_and_b32_e32 v30, 0xffff, v10
	s_delay_alu instid0(VALU_DEP_3) | instskip(NEXT) | instid1(VALU_DEP_3)
	v_mul_u32_u24_e32 v28, 0x10001, v28
	v_mul_u32_u24_e32 v9, 0x10001, v9
	s_wait_dscnt 0x1
	s_delay_alu instid0(VALU_DEP_2)
	v_pk_mul_f16 v23, v23, v28
	ds_load_2addr_b32 v[28:29], v21 offset0:128 offset1:160
	v_pk_fma_f16 v13, v22, v13, v23
	v_lshrrev_b32_e32 v22, 16, v10
	v_mul_u32_u24_e32 v23, 0x10001, v30
	v_add_nc_u32_e32 v30, 0x400, v21
	s_delay_alu instid0(VALU_DEP_4)
	v_pk_fma_f16 v13, v24, v9, v13
	ds_load_2addr_b32 v[9:10], v21 offset0:192 offset1:224
	v_and_b32_e32 v24, 0xffff, v11
	v_mul_u32_u24_e32 v22, 0x10001, v22
	v_lshrrev_b32_e32 v11, 16, v11
	s_wait_dscnt 0x2
	v_pk_fma_f16 v13, v26, v23, v13
	v_and_b32_e32 v26, 0xffff, v12
	v_mul_u32_u24_e32 v24, 0x10001, v24
	v_lshrrev_b32_e32 v12, 16, v12
	v_mul_u32_u24_e32 v11, 0x10001, v11
	v_pk_fma_f16 v13, v27, v22, v13
	ds_load_2addr_b32 v[22:23], v30 offset1:32
	v_mul_u32_u24_e32 v12, 0x10001, v12
	s_wait_dscnt 0x2
	v_pk_fma_f16 v13, v28, v24, v13
	v_mul_u32_u24_e32 v24, 0x10001, v26
	ds_load_2addr_b32 v[26:27], v30 offset0:64 offset1:96
	v_pk_fma_f16 v11, v29, v11, v13
	v_and_b32_e32 v13, 0xffff, v15
	ds_load_2addr_b32 v[28:29], v30 offset0:128 offset1:160
	s_wait_dscnt 0x3
	v_pk_fma_f16 v9, v9, v24, v11
	v_lshrrev_b32_e32 v11, 16, v15
	v_mul_u32_u24_e32 v13, 0x10001, v13
	v_and_b32_e32 v24, 0xffff, v17
	s_delay_alu instid0(VALU_DEP_4) | instskip(SKIP_3) | instid1(VALU_DEP_3)
	v_pk_fma_f16 v9, v10, v12, v9
	v_and_b32_e32 v10, 0xffff, v16
	v_mul_u32_u24_e32 v11, 0x10001, v11
	s_wait_dscnt 0x2
	v_pk_fma_f16 v9, v22, v13, v9
	v_lshrrev_b32_e32 v13, 16, v16
	v_mul_u32_u24_e32 v15, 0x10001, v10
	s_delay_alu instid0(VALU_DEP_3)
	v_pk_fma_f16 v16, v23, v11, v9
	ds_load_b128 v[9:12], v19 offset:4896
	ds_load_2addr_b32 v[22:23], v30 offset0:192 offset1:224
	v_mul_u32_u24_e32 v13, 0x10001, v13
	v_add_nc_u32_e32 v30, 0x800, v21
	v_add_nc_u32_e32 v21, 0xc00, v21
	s_wait_dscnt 0x3
	v_pk_fma_f16 v15, v26, v15, v16
	v_lshrrev_b32_e32 v16, 16, v17
	v_mul_u32_u24_e32 v17, 0x10001, v24
	v_lshrrev_b32_e32 v24, 16, v18
	s_delay_alu instid0(VALU_DEP_4)
	v_pk_fma_f16 v13, v27, v13, v15
	ds_load_2addr_b32 v[26:27], v30 offset1:32
	v_and_b32_e32 v15, 0xffff, v18
	v_mul_u32_u24_e32 v16, 0x10001, v16
	v_mul_u32_u24_e32 v24, 0x10001, v24
	s_wait_dscnt 0x3
	v_pk_fma_f16 v13, v28, v17, v13
	v_mul_u32_u24_e32 v32, 0x10001, v15
	s_delay_alu instid0(VALU_DEP_2)
	v_pk_fma_f16 v13, v29, v16, v13
	ds_load_b128 v[15:18], v19 offset:4912
	ds_load_2addr_b32 v[28:29], v30 offset0:64 offset1:96
	s_wait_dscnt 0x4
	v_and_b32_e32 v19, 0xffff, v9
	v_lshrrev_b32_e32 v9, 16, v9
	s_wait_dscnt 0x3
	v_pk_fma_f16 v13, v22, v32, v13
	s_delay_alu instid0(VALU_DEP_3) | instskip(NEXT) | instid1(VALU_DEP_3)
	v_mul_u32_u24_e32 v19, 0x10001, v19
	v_mul_u32_u24_e32 v9, 0x10001, v9
	s_delay_alu instid0(VALU_DEP_3)
	v_pk_fma_f16 v13, v23, v24, v13
	ds_load_2addr_b32 v[22:23], v30 offset0:128 offset1:160
	v_and_b32_e32 v24, 0xffff, v10
	s_wait_dscnt 0x3
	v_pk_fma_f16 v13, v26, v19, v13
	v_lshrrev_b32_e32 v19, 16, v10
	s_delay_alu instid0(VALU_DEP_3)
	v_mul_u32_u24_e32 v24, 0x10001, v24
	v_and_b32_e32 v26, 0xffff, v11
	v_lshrrev_b32_e32 v11, 16, v11
	v_pk_fma_f16 v13, v27, v9, v13
	ds_load_2addr_b32 v[9:10], v30 offset0:192 offset1:224
	v_mul_u32_u24_e32 v19, 0x10001, v19
	v_mul_u32_u24_e32 v11, 0x10001, v11
	s_wait_dscnt 0x2
	v_pk_fma_f16 v13, v28, v24, v13
	v_mul_u32_u24_e32 v24, 0x10001, v26
	ds_load_2addr_b32 v[26:27], v21 offset1:32
	v_pk_fma_f16 v13, v29, v19, v13
	v_and_b32_e32 v19, 0xffff, v12
	s_wait_dscnt 0x2
	s_delay_alu instid0(VALU_DEP_2) | instskip(SKIP_1) | instid1(VALU_DEP_3)
	v_pk_fma_f16 v13, v22, v24, v13
	v_lshrrev_b32_e32 v22, 16, v12
	v_mul_u32_u24_e32 v19, 0x10001, v19
	s_delay_alu instid0(VALU_DEP_3)
	v_pk_fma_f16 v13, v23, v11, v13
	ds_load_2addr_b32 v[11:12], v21 offset0:64 offset1:96
	v_and_b32_e32 v23, 0xffff, v15
	v_mul_u32_u24_e32 v22, 0x10001, v22
	s_wait_dscnt 0x2
	v_pk_fma_f16 v9, v9, v19, v13
	v_lshrrev_b32_e32 v13, 16, v15
	v_mul_u32_u24_e32 v15, 0x10001, v23
	s_delay_alu instid0(VALU_DEP_3)
	v_pk_fma_f16 v19, v10, v22, v9
	ds_load_2addr_b32 v[9:10], v21 offset0:128 offset1:160
	v_and_b32_e32 v22, 0xffff, v16
	v_mul_u32_u24_e32 v13, 0x10001, v13
	s_wait_dscnt 0x2
	v_pk_fma_f16 v15, v26, v15, v19
	v_lshrrev_b32_e32 v19, 16, v16
	v_mul_u32_u24_e32 v22, 0x10001, v22
	s_delay_alu instid0(VALU_DEP_3)
	v_pk_fma_f16 v13, v27, v13, v15
	ds_load_2addr_b32 v[15:16], v21 offset0:192 offset1:224
	v_and_b32_e32 v21, 0xffff, v17
	v_mul_u32_u24_e32 v19, 0x10001, v19
	s_wait_loadcnt_dscnt 0x0
	v_pk_fma_f16 v11, v11, v22, v13
	v_lshrrev_b32_e32 v13, 16, v17
	v_mul_u32_u24_e32 v17, 0x10001, v21
	s_barrier_signal -1
	s_barrier_wait -1
	v_pk_fma_f16 v11, v12, v19, v11
	v_and_b32_e32 v12, 0xffff, v18
	v_mul_u32_u24_e32 v13, 0x10001, v13
	global_inv scope:SCOPE_SE
	v_pk_fma_f16 v9, v9, v17, v11
	v_lshrrev_b32_e32 v11, 16, v18
	v_mul_u32_u24_e32 v12, 0x10001, v12
	s_delay_alu instid0(VALU_DEP_3) | instskip(NEXT) | instid1(VALU_DEP_3)
	v_pk_fma_f16 v9, v10, v13, v9
	v_mul_u32_u24_e32 v10, 0x10001, v11
	s_delay_alu instid0(VALU_DEP_2) | instskip(SKIP_1) | instid1(VALU_DEP_2)
	v_pk_fma_f16 v11, v15, v12, v9
	v_mov_b32_e32 v9, 32
	v_pk_fma_f16 v22, v16, v10, v11
.LBB68_22:
	s_delay_alu instid0(VALU_DEP_2)
	v_cmp_lt_i32_e32 vcc_lo, v5, v9
	s_cmp_eq_u64 s[12:13], 0
	s_cselect_b32 s2, -1, 0
	s_cmp_lg_u32 s6, 0
	s_wait_alu 0xfffd
	v_cndmask_b32_e32 v5, v20, v5, vcc_lo
	v_cmp_lt_i32_e32 vcc_lo, v3, v9
	s_cselect_b32 s3, -1, 0
	s_wait_alu 0xfffe
	s_or_b32 s2, s3, s2
	s_wait_alu 0xfffd
	v_cndmask_b32_e32 v3, v20, v3, vcc_lo
	v_cmp_lt_i32_e32 vcc_lo, v4, v9
	s_wait_alu 0xfffd
	s_delay_alu instid0(VALU_DEP_2) | instskip(SKIP_1) | instid1(VALU_DEP_2)
	v_dual_cndmask_b32 v4, v20, v4 :: v_dual_lshlrev_b32 v3, 2, v3
	v_cmp_lt_i32_e32 vcc_lo, v7, v9
	v_lshlrev_b32_e32 v4, 2, v4
	v_lshlrev_b32_e32 v5, 2, v5
	ds_bpermute_b32 v5, v5, v25
	s_wait_dscnt 0x0
	v_add_f32_e32 v5, v25, v5
	ds_bpermute_b32 v3, v3, v5
	s_wait_dscnt 0x0
	v_add_f32_e32 v3, v5, v3
	s_wait_alu 0xfffd
	v_cndmask_b32_e32 v5, v20, v7, vcc_lo
	v_cmp_lt_i32_e32 vcc_lo, v8, v9
	ds_bpermute_b32 v4, v4, v3
	v_lshlrev_b32_e32 v5, 2, v5
	s_wait_dscnt 0x0
	v_add_f32_e32 v3, v3, v4
	ds_bpermute_b32 v4, v5, v3
	s_wait_alu 0xfffd
	v_cndmask_b32_e32 v5, v20, v8, vcc_lo
	s_wait_alu 0xfffe
	s_and_b32 vcc_lo, exec_lo, s2
	s_delay_alu instid0(VALU_DEP_1)
	v_lshlrev_b32_e32 v5, 2, v5
	s_wait_dscnt 0x0
	v_add_f32_e32 v3, v3, v4
	ds_bpermute_b32 v4, v5, v3
	s_wait_dscnt 0x0
	v_add_f32_e32 v3, v3, v4
	s_wait_alu 0xfffe
	s_cbranch_vccnz .LBB68_24
; %bb.23:
	v_dual_mov_b32 v4, 0 :: v_dual_max_num_f32 v5, v2, v2
	s_lshl_b64 s[2:3], s[30:31], 2
	s_wait_alu 0xfffe
	s_add_nc_u64 s[2:3], s[12:13], s[2:3]
	global_load_b32 v4, v4, s[2:3]
	s_wait_loadcnt 0x0
	v_max_num_f32_e32 v7, v4, v4
	s_delay_alu instid0(VALU_DEP_1) | instskip(NEXT) | instid1(VALU_DEP_1)
	v_max_num_f32_e32 v5, v5, v7
	v_sub_f32_e32 v4, v4, v5
	s_delay_alu instid0(VALU_DEP_1) | instskip(SKIP_1) | instid1(VALU_DEP_2)
	v_mul_f32_e32 v10, 0x3fb8aa3b, v4
	v_sub_f32_e32 v2, v2, v5
	v_rndne_f32_e32 v12, v10
	s_delay_alu instid0(VALU_DEP_2) | instskip(SKIP_1) | instid1(VALU_DEP_2)
	v_mul_f32_e32 v7, 0x3fb8aa3b, v2
	v_cmp_ngt_f32_e32 vcc_lo, 0xc2ce8ed0, v2
	v_fma_f32 v8, 0x3fb8aa3b, v2, -v7
	v_rndne_f32_e32 v9, v7
	s_delay_alu instid0(VALU_DEP_1) | instskip(SKIP_1) | instid1(VALU_DEP_2)
	v_dual_fmac_f32 v8, 0x32a5705f, v2 :: v_dual_sub_f32 v7, v7, v9
	v_cvt_i32_f32_e32 v9, v9
	v_add_f32_e32 v7, v7, v8
	v_fma_f32 v11, 0x3fb8aa3b, v4, -v10
	v_sub_f32_e32 v8, v10, v12
	s_delay_alu instid0(VALU_DEP_3) | instskip(NEXT) | instid1(TRANS32_DEP_1)
	v_exp_f32_e32 v7, v7
	v_ldexp_f32 v7, v7, v9
	v_cvt_i32_f32_e32 v9, v12
	s_wait_alu 0xfffd
	s_delay_alu instid0(VALU_DEP_2) | instskip(SKIP_2) | instid1(VALU_DEP_2)
	v_cndmask_b32_e32 v7, 0, v7, vcc_lo
	v_cmp_nlt_f32_e32 vcc_lo, 0x42b17218, v2
	s_wait_alu 0xfffd
	v_cndmask_b32_e32 v2, 0x7f800000, v7, vcc_lo
	v_fmac_f32_e32 v11, 0x32a5705f, v4
	v_cmp_ngt_f32_e32 vcc_lo, 0xc2ce8ed0, v4
	s_delay_alu instid0(VALU_DEP_2) | instskip(NEXT) | instid1(VALU_DEP_1)
	v_add_f32_e32 v8, v8, v11
	v_exp_f32_e32 v8, v8
	s_delay_alu instid0(TRANS32_DEP_1) | instskip(SKIP_1) | instid1(VALU_DEP_1)
	v_ldexp_f32 v8, v8, v9
	s_wait_alu 0xfffd
	v_cndmask_b32_e32 v7, 0, v8, vcc_lo
	v_cmp_nlt_f32_e32 vcc_lo, 0x42b17218, v4
	s_wait_alu 0xfffd
	s_delay_alu instid0(VALU_DEP_2) | instskip(NEXT) | instid1(VALU_DEP_1)
	v_cndmask_b32_e32 v4, 0x7f800000, v7, vcc_lo
	v_fmac_f32_e32 v4, v3, v2
	s_delay_alu instid0(VALU_DEP_1) | instskip(SKIP_1) | instid1(VALU_DEP_1)
	v_mov_b32_e32 v3, v4
	v_cvt_f16_f32_e32 v8, v2
	v_and_b32_e32 v7, 0xffff, v8
	s_delay_alu instid0(VALU_DEP_1) | instskip(NEXT) | instid1(VALU_DEP_1)
	v_mul_u32_u24_e32 v2, 0x10001, v7
	v_pk_mul_f16 v22, v22, v2
	v_mov_b32_e32 v2, v5
.LBB68_24:
	s_mov_b32 s2, exec_lo
	v_cmpx_gt_i32_e64 s22, v1
	s_cbranch_execz .LBB68_27
; %bb.25:
	v_div_scale_f32 v7, null, v3, v3, 1.0
	s_load_b32 s0, s[0:1], 0xd4
	v_div_scale_f32 v9, vcc_lo, 1.0, v3, 1.0
	v_rcp_f32_e32 v8, v7
	s_delay_alu instid0(TRANS32_DEP_1) | instskip(NEXT) | instid1(VALU_DEP_1)
	v_fma_f32 v4, -v7, v8, 1.0
	v_fmac_f32_e32 v8, v4, v8
	v_mad_co_u64_u32 v[4:5], null, s28, s22, v[1:2]
	s_wait_kmcnt 0x0
	s_cmp_lg_u32 s0, 1
	s_cselect_b32 s1, -1, 0
	v_mul_f32_e32 v10, v9, v8
	s_delay_alu instid0(VALU_DEP_2) | instskip(NEXT) | instid1(VALU_DEP_2)
	v_mad_co_u64_u32 v[4:5], null, v4, s23, s[30:31]
	v_fma_f32 v1, -v7, v10, v9
	s_delay_alu instid0(VALU_DEP_1) | instskip(NEXT) | instid1(VALU_DEP_3)
	v_fmac_f32_e32 v10, v1, v8
	v_mad_co_u64_u32 v[4:5], null, s0, v4, s[6:7]
	v_lshrrev_b32_e32 v5, 16, v22
	s_delay_alu instid0(VALU_DEP_3) | instskip(SKIP_1) | instid1(VALU_DEP_3)
	v_fma_f32 v1, -v7, v10, v9
	v_mov_b32_e32 v7, 0
	v_cvt_f32_f16_e32 v9, v5
	v_lshl_add_u32 v6, v4, 6, v6
	s_wait_alu 0xfffd
	v_div_fmas_f32 v1, v1, v8, v10
	v_cvt_f32_f16_e32 v8, v22
	v_cmp_eq_u32_e32 vcc_lo, 0, v0
	v_lshlrev_b64_e32 v[5:6], 2, v[6:7]
	s_delay_alu instid0(VALU_DEP_4) | instskip(SKIP_1) | instid1(VALU_DEP_1)
	v_div_fixup_f32 v1, v1, v3, 1.0
	s_wait_alu 0xfffe
	v_cndmask_b32_e64 v1, v1, 1.0, s1
	s_delay_alu instid0(VALU_DEP_3) | instskip(SKIP_2) | instid1(VALU_DEP_3)
	v_add_co_u32 v5, s0, s16, v5
	s_wait_alu 0xf1ff
	v_add_co_ci_u32_e64 v6, null, s17, v6, s0
	v_mul_f32_e32 v0, v1, v8
	v_mul_f32_e32 v1, v1, v9
	s_and_b32 s0, vcc_lo, s1
	global_store_b64 v[5:6], v[0:1], off
	s_wait_alu 0xfffe
	s_and_b32 exec_lo, exec_lo, s0
	s_cbranch_execz .LBB68_27
; %bb.26:
	v_ashrrev_i32_e32 v5, 31, v4
	s_delay_alu instid0(VALU_DEP_1) | instskip(NEXT) | instid1(VALU_DEP_1)
	v_lshlrev_b64_e32 v[0:1], 3, v[4:5]
	v_add_co_u32 v0, vcc_lo, s18, v0
	s_wait_alu 0xfffd
	s_delay_alu instid0(VALU_DEP_2)
	v_add_co_ci_u32_e64 v1, null, s19, v1, vcc_lo
	global_store_b64 v[0:1], v[2:3], off
.LBB68_27:
	s_endpgm
	.section	.rodata,"a",@progbits
	.p2align	6, 0x0
	.amdhsa_kernel _ZL15flash_attn_tileILi64ELi64ELi2ELi1ELb0EEvPKcS1_S1_S1_S1_PKiPfP15HIP_vector_typeIfLj2EEffffjfiS5_IjLj3EEiiiiiiiiiiiliiliiiiil
		.amdhsa_group_segment_fixed_size 4992
		.amdhsa_private_segment_fixed_size 32
		.amdhsa_kernarg_size 464
		.amdhsa_user_sgpr_count 2
		.amdhsa_user_sgpr_dispatch_ptr 0
		.amdhsa_user_sgpr_queue_ptr 0
		.amdhsa_user_sgpr_kernarg_segment_ptr 1
		.amdhsa_user_sgpr_dispatch_id 0
		.amdhsa_user_sgpr_private_segment_size 0
		.amdhsa_wavefront_size32 1
		.amdhsa_uses_dynamic_stack 0
		.amdhsa_enable_private_segment 1
		.amdhsa_system_sgpr_workgroup_id_x 1
		.amdhsa_system_sgpr_workgroup_id_y 1
		.amdhsa_system_sgpr_workgroup_id_z 1
		.amdhsa_system_sgpr_workgroup_info 0
		.amdhsa_system_vgpr_workitem_id 1
		.amdhsa_next_free_vgpr 64
		.amdhsa_next_free_sgpr 47
		.amdhsa_reserve_vcc 1
		.amdhsa_float_round_mode_32 0
		.amdhsa_float_round_mode_16_64 0
		.amdhsa_float_denorm_mode_32 3
		.amdhsa_float_denorm_mode_16_64 3
		.amdhsa_fp16_overflow 0
		.amdhsa_workgroup_processor_mode 1
		.amdhsa_memory_ordered 1
		.amdhsa_forward_progress 1
		.amdhsa_inst_pref_size 76
		.amdhsa_round_robin_scheduling 0
		.amdhsa_exception_fp_ieee_invalid_op 0
		.amdhsa_exception_fp_denorm_src 0
		.amdhsa_exception_fp_ieee_div_zero 0
		.amdhsa_exception_fp_ieee_overflow 0
		.amdhsa_exception_fp_ieee_underflow 0
		.amdhsa_exception_fp_ieee_inexact 0
		.amdhsa_exception_int_div_zero 0
	.end_amdhsa_kernel
	.section	.text._ZL15flash_attn_tileILi64ELi64ELi2ELi1ELb0EEvPKcS1_S1_S1_S1_PKiPfP15HIP_vector_typeIfLj2EEffffjfiS5_IjLj3EEiiiiiiiiiiiliiliiiiil,"axG",@progbits,_ZL15flash_attn_tileILi64ELi64ELi2ELi1ELb0EEvPKcS1_S1_S1_S1_PKiPfP15HIP_vector_typeIfLj2EEffffjfiS5_IjLj3EEiiiiiiiiiiiliiliiiiil,comdat
.Lfunc_end68:
	.size	_ZL15flash_attn_tileILi64ELi64ELi2ELi1ELb0EEvPKcS1_S1_S1_S1_PKiPfP15HIP_vector_typeIfLj2EEffffjfiS5_IjLj3EEiiiiiiiiiiiliiliiiiil, .Lfunc_end68-_ZL15flash_attn_tileILi64ELi64ELi2ELi1ELb0EEvPKcS1_S1_S1_S1_PKiPfP15HIP_vector_typeIfLj2EEffffjfiS5_IjLj3EEiiiiiiiiiiiliiliiiiil
                                        ; -- End function
	.set _ZL15flash_attn_tileILi64ELi64ELi2ELi1ELb0EEvPKcS1_S1_S1_S1_PKiPfP15HIP_vector_typeIfLj2EEffffjfiS5_IjLj3EEiiiiiiiiiiiliiliiiiil.num_vgpr, 64
	.set _ZL15flash_attn_tileILi64ELi64ELi2ELi1ELb0EEvPKcS1_S1_S1_S1_PKiPfP15HIP_vector_typeIfLj2EEffffjfiS5_IjLj3EEiiiiiiiiiiiliiliiiiil.num_agpr, 0
	.set _ZL15flash_attn_tileILi64ELi64ELi2ELi1ELb0EEvPKcS1_S1_S1_S1_PKiPfP15HIP_vector_typeIfLj2EEffffjfiS5_IjLj3EEiiiiiiiiiiiliiliiiiil.numbered_sgpr, 47
	.set _ZL15flash_attn_tileILi64ELi64ELi2ELi1ELb0EEvPKcS1_S1_S1_S1_PKiPfP15HIP_vector_typeIfLj2EEffffjfiS5_IjLj3EEiiiiiiiiiiiliiliiiiil.num_named_barrier, 0
	.set _ZL15flash_attn_tileILi64ELi64ELi2ELi1ELb0EEvPKcS1_S1_S1_S1_PKiPfP15HIP_vector_typeIfLj2EEffffjfiS5_IjLj3EEiiiiiiiiiiiliiliiiiil.private_seg_size, 32
	.set _ZL15flash_attn_tileILi64ELi64ELi2ELi1ELb0EEvPKcS1_S1_S1_S1_PKiPfP15HIP_vector_typeIfLj2EEffffjfiS5_IjLj3EEiiiiiiiiiiiliiliiiiil.uses_vcc, 1
	.set _ZL15flash_attn_tileILi64ELi64ELi2ELi1ELb0EEvPKcS1_S1_S1_S1_PKiPfP15HIP_vector_typeIfLj2EEffffjfiS5_IjLj3EEiiiiiiiiiiiliiliiiiil.uses_flat_scratch, 1
	.set _ZL15flash_attn_tileILi64ELi64ELi2ELi1ELb0EEvPKcS1_S1_S1_S1_PKiPfP15HIP_vector_typeIfLj2EEffffjfiS5_IjLj3EEiiiiiiiiiiiliiliiiiil.has_dyn_sized_stack, 0
	.set _ZL15flash_attn_tileILi64ELi64ELi2ELi1ELb0EEvPKcS1_S1_S1_S1_PKiPfP15HIP_vector_typeIfLj2EEffffjfiS5_IjLj3EEiiiiiiiiiiiliiliiiiil.has_recursion, 0
	.set _ZL15flash_attn_tileILi64ELi64ELi2ELi1ELb0EEvPKcS1_S1_S1_S1_PKiPfP15HIP_vector_typeIfLj2EEffffjfiS5_IjLj3EEiiiiiiiiiiiliiliiiiil.has_indirect_call, 0
	.section	.AMDGPU.csdata,"",@progbits
; Kernel info:
; codeLenInByte = 9668
; TotalNumSgprs: 49
; NumVgprs: 64
; ScratchSize: 32
; MemoryBound: 0
; FloatMode: 240
; IeeeMode: 1
; LDSByteSize: 4992 bytes/workgroup (compile time only)
; SGPRBlocks: 0
; VGPRBlocks: 7
; NumSGPRsForWavesPerEU: 49
; NumVGPRsForWavesPerEU: 64
; Occupancy: 13
; WaveLimiterHint : 1
; COMPUTE_PGM_RSRC2:SCRATCH_EN: 1
; COMPUTE_PGM_RSRC2:USER_SGPR: 2
; COMPUTE_PGM_RSRC2:TRAP_HANDLER: 0
; COMPUTE_PGM_RSRC2:TGID_X_EN: 1
; COMPUTE_PGM_RSRC2:TGID_Y_EN: 1
; COMPUTE_PGM_RSRC2:TGID_Z_EN: 1
; COMPUTE_PGM_RSRC2:TIDIG_COMP_CNT: 1
	.section	.text._ZL33flash_attn_stream_k_fixup_uniformILi64ELi2ELi1EEvPfPK15HIP_vector_typeIfLj2EEiiiiiiS1_IjLj3EES5_S5_,"axG",@progbits,_ZL33flash_attn_stream_k_fixup_uniformILi64ELi2ELi1EEvPfPK15HIP_vector_typeIfLj2EEiiiiiiS1_IjLj3EES5_S5_,comdat
	.globl	_ZL33flash_attn_stream_k_fixup_uniformILi64ELi2ELi1EEvPfPK15HIP_vector_typeIfLj2EEiiiiiiS1_IjLj3EES5_S5_ ; -- Begin function _ZL33flash_attn_stream_k_fixup_uniformILi64ELi2ELi1EEvPfPK15HIP_vector_typeIfLj2EEiiiiiiS1_IjLj3EES5_S5_
	.p2align	8
	.type	_ZL33flash_attn_stream_k_fixup_uniformILi64ELi2ELi1EEvPfPK15HIP_vector_typeIfLj2EEiiiiiiS1_IjLj3EES5_S5_,@function
_ZL33flash_attn_stream_k_fixup_uniformILi64ELi2ELi1EEvPfPK15HIP_vector_typeIfLj2EEiiiiiiS1_IjLj3EES5_S5_: ; @_ZL33flash_attn_stream_k_fixup_uniformILi64ELi2ELi1EEvPfPK15HIP_vector_typeIfLj2EEiiiiiiS1_IjLj3EES5_S5_
; %bb.0:
	s_clause 0x1
	s_load_b256 s[4:11], s[0:1], 0x1c
	s_load_b128 s[12:15], s[0:1], 0x3c
	s_wait_kmcnt 0x0
	s_mul_hi_u32 s2, s7, ttmp9
	s_delay_alu instid0(SALU_CYCLE_1) | instskip(NEXT) | instid1(SALU_CYCLE_1)
	s_add_co_i32 s2, ttmp9, s2
	s_lshr_b32 s2, s2, s8
	s_delay_alu instid0(SALU_CYCLE_1) | instskip(SKIP_2) | instid1(SALU_CYCLE_1)
	s_mul_i32 s3, s2, s9
	s_load_b64 s[8:9], s[0:1], 0x10
	s_sub_co_i32 s7, ttmp9, s3
	s_mul_hi_u32 s3, s7, s10
	s_delay_alu instid0(SALU_CYCLE_1) | instskip(NEXT) | instid1(SALU_CYCLE_1)
	s_add_co_i32 s3, s7, s3
	s_lshr_b32 s3, s3, s11
	s_delay_alu instid0(SALU_CYCLE_1) | instskip(NEXT) | instid1(SALU_CYCLE_1)
	s_mul_i32 s10, s3, s12
	s_sub_co_i32 s7, s7, s10
	s_delay_alu instid0(SALU_CYCLE_1) | instskip(NEXT) | instid1(SALU_CYCLE_1)
	s_mul_hi_u32 s10, s7, s13
	s_add_co_i32 s10, s7, s10
	s_delay_alu instid0(SALU_CYCLE_1) | instskip(NEXT) | instid1(SALU_CYCLE_1)
	s_lshr_b32 s11, s10, s14
	s_mul_i32 s10, s11, s15
	s_delay_alu instid0(SALU_CYCLE_1) | instskip(SKIP_2) | instid1(SALU_CYCLE_1)
	s_sub_co_i32 s12, s7, s10
	s_and_b32 s7, ttmp7, 0xffff
	s_lshl_b32 s10, s12, 1
	s_add_co_i32 s13, s10, s7
	s_lshr_b32 s10, ttmp7, 16
	s_wait_kmcnt 0x0
	s_cmp_lt_i32 s13, s8
	s_cselect_b32 s13, -1, 0
	s_add_co_i32 s14, s11, s10
	s_delay_alu instid0(SALU_CYCLE_1) | instskip(SKIP_1) | instid1(SALU_CYCLE_1)
	s_cmp_lt_i32 s14, s5
	s_cselect_b32 s14, -1, 0
	s_and_b32 s13, s13, s14
	s_delay_alu instid0(SALU_CYCLE_1)
	s_and_not1_b32 vcc_lo, exec_lo, s13
	s_cbranch_vccnz .LBB69_6
; %bb.1:
	s_mul_i32 s2, s2, s8
	s_mul_i32 s5, s3, s5
	s_add_co_i32 s2, s2, s7
	s_delay_alu instid0(SALU_CYCLE_1) | instskip(NEXT) | instid1(SALU_CYCLE_1)
	s_mul_i32 s2, s2, s9
	s_add_co_i32 s8, s2, s10
	s_load_b128 s[0:3], s[0:1], 0x0
	s_add_co_i32 s5, s8, s5
	s_mul_i32 s8, s9, s12
	s_add_co_i32 s5, s5, s11
	s_lshl_b32 s8, s8, 7
	s_lshl_b32 s5, s5, 6
	s_add_co_i32 s9, s7, s10
	s_add_co_i32 s8, s8, s5
	s_delay_alu instid0(SALU_CYCLE_1) | instskip(SKIP_3) | instid1(SALU_CYCLE_1)
	v_or_b32_e32 v1, s8, v0
	s_mul_i32 s8, s6, ttmp9
	s_wait_alu 0xfffe
	s_add_co_i32 s5, s8, s6
	s_add_co_i32 s7, s5, -2
	v_ashrrev_i32_e32 v2, 31, v1
	s_delay_alu instid0(VALU_DEP_1) | instskip(SKIP_1) | instid1(VALU_DEP_1)
	v_lshlrev_b64_e32 v[1:2], 2, v[1:2]
	s_wait_kmcnt 0x0
	v_add_co_u32 v1, vcc_lo, s0, v1
	s_delay_alu instid0(VALU_DEP_1)
	v_add_co_ci_u32_e64 v2, null, s1, v2, vcc_lo
	s_lshl_b32 s0, s5, 1
	s_wait_alu 0xfffe
	s_add_co_i32 s0, s9, s0
	global_load_b32 v5, v[1:2], off
	s_wait_alu 0xfffe
	s_add_co_i32 s0, s0, -2
	s_wait_alu 0xfffe
	s_ashr_i32 s1, s0, 31
	s_wait_alu 0xfffe
	s_lshl_b64 s[0:1], s[0:1], 3
	s_cmp_lt_i32 s7, s8
	s_wait_alu 0xfffe
	s_add_nc_u64 s[0:1], s[2:3], s[0:1]
	s_load_b32 s10, s[0:1], 0x4
	s_cbranch_scc1 .LBB69_4
; %bb.2:
	s_load_b32 s0, s[0:1], 0x0
	s_add_co_i32 s7, ttmp9, 1
	s_wait_kmcnt 0x0
	v_mov_b32_e32 v6, s10
	s_mul_i32 s1, s6, s7
	s_lshl_b32 s7, s9, 6
	s_wait_alu 0xfffe
	s_lshl_b32 s11, s1, 7
	s_lshl_b32 s6, s4, 3
	s_wait_alu 0xfffe
	s_add_co_i32 s11, s7, s11
	s_lshl_b32 s1, s1, 1
	s_wait_alu 0xfffe
	v_or_b32_e32 v0, s11, v0
	s_ashr_i32 s7, s6, 31
	s_add_co_i32 s1, s9, s1
	s_lshl_b32 s4, s4, 1
	s_lshl_b64 s[6:7], s[6:7], 2
	v_add_nc_u32_e32 v3, 0xffffff00, v0
	s_wait_alu 0xfffe
	s_add_co_i32 s4, s1, s4
	s_add_nc_u64 s[6:7], s[2:3], s[6:7]
	s_add_co_i32 s1, s5, -1
	s_add_co_i32 s4, s4, -4
.LBB69_3:                               ; =>This Inner Loop Header: Depth=1
	v_ashrrev_i32_e32 v4, 31, v3
	s_ashr_i32 s5, s4, 31
	v_mov_b32_e32 v10, v6
	s_lshl_b64 s[10:11], s[4:5], 3
	s_wait_loadcnt 0x0
	v_mov_b32_e32 v9, v5
	v_lshlrev_b64_e32 v[7:8], 2, v[3:4]
	s_wait_alu 0xfffe
	s_add_nc_u64 s[10:11], s[2:3], s[10:11]
	v_max_num_f32_e64 v4, s0, s0
	s_load_b64 s[10:11], s[10:11], 0x0
	v_add_nc_u32_e32 v3, 0xffffff80, v3
	v_add_co_u32 v7, vcc_lo, s6, v7
	s_wait_alu 0xfffd
	v_add_co_ci_u32_e64 v8, null, s7, v8, vcc_lo
	v_readfirstlane_b32 s5, v4
	global_load_b32 v0, v[7:8], off
	s_wait_kmcnt 0x0
	v_max_num_f32_e64 v4, s10, s10
	s_delay_alu instid0(VALU_DEP_1) | instskip(SKIP_1) | instid1(SALU_CYCLE_3)
	v_readfirstlane_b32 s9, v4
	s_max_num_f32 s5, s5, s9
	s_sub_f32 s0, s0, s5
	s_sub_f32 s9, s10, s5
	s_wait_alu 0xfffe
	s_delay_alu instid0(SALU_CYCLE_1) | instskip(NEXT) | instid1(SALU_CYCLE_1)
	s_mul_f32 s10, s0, 0x3fb8aa3b
	s_mul_f32 s12, s9, 0x3fb8aa3b
	s_wait_alu 0xfffe
	s_delay_alu instid0(SALU_CYCLE_1)
	s_xor_b32 s13, s10, 0x80000000
	s_rndne_f32 s14, s10
	s_fmamk_f32 s13, s0, 0x3fb8aa3b, s13
	s_cmp_nlt_f32 s0, 0xc2ce8ed0
	s_rndne_f32 s15, s12
	s_wait_alu 0xfffe
	s_sub_f32 s10, s10, s14
	s_fmamk_f32 s13, s0, 0x32a5705f, s13
	s_cvt_i32_f32 s14, s14
	s_cselect_b32 vcc_lo, -1, 0
	s_cmp_ngt_f32 s0, 0x42b17218
	s_wait_alu 0xfffe
	s_add_f32 s10, s10, s13
	s_sub_f32 s13, s12, s15
	s_wait_alu 0xfffe
	s_delay_alu instid0(SALU_CYCLE_1) | instskip(SKIP_1) | instid1(TRANS32_DEP_1)
	v_s_exp_f32 s10, s10
	s_wait_alu 0xf1ff
	v_ldexp_f32 v4, s10, s14
	s_cvt_i32_f32 s10, s15
	s_delay_alu instid0(VALU_DEP_1) | instskip(SKIP_3) | instid1(VALU_DEP_1)
	v_cndmask_b32_e32 v4, 0, v4, vcc_lo
	s_cselect_b32 vcc_lo, -1, 0
	s_cmp_ge_f32 s0, 0xc1a00000
	s_wait_alu 0xfffe
	v_cndmask_b32_e32 v4, 0x7f800000, v4, vcc_lo
	s_cselect_b32 vcc_lo, -1, 0
	s_xor_b32 s0, s12, 0x80000000
	s_cmp_nlt_f32 s9, 0xc2ce8ed0
	s_wait_alu 0xfffe
	s_fmamk_f32 s0, s9, 0x3fb8aa3b, s0
	s_wait_alu 0xfffe
	s_delay_alu instid0(SALU_CYCLE_2) | instskip(SKIP_1) | instid1(SALU_CYCLE_2)
	s_fmamk_f32 s0, s9, 0x32a5705f, s0
	s_wait_alu 0xfffe
	s_add_f32 s0, s13, s0
	s_wait_alu 0xfffe
	s_delay_alu instid0(SALU_CYCLE_2) | instskip(SKIP_1) | instid1(TRANS32_DEP_1)
	v_s_exp_f32 s0, s0
	s_wait_alu 0xf1ff
	v_ldexp_f32 v7, s0, s10
	s_cselect_b32 s0, -1, 0
	s_cmp_ngt_f32 s9, 0x42b17218
	s_wait_alu 0xfffe
	s_delay_alu instid0(VALU_DEP_1) | instskip(SKIP_3) | instid1(VALU_DEP_1)
	v_cndmask_b32_e64 v7, 0, v7, s0
	s_cselect_b32 s0, -1, 0
	s_cmp_ge_f32 s9, 0xc1a00000
	s_wait_alu 0xfffe
	v_cndmask_b32_e64 v7, 0x7f800000, v7, s0
	s_cselect_b32 s0, -1, 0
	s_add_co_i32 s1, s1, -1
	s_add_co_i32 s4, s4, -2
	s_wait_alu 0xfffe
	s_cmp_le_i32 s1, s8
	v_cndmask_b32_e64 v7, 0, v7, s0
	s_mov_b32 s0, s5
	s_wait_loadcnt 0x0
	s_delay_alu instid0(VALU_DEP_1) | instskip(NEXT) | instid1(VALU_DEP_1)
	v_dual_mul_f32 v5, v0, v7 :: v_dual_cndmask_b32 v4, 0, v4
	v_dual_mul_f32 v8, s11, v7 :: v_dual_fmac_f32 v5, v9, v4
	s_delay_alu instid0(VALU_DEP_1) | instskip(NEXT) | instid1(VALU_DEP_1)
	v_mov_b32_e32 v6, v8
	v_fmac_f32_e32 v6, v10, v4
	s_cbranch_scc0 .LBB69_3
	s_branch .LBB69_5
.LBB69_4:
	s_wait_kmcnt 0x0
	v_mov_b32_e32 v6, s10
.LBB69_5:
	s_wait_loadcnt 0x0
	s_delay_alu instid0(VALU_DEP_1) | instskip(NEXT) | instid1(VALU_DEP_1)
	v_div_scale_f32 v0, null, v6, v6, v5
	v_rcp_f32_e32 v3, v0
	s_delay_alu instid0(TRANS32_DEP_1) | instskip(NEXT) | instid1(VALU_DEP_1)
	v_fma_f32 v4, -v0, v3, 1.0
	v_fmac_f32_e32 v3, v4, v3
	v_div_scale_f32 v4, vcc_lo, v5, v6, v5
	s_delay_alu instid0(VALU_DEP_1) | instskip(NEXT) | instid1(VALU_DEP_1)
	v_mul_f32_e32 v7, v4, v3
	v_fma_f32 v8, -v0, v7, v4
	s_delay_alu instid0(VALU_DEP_1) | instskip(NEXT) | instid1(VALU_DEP_1)
	v_fmac_f32_e32 v7, v8, v3
	v_fma_f32 v0, -v0, v7, v4
	s_wait_alu 0xfffd
	s_delay_alu instid0(VALU_DEP_1) | instskip(NEXT) | instid1(VALU_DEP_1)
	v_div_fmas_f32 v0, v0, v3, v7
	v_div_fixup_f32 v0, v0, v6, v5
	global_store_b32 v[1:2], v0, off
.LBB69_6:
	s_endpgm
	.section	.rodata,"a",@progbits
	.p2align	6, 0x0
	.amdhsa_kernel _ZL33flash_attn_stream_k_fixup_uniformILi64ELi2ELi1EEvPfPK15HIP_vector_typeIfLj2EEiiiiiiS1_IjLj3EES5_S5_
		.amdhsa_group_segment_fixed_size 0
		.amdhsa_private_segment_fixed_size 0
		.amdhsa_kernarg_size 76
		.amdhsa_user_sgpr_count 2
		.amdhsa_user_sgpr_dispatch_ptr 0
		.amdhsa_user_sgpr_queue_ptr 0
		.amdhsa_user_sgpr_kernarg_segment_ptr 1
		.amdhsa_user_sgpr_dispatch_id 0
		.amdhsa_user_sgpr_private_segment_size 0
		.amdhsa_wavefront_size32 1
		.amdhsa_uses_dynamic_stack 0
		.amdhsa_enable_private_segment 0
		.amdhsa_system_sgpr_workgroup_id_x 1
		.amdhsa_system_sgpr_workgroup_id_y 1
		.amdhsa_system_sgpr_workgroup_id_z 1
		.amdhsa_system_sgpr_workgroup_info 0
		.amdhsa_system_vgpr_workitem_id 0
		.amdhsa_next_free_vgpr 11
		.amdhsa_next_free_sgpr 16
		.amdhsa_reserve_vcc 1
		.amdhsa_float_round_mode_32 0
		.amdhsa_float_round_mode_16_64 0
		.amdhsa_float_denorm_mode_32 3
		.amdhsa_float_denorm_mode_16_64 3
		.amdhsa_fp16_overflow 0
		.amdhsa_workgroup_processor_mode 1
		.amdhsa_memory_ordered 1
		.amdhsa_forward_progress 1
		.amdhsa_inst_pref_size 9
		.amdhsa_round_robin_scheduling 0
		.amdhsa_exception_fp_ieee_invalid_op 0
		.amdhsa_exception_fp_denorm_src 0
		.amdhsa_exception_fp_ieee_div_zero 0
		.amdhsa_exception_fp_ieee_overflow 0
		.amdhsa_exception_fp_ieee_underflow 0
		.amdhsa_exception_fp_ieee_inexact 0
		.amdhsa_exception_int_div_zero 0
	.end_amdhsa_kernel
	.section	.text._ZL33flash_attn_stream_k_fixup_uniformILi64ELi2ELi1EEvPfPK15HIP_vector_typeIfLj2EEiiiiiiS1_IjLj3EES5_S5_,"axG",@progbits,_ZL33flash_attn_stream_k_fixup_uniformILi64ELi2ELi1EEvPfPK15HIP_vector_typeIfLj2EEiiiiiiS1_IjLj3EES5_S5_,comdat
.Lfunc_end69:
	.size	_ZL33flash_attn_stream_k_fixup_uniformILi64ELi2ELi1EEvPfPK15HIP_vector_typeIfLj2EEiiiiiiS1_IjLj3EES5_S5_, .Lfunc_end69-_ZL33flash_attn_stream_k_fixup_uniformILi64ELi2ELi1EEvPfPK15HIP_vector_typeIfLj2EEiiiiiiS1_IjLj3EES5_S5_
                                        ; -- End function
	.set _ZL33flash_attn_stream_k_fixup_uniformILi64ELi2ELi1EEvPfPK15HIP_vector_typeIfLj2EEiiiiiiS1_IjLj3EES5_S5_.num_vgpr, 11
	.set _ZL33flash_attn_stream_k_fixup_uniformILi64ELi2ELi1EEvPfPK15HIP_vector_typeIfLj2EEiiiiiiS1_IjLj3EES5_S5_.num_agpr, 0
	.set _ZL33flash_attn_stream_k_fixup_uniformILi64ELi2ELi1EEvPfPK15HIP_vector_typeIfLj2EEiiiiiiS1_IjLj3EES5_S5_.numbered_sgpr, 16
	.set _ZL33flash_attn_stream_k_fixup_uniformILi64ELi2ELi1EEvPfPK15HIP_vector_typeIfLj2EEiiiiiiS1_IjLj3EES5_S5_.num_named_barrier, 0
	.set _ZL33flash_attn_stream_k_fixup_uniformILi64ELi2ELi1EEvPfPK15HIP_vector_typeIfLj2EEiiiiiiS1_IjLj3EES5_S5_.private_seg_size, 0
	.set _ZL33flash_attn_stream_k_fixup_uniformILi64ELi2ELi1EEvPfPK15HIP_vector_typeIfLj2EEiiiiiiS1_IjLj3EES5_S5_.uses_vcc, 1
	.set _ZL33flash_attn_stream_k_fixup_uniformILi64ELi2ELi1EEvPfPK15HIP_vector_typeIfLj2EEiiiiiiS1_IjLj3EES5_S5_.uses_flat_scratch, 0
	.set _ZL33flash_attn_stream_k_fixup_uniformILi64ELi2ELi1EEvPfPK15HIP_vector_typeIfLj2EEiiiiiiS1_IjLj3EES5_S5_.has_dyn_sized_stack, 0
	.set _ZL33flash_attn_stream_k_fixup_uniformILi64ELi2ELi1EEvPfPK15HIP_vector_typeIfLj2EEiiiiiiS1_IjLj3EES5_S5_.has_recursion, 0
	.set _ZL33flash_attn_stream_k_fixup_uniformILi64ELi2ELi1EEvPfPK15HIP_vector_typeIfLj2EEiiiiiiS1_IjLj3EES5_S5_.has_indirect_call, 0
	.section	.AMDGPU.csdata,"",@progbits
; Kernel info:
; codeLenInByte = 1120
; TotalNumSgprs: 18
; NumVgprs: 11
; ScratchSize: 0
; MemoryBound: 0
; FloatMode: 240
; IeeeMode: 1
; LDSByteSize: 0 bytes/workgroup (compile time only)
; SGPRBlocks: 0
; VGPRBlocks: 1
; NumSGPRsForWavesPerEU: 18
; NumVGPRsForWavesPerEU: 11
; Occupancy: 16
; WaveLimiterHint : 0
; COMPUTE_PGM_RSRC2:SCRATCH_EN: 0
; COMPUTE_PGM_RSRC2:USER_SGPR: 2
; COMPUTE_PGM_RSRC2:TRAP_HANDLER: 0
; COMPUTE_PGM_RSRC2:TGID_X_EN: 1
; COMPUTE_PGM_RSRC2:TGID_Y_EN: 1
; COMPUTE_PGM_RSRC2:TGID_Z_EN: 1
; COMPUTE_PGM_RSRC2:TIDIG_COMP_CNT: 0
	.section	.text._ZL33flash_attn_stream_k_fixup_generalILi64ELi2ELi1EEvPfPK15HIP_vector_typeIfLj2EEiiiiS1_IjLj3EES5_S5_S5_,"axG",@progbits,_ZL33flash_attn_stream_k_fixup_generalILi64ELi2ELi1EEvPfPK15HIP_vector_typeIfLj2EEiiiiS1_IjLj3EES5_S5_S5_,comdat
	.globl	_ZL33flash_attn_stream_k_fixup_generalILi64ELi2ELi1EEvPfPK15HIP_vector_typeIfLj2EEiiiiS1_IjLj3EES5_S5_S5_ ; -- Begin function _ZL33flash_attn_stream_k_fixup_generalILi64ELi2ELi1EEvPfPK15HIP_vector_typeIfLj2EEiiiiS1_IjLj3EES5_S5_S5_
	.p2align	8
	.type	_ZL33flash_attn_stream_k_fixup_generalILi64ELi2ELi1EEvPfPK15HIP_vector_typeIfLj2EEiiiiS1_IjLj3EES5_S5_S5_,@function
_ZL33flash_attn_stream_k_fixup_generalILi64ELi2ELi1EEvPfPK15HIP_vector_typeIfLj2EEiiiiS1_IjLj3EES5_S5_S5_: ; @_ZL33flash_attn_stream_k_fixup_generalILi64ELi2ELi1EEvPfPK15HIP_vector_typeIfLj2EEiiiiS1_IjLj3EES5_S5_S5_
; %bb.0:
	s_clause 0x1
	s_load_b128 s[4:7], s[0:1], 0x10
	s_load_b32 s16, s[0:1], 0x50
	s_mov_b32 s2, ttmp9
	s_ashr_i32 s3, ttmp9, 31
	s_mov_b32 s17, 0
	s_delay_alu instid0(SALU_CYCLE_1) | instskip(SKIP_3) | instid1(SALU_CYCLE_1)
	s_mov_b32 s8, s17
	s_wait_kmcnt 0x0
	s_ashr_i32 s19, s7, 31
	s_mov_b32 s18, s7
	s_mul_u64 s[2:3], s[18:19], s[2:3]
	s_delay_alu instid0(SALU_CYCLE_1) | instskip(NEXT) | instid1(SALU_CYCLE_1)
	s_mov_b32 s9, s3
	s_cmp_lg_u64 s[8:9], 0
	s_cbranch_scc0 .LBB70_21
; %bb.1:
	s_add_nc_u64 s[8:9], s[16:17], 0
	s_mov_b32 s15, s17
	s_xor_b64 s[8:9], s[8:9], 0
	s_mov_b32 s23, s17
	s_cvt_f32_u32 s7, s8
	s_cvt_f32_u32 s10, s9
	s_sub_nc_u64 s[12:13], 0, s[8:9]
	s_delay_alu instid0(SALU_CYCLE_2) | instskip(NEXT) | instid1(SALU_CYCLE_3)
	s_fmamk_f32 s7, s10, 0x4f800000, s7
	v_s_rcp_f32 s7, s7
	s_delay_alu instid0(TRANS32_DEP_1) | instskip(SKIP_1) | instid1(SALU_CYCLE_2)
	s_mul_f32 s7, s7, 0x5f7ffffc
	s_wait_alu 0xfffe
	s_mul_f32 s10, s7, 0x2f800000
	s_delay_alu instid0(SALU_CYCLE_3) | instskip(NEXT) | instid1(SALU_CYCLE_3)
	s_trunc_f32 s10, s10
	s_fmamk_f32 s7, s10, 0xcf800000, s7
	s_cvt_u32_f32 s11, s10
	s_wait_alu 0xfffe
	s_delay_alu instid0(SALU_CYCLE_1) | instskip(NEXT) | instid1(SALU_CYCLE_3)
	s_cvt_u32_f32 s10, s7
	s_mul_u64 s[20:21], s[12:13], s[10:11]
	s_delay_alu instid0(SALU_CYCLE_1)
	s_mul_hi_u32 s25, s10, s21
	s_mul_i32 s24, s10, s21
	s_mul_hi_u32 s14, s10, s20
	s_mul_i32 s22, s11, s20
	s_add_nc_u64 s[14:15], s[14:15], s[24:25]
	s_mul_hi_u32 s7, s11, s20
	s_mul_hi_u32 s26, s11, s21
	s_add_co_u32 s14, s14, s22
	s_wait_alu 0xfffe
	s_add_co_ci_u32 s22, s15, s7
	s_mul_i32 s20, s11, s21
	s_add_co_ci_u32 s21, s26, 0
	s_delay_alu instid0(SALU_CYCLE_1)
	s_add_nc_u64 s[14:15], s[22:23], s[20:21]
	s_mov_b32 s21, s17
	s_add_co_u32 s10, s10, s14
	s_cselect_b32 s7, -1, 0
	s_wait_alu 0xfffe
	s_cmp_lg_u32 s7, 0
	s_add_co_ci_u32 s11, s11, s15
	s_mov_b32 s15, s17
	s_mul_u64 s[12:13], s[12:13], s[10:11]
	s_delay_alu instid0(SALU_CYCLE_1)
	s_mul_hi_u32 s23, s10, s13
	s_mul_i32 s22, s10, s13
	s_mul_hi_u32 s14, s10, s12
	s_mul_i32 s20, s11, s12
	s_add_nc_u64 s[14:15], s[14:15], s[22:23]
	s_mul_hi_u32 s7, s11, s12
	s_mul_hi_u32 s24, s11, s13
	s_mul_i32 s12, s11, s13
	s_add_co_u32 s13, s14, s20
	s_wait_alu 0xfffe
	s_add_co_ci_u32 s20, s15, s7
	s_add_co_ci_u32 s13, s24, 0
	s_mov_b32 s15, s17
	s_add_nc_u64 s[12:13], s[20:21], s[12:13]
	s_delay_alu instid0(SALU_CYCLE_1) | instskip(SKIP_1) | instid1(SALU_CYCLE_1)
	s_add_co_u32 s7, s10, s12
	s_cselect_b32 s10, -1, 0
	s_cmp_lg_u32 s10, 0
	s_add_co_ci_u32 s20, s11, s13
	s_ashr_i32 s10, s3, 31
	s_delay_alu instid0(SALU_CYCLE_1) | instskip(NEXT) | instid1(SALU_CYCLE_1)
	s_mov_b32 s11, s10
	s_add_nc_u64 s[12:13], s[2:3], s[10:11]
	s_delay_alu instid0(SALU_CYCLE_1) | instskip(NEXT) | instid1(SALU_CYCLE_1)
	s_xor_b64 s[12:13], s[12:13], s[10:11]
	s_mul_hi_u32 s23, s12, s20
	s_mul_i32 s22, s12, s20
	s_wait_alu 0xfffe
	s_mul_hi_u32 s14, s12, s7
	s_mul_hi_u32 s24, s13, s7
	s_mul_i32 s7, s13, s7
	s_add_nc_u64 s[14:15], s[14:15], s[22:23]
	s_mul_hi_u32 s3, s13, s20
	s_wait_alu 0xfffe
	s_add_co_u32 s7, s14, s7
	s_mul_i32 s22, s13, s20
	s_add_co_ci_u32 s20, s15, s24
	s_add_co_ci_u32 s23, s3, 0
	s_delay_alu instid0(SALU_CYCLE_1) | instskip(NEXT) | instid1(SALU_CYCLE_1)
	s_add_nc_u64 s[14:15], s[20:21], s[22:23]
	s_mul_u64 s[20:21], s[8:9], s[14:15]
	s_delay_alu instid0(SALU_CYCLE_1)
	s_sub_co_u32 s3, s12, s20
	s_cselect_b32 s7, -1, 0
	s_sub_co_i32 s12, s13, s21
	s_wait_alu 0xfffe
	s_cmp_lg_u32 s7, 0
	s_sub_co_ci_u32 s12, s12, s9
	s_sub_co_u32 s20, s3, s8
	s_cselect_b32 s22, -1, 0
	s_delay_alu instid0(SALU_CYCLE_1) | instskip(SKIP_2) | instid1(SALU_CYCLE_1)
	s_cmp_lg_u32 s22, 0
	s_add_nc_u64 s[22:23], s[14:15], 1
	s_sub_co_ci_u32 s12, s12, 0
	s_cmp_ge_u32 s12, s9
	s_cselect_b32 s24, -1, 0
	s_cmp_ge_u32 s20, s8
	s_cselect_b32 s20, -1, 0
	s_cmp_eq_u32 s12, s9
	s_cselect_b32 s12, s20, s24
	s_add_nc_u64 s[24:25], s[14:15], 2
	s_cmp_lg_u32 s12, 0
	s_cselect_b32 s12, s24, s22
	s_cselect_b32 s20, s25, s23
	s_cmp_lg_u32 s7, 0
	s_sub_co_ci_u32 s7, s13, s21
	s_wait_alu 0xfffe
	s_cmp_ge_u32 s7, s9
	s_cselect_b32 s13, -1, 0
	s_cmp_ge_u32 s3, s8
	s_cselect_b32 s3, -1, 0
	s_cmp_eq_u32 s7, s9
	s_cselect_b32 s3, s3, s13
	s_delay_alu instid0(SALU_CYCLE_1) | instskip(SKIP_4) | instid1(SALU_CYCLE_1)
	s_cmp_lg_u32 s3, 0
	s_mov_b32 s3, s17
	s_cselect_b32 s9, s20, s15
	s_cselect_b32 s8, s12, s14
	s_xor_b64 s[10:11], s[10:11], 0
	s_xor_b64 s[8:9], s[8:9], s[10:11]
	s_delay_alu instid0(SALU_CYCLE_1)
	s_sub_nc_u64 s[20:21], s[8:9], s[10:11]
	s_and_not1_b32 vcc_lo, exec_lo, s3
	s_cbranch_vccnz .LBB70_3
.LBB70_2:
	v_cvt_f32_u32_e32 v1, s16
	s_sub_co_i32 s7, 0, s16
	s_delay_alu instid0(VALU_DEP_1) | instskip(NEXT) | instid1(TRANS32_DEP_1)
	v_rcp_iflag_f32_e32 v1, v1
	v_mul_f32_e32 v1, 0x4f7ffffe, v1
	s_delay_alu instid0(VALU_DEP_1) | instskip(NEXT) | instid1(VALU_DEP_1)
	v_cvt_u32_f32_e32 v1, v1
	v_readfirstlane_b32 s3, v1
	s_wait_alu 0xfffe
	s_mul_i32 s7, s7, s3
	s_wait_alu 0xfffe
	s_mul_hi_u32 s7, s3, s7
	s_wait_alu 0xfffe
	s_add_co_i32 s3, s3, s7
	s_delay_alu instid0(SALU_CYCLE_1) | instskip(NEXT) | instid1(SALU_CYCLE_1)
	s_mul_hi_u32 s3, s2, s3
	s_mul_i32 s7, s3, s16
	s_wait_alu 0xfffe
	s_sub_co_i32 s2, s2, s7
	s_add_co_i32 s7, s3, 1
	s_sub_co_i32 s8, s2, s16
	s_cmp_ge_u32 s2, s16
	s_wait_alu 0xfffe
	s_cselect_b32 s3, s7, s3
	s_cselect_b32 s2, s8, s2
	s_add_co_i32 s7, s3, 1
	s_cmp_ge_u32 s2, s16
	s_wait_alu 0xfffe
	s_cselect_b32 s20, s7, s3
.LBB70_3:
	s_add_co_i32 s2, ttmp9, 1
	s_mov_b32 s8, 0
	s_ashr_i32 s3, s2, 31
	s_delay_alu instid0(SALU_CYCLE_1) | instskip(NEXT) | instid1(SALU_CYCLE_1)
	s_mul_u64 s[2:3], s[18:19], s[2:3]
	s_mov_b32 s9, s3
	s_delay_alu instid0(SALU_CYCLE_1)
	s_cmp_lg_u64 s[8:9], 0
	s_cbranch_scc0 .LBB70_22
; %bb.4:
	s_add_nc_u64 s[10:11], s[16:17], 0
	s_mov_b32 s23, s8
	s_xor_b64 s[10:11], s[10:11], 0
	s_mov_b32 s27, s8
	s_cvt_f32_u32 s7, s10
	s_cvt_f32_u32 s9, s11
	s_sub_nc_u64 s[14:15], 0, s[10:11]
	s_wait_alu 0xfffe
	s_delay_alu instid0(SALU_CYCLE_1) | instskip(SKIP_1) | instid1(SALU_CYCLE_2)
	s_fmamk_f32 s7, s9, 0x4f800000, s7
	s_wait_alu 0xfffe
	v_s_rcp_f32 s7, s7
	s_delay_alu instid0(TRANS32_DEP_1) | instskip(SKIP_1) | instid1(SALU_CYCLE_2)
	s_mul_f32 s7, s7, 0x5f7ffffc
	s_wait_alu 0xfffe
	s_mul_f32 s9, s7, 0x2f800000
	s_delay_alu instid0(SALU_CYCLE_3) | instskip(NEXT) | instid1(SALU_CYCLE_3)
	s_trunc_f32 s9, s9
	s_fmamk_f32 s7, s9, 0xcf800000, s7
	s_cvt_u32_f32 s13, s9
	s_wait_alu 0xfffe
	s_delay_alu instid0(SALU_CYCLE_1) | instskip(NEXT) | instid1(SALU_CYCLE_3)
	s_cvt_u32_f32 s12, s7
	s_mul_u64 s[24:25], s[14:15], s[12:13]
	s_delay_alu instid0(SALU_CYCLE_1)
	s_mul_hi_u32 s29, s12, s25
	s_mul_i32 s28, s12, s25
	s_mul_hi_u32 s22, s12, s24
	s_mul_i32 s9, s13, s24
	s_add_nc_u64 s[22:23], s[22:23], s[28:29]
	s_mul_hi_u32 s7, s13, s24
	s_mul_hi_u32 s21, s13, s25
	s_add_co_u32 s9, s22, s9
	s_wait_alu 0xfffe
	s_add_co_ci_u32 s26, s23, s7
	s_mul_i32 s24, s13, s25
	s_add_co_ci_u32 s25, s21, 0
	s_delay_alu instid0(SALU_CYCLE_1)
	s_add_nc_u64 s[22:23], s[26:27], s[24:25]
	s_mov_b32 s25, s8
	s_add_co_u32 s12, s12, s22
	s_cselect_b32 s7, -1, 0
	s_wait_alu 0xfffe
	s_cmp_lg_u32 s7, 0
	s_add_co_ci_u32 s13, s13, s23
	s_mov_b32 s23, s8
	s_mul_u64 s[14:15], s[14:15], s[12:13]
	s_delay_alu instid0(SALU_CYCLE_1)
	s_mul_hi_u32 s27, s12, s15
	s_mul_i32 s26, s12, s15
	s_mul_hi_u32 s22, s12, s14
	s_mul_i32 s9, s13, s14
	s_add_nc_u64 s[22:23], s[22:23], s[26:27]
	s_mul_hi_u32 s7, s13, s14
	s_mul_hi_u32 s21, s13, s15
	s_add_co_u32 s9, s22, s9
	s_wait_alu 0xfffe
	s_add_co_ci_u32 s24, s23, s7
	s_mul_i32 s14, s13, s15
	s_add_co_ci_u32 s15, s21, 0
	s_mov_b32 s23, s8
	s_add_nc_u64 s[14:15], s[24:25], s[14:15]
	s_delay_alu instid0(SALU_CYCLE_1) | instskip(SKIP_1) | instid1(SALU_CYCLE_1)
	s_add_co_u32 s7, s12, s14
	s_cselect_b32 s9, -1, 0
	s_cmp_lg_u32 s9, 0
	s_add_co_ci_u32 s9, s13, s15
	s_ashr_i32 s12, s3, 31
	s_delay_alu instid0(SALU_CYCLE_1) | instskip(NEXT) | instid1(SALU_CYCLE_1)
	s_mov_b32 s13, s12
	s_add_nc_u64 s[14:15], s[2:3], s[12:13]
	s_delay_alu instid0(SALU_CYCLE_1) | instskip(NEXT) | instid1(SALU_CYCLE_1)
	s_xor_b64 s[14:15], s[14:15], s[12:13]
	s_mul_hi_u32 s27, s14, s9
	s_mul_i32 s26, s14, s9
	s_wait_alu 0xfffe
	s_mul_hi_u32 s22, s14, s7
	s_mul_hi_u32 s21, s15, s7
	s_mul_i32 s7, s15, s7
	s_add_nc_u64 s[22:23], s[22:23], s[26:27]
	s_mul_hi_u32 s3, s15, s9
	s_wait_alu 0xfffe
	s_add_co_u32 s7, s22, s7
	s_add_co_ci_u32 s24, s23, s21
	s_mul_i32 s26, s15, s9
	s_add_co_ci_u32 s27, s3, 0
	s_delay_alu instid0(SALU_CYCLE_1) | instskip(NEXT) | instid1(SALU_CYCLE_1)
	s_add_nc_u64 s[22:23], s[24:25], s[26:27]
	s_mul_u64 s[24:25], s[10:11], s[22:23]
	s_add_nc_u64 s[26:27], s[22:23], 1
	s_sub_co_u32 s3, s14, s24
	s_cselect_b32 s7, -1, 0
	s_sub_co_i32 s9, s15, s25
	s_wait_alu 0xfffe
	s_cmp_lg_u32 s7, 0
	s_add_nc_u64 s[28:29], s[22:23], 2
	s_sub_co_ci_u32 s9, s9, s11
	s_sub_co_u32 s14, s3, s10
	s_cselect_b32 s21, -1, 0
	s_delay_alu instid0(SALU_CYCLE_1) | instskip(SKIP_1) | instid1(SALU_CYCLE_1)
	s_cmp_lg_u32 s21, 0
	s_sub_co_ci_u32 s9, s9, 0
	s_cmp_ge_u32 s9, s11
	s_cselect_b32 s21, -1, 0
	s_cmp_ge_u32 s14, s10
	s_cselect_b32 s14, -1, 0
	s_cmp_eq_u32 s9, s11
	s_cselect_b32 s9, s14, s21
	s_delay_alu instid0(SALU_CYCLE_1)
	s_cmp_lg_u32 s9, 0
	s_cselect_b32 s9, s28, s26
	s_cselect_b32 s14, s29, s27
	s_cmp_lg_u32 s7, 0
	s_sub_co_ci_u32 s7, s15, s25
	s_wait_alu 0xfffe
	s_cmp_ge_u32 s7, s11
	s_cselect_b32 s15, -1, 0
	s_cmp_ge_u32 s3, s10
	s_cselect_b32 s3, -1, 0
	s_cmp_eq_u32 s7, s11
	s_cselect_b32 s3, s3, s15
	s_delay_alu instid0(SALU_CYCLE_1) | instskip(SKIP_3) | instid1(SALU_CYCLE_1)
	s_cmp_lg_u32 s3, 0
	s_cselect_b32 s11, s14, s23
	s_cselect_b32 s10, s9, s22
	s_xor_b64 s[12:13], s[12:13], 0
	s_xor_b64 s[10:11], s[10:11], s[12:13]
	s_delay_alu instid0(SALU_CYCLE_1)
	s_sub_nc_u64 s[10:11], s[10:11], s[12:13]
	s_load_b96 s[12:14], s[0:1], 0x44
	s_and_not1_b32 vcc_lo, exec_lo, s8
	s_cbranch_vccnz .LBB70_6
.LBB70_5:
	v_cvt_f32_u32_e32 v1, s16
	s_sub_co_i32 s7, 0, s16
	s_delay_alu instid0(VALU_DEP_1) | instskip(NEXT) | instid1(TRANS32_DEP_1)
	v_rcp_iflag_f32_e32 v1, v1
	v_mul_f32_e32 v1, 0x4f7ffffe, v1
	s_delay_alu instid0(VALU_DEP_1) | instskip(NEXT) | instid1(VALU_DEP_1)
	v_cvt_u32_f32_e32 v1, v1
	v_readfirstlane_b32 s3, v1
	s_wait_alu 0xfffe
	s_mul_i32 s7, s7, s3
	s_wait_alu 0xfffe
	s_mul_hi_u32 s7, s3, s7
	s_wait_alu 0xfffe
	s_add_co_i32 s3, s3, s7
	s_delay_alu instid0(SALU_CYCLE_1) | instskip(NEXT) | instid1(SALU_CYCLE_1)
	s_mul_hi_u32 s3, s2, s3
	s_mul_i32 s7, s3, s16
	s_wait_alu 0xfffe
	s_sub_co_i32 s2, s2, s7
	s_add_co_i32 s7, s3, 1
	s_sub_co_i32 s8, s2, s16
	s_cmp_ge_u32 s2, s16
	s_wait_alu 0xfffe
	s_cselect_b32 s3, s7, s3
	s_cselect_b32 s2, s8, s2
	s_add_co_i32 s7, s3, 1
	s_cmp_ge_u32 s2, s16
	s_wait_alu 0xfffe
	s_cselect_b32 s10, s7, s3
.LBB70_6:
	s_mov_b32 s21, 0
	s_wait_kmcnt 0x0
	s_mov_b32 s22, s12
	s_mov_b32 s23, s21
	s_cmp_eq_u32 s20, s10
	s_mul_u64 s[2:3], s[20:21], s[22:23]
	s_cselect_b32 s7, -1, 0
	s_add_co_i32 s2, s3, s20
	s_mov_b32 s11, s21
	s_lshr_b32 s12, s2, s13
	s_mul_u64 s[2:3], s[10:11], s[22:23]
	s_mul_i32 s2, s12, s14
	s_delay_alu instid0(SALU_CYCLE_1) | instskip(SKIP_2) | instid1(SALU_CYCLE_1)
	s_cmp_eq_u32 s2, s20
	s_cselect_b32 s2, -1, 0
	s_add_co_i32 s3, s3, s10
	s_lshr_b32 s3, s3, s13
	s_delay_alu instid0(SALU_CYCLE_1)
	s_cmp_eq_u32 s12, s3
	s_mul_i32 s3, s3, s14
	s_cselect_b32 s8, -1, 0
	s_cmp_lg_u32 s3, s10
	s_cselect_b32 s3, -1, 0
	s_wait_alu 0xfffe
	s_or_b32 s2, s7, s2
	s_and_b32 s3, s8, s3
	s_delay_alu instid0(SALU_CYCLE_1) | instskip(NEXT) | instid1(SALU_CYCLE_1)
	s_or_b32 s2, s2, s3
	s_and_b32 vcc_lo, exec_lo, s2
	s_cbranch_vccnz .LBB70_24
; %bb.7:
	s_load_b256 s[24:31], s[0:1], 0x20
	s_mov_b32 s3, s21
	s_and_b32 s15, ttmp7, 0xffff
	s_wait_kmcnt 0x0
	s_mov_b32 s2, s24
	s_delay_alu instid0(SALU_CYCLE_1) | instskip(NEXT) | instid1(SALU_CYCLE_1)
	s_mul_u64 s[2:3], s[20:21], s[2:3]
	s_add_co_i32 s2, s3, s20
	s_delay_alu instid0(SALU_CYCLE_1) | instskip(SKIP_4) | instid1(SALU_CYCLE_1)
	s_lshr_b32 s3, s2, s25
	s_load_b32 s2, s[0:1], 0x40
	s_mul_i32 s7, s3, s26
	s_wait_alu 0xfffe
	s_sub_co_i32 s8, s20, s7
	s_mul_hi_u32 s7, s8, s27
	s_wait_alu 0xfffe
	s_add_co_i32 s7, s8, s7
	s_wait_alu 0xfffe
	s_lshr_b32 s7, s7, s28
	s_wait_alu 0xfffe
	s_mul_i32 s9, s7, s29
	s_delay_alu instid0(SALU_CYCLE_1) | instskip(NEXT) | instid1(SALU_CYCLE_1)
	s_sub_co_i32 s8, s8, s9
	s_mul_hi_u32 s9, s8, s30
	s_delay_alu instid0(SALU_CYCLE_1) | instskip(NEXT) | instid1(SALU_CYCLE_1)
	s_add_co_i32 s9, s8, s9
	s_lshr_b32 s24, s9, s31
	s_mov_b32 s9, s21
	s_wait_kmcnt 0x0
	s_mul_i32 s2, s24, s2
	s_delay_alu instid0(SALU_CYCLE_1) | instskip(NEXT) | instid1(SALU_CYCLE_1)
	s_sub_co_i32 s8, s8, s2
	s_mul_u64 s[10:11], s[8:9], s[22:23]
	s_delay_alu instid0(SALU_CYCLE_1) | instskip(NEXT) | instid1(SALU_CYCLE_1)
	s_add_co_i32 s2, s8, s11
	s_lshr_b32 s21, s2, s13
	s_delay_alu instid0(SALU_CYCLE_1) | instskip(NEXT) | instid1(SALU_CYCLE_1)
	s_lshl_b32 s2, s21, 1
	s_add_co_i32 s8, s2, s15
	s_lshr_b32 s2, ttmp7, 16
	s_cmp_lt_i32 s8, s4
	s_cselect_b32 s8, -1, 0
	s_add_co_i32 s9, s24, s2
	s_delay_alu instid0(SALU_CYCLE_1) | instskip(SKIP_1) | instid1(SALU_CYCLE_1)
	s_cmp_lt_i32 s9, s6
	s_cselect_b32 s9, -1, 0
	s_and_b32 s8, s8, s9
	s_delay_alu instid0(SALU_CYCLE_1)
	s_and_not1_b32 vcc_lo, exec_lo, s8
	s_cbranch_vccnz .LBB70_24
; %bb.8:
	s_mul_i32 s3, s3, s4
	s_mul_i32 s7, s7, s6
	s_add_co_i32 s3, s3, s15
	s_load_b128 s[8:11], s[0:1], 0x0
	s_mul_i32 s3, s3, s5
	s_mul_i32 s1, s5, s21
	s_add_co_i32 s3, s3, s2
	s_lshl_b32 s1, s1, 7
	s_add_co_i32 s0, s3, s7
	s_add_co_i32 s15, s15, s2
	;; [unrolled: 1-line block ×3, first 2 shown]
	v_cvt_f32_u32_e32 v4, s16
	s_lshl_b32 s0, s0, 6
	s_add_co_i32 s34, ttmp9, -1
	s_add_co_i32 s1, s1, s0
	s_delay_alu instid0(VALU_DEP_1)
	v_rcp_iflag_f32_e32 v4, v4
	v_or_b32_e32 v1, s1, v0
	s_add_nc_u64 s[0:1], s[16:17], 0
	v_lshl_or_b32 v0, s15, 6, v0
	s_wait_alu 0xfffe
	s_xor_b64 s[6:7], s[0:1], 0
	s_lshl_b32 s0, ttmp9, 1
	v_ashrrev_i32_e32 v2, 31, v1
	s_wait_alu 0xfffe
	s_cvt_f32_u32 s1, s6
	s_cvt_f32_u32 s2, s7
	s_add_co_i32 s0, s0, s15
	s_sub_nc_u64 s[30:31], 0, s[6:7]
	v_lshlrev_b64_e32 v[1:2], 2, v[1:2]
	s_wait_alu 0xfffe
	s_fmamk_f32 s2, s2, 0x4f800000, s1
	s_ashr_i32 s1, s0, 31
	s_wait_alu 0xfffe
	s_lshl_b64 s[0:1], s[0:1], 3
	v_s_rcp_f32 s2, s2
	s_wait_kmcnt 0x0
	v_add_co_u32 v1, vcc_lo, s8, v1
	s_delay_alu instid0(VALU_DEP_1)
	v_add_co_ci_u32_e64 v2, null, s9, v2, vcc_lo
	s_wait_alu 0xfffe
	s_add_nc_u64 s[0:1], s[10:11], s[0:1]
	s_mov_b32 s8, 0
	s_load_b64 s[26:27], s[0:1], 0x0
	global_load_b32 v3, v[1:2], off
	s_mul_f32 s2, s2, 0x5f7ffffc
	v_mul_f32_e32 v4, 0x4f7ffffe, v4
	s_lshl_b32 s0, s16, 3
	s_wait_alu 0xfffe
	s_mul_f32 s1, s2, 0x2f800000
	s_wait_alu 0xfffe
	s_delay_alu instid0(SALU_CYCLE_2)
	s_trunc_f32 s3, s1
	s_mov_b32 s1, s8
	s_wait_alu 0xfffe
	s_lshl_b64 s[0:1], s[0:1], 2
	s_fmamk_f32 s2, s3, 0xcf800000, s2
	s_cvt_u32_f32 s29, s3
	s_wait_alu 0xfffe
	s_add_nc_u64 s[24:25], s[10:11], s[0:1]
	s_cvt_u32_f32 s28, s2
	s_wait_kmcnt 0x0
	v_mov_b32_e32 v5, s27
	v_cvt_u32_f32_e32 v4, v4
.LBB70_9:                               ; =>This Inner Loop Header: Depth=1
	s_wait_alu 0xfffe
	s_ashr_i32 s35, s34, 31
	s_mov_b32 s2, -1
	s_wait_alu 0xfffe
	s_mul_u64 s[0:1], s[34:35], s[18:19]
                                        ; implicit-def: $sgpr38_sgpr39
	s_wait_alu 0xfffe
	s_mov_b32 s9, s1
	s_wait_alu 0xfffe
	s_cmp_lg_u64 s[8:9], 0
	s_cbranch_scc0 .LBB70_11
; %bb.10:                               ;   in Loop: Header=BB70_9 Depth=1
	s_mul_u64 s[2:3], s[30:31], s[28:29]
	s_mov_b32 s37, s8
	s_wait_alu 0xfffe
	s_mul_hi_u32 s5, s28, s3
	s_mul_i32 s4, s28, s3
	s_mul_hi_u32 s36, s28, s2
	s_mul_hi_u32 s9, s29, s2
	s_wait_alu 0xfffe
	s_add_nc_u64 s[4:5], s[36:37], s[4:5]
	s_mul_i32 s2, s29, s2
	s_mul_hi_u32 s17, s29, s3
	s_wait_alu 0xfffe
	s_add_co_u32 s2, s4, s2
	s_add_co_ci_u32 s2, s5, s9
	s_add_co_ci_u32 s5, s17, 0
	s_mul_i32 s4, s29, s3
	s_mov_b32 s3, s8
	s_mov_b32 s39, s8
	s_wait_alu 0xfffe
	s_add_nc_u64 s[2:3], s[2:3], s[4:5]
	s_wait_alu 0xfffe
	s_add_co_u32 s2, s28, s2
	s_cselect_b32 s4, -1, 0
	s_wait_alu 0xfffe
	s_cmp_lg_u32 s4, 0
	s_add_co_ci_u32 s3, s29, s3
	s_wait_alu 0xfffe
	s_mul_u64 s[4:5], s[30:31], s[2:3]
	s_wait_alu 0xfffe
	s_mul_hi_u32 s37, s2, s5
	s_mul_i32 s36, s2, s5
	s_mul_hi_u32 s38, s2, s4
	s_mul_hi_u32 s9, s3, s4
	s_mul_i32 s4, s3, s4
	s_wait_alu 0xfffe
	s_add_nc_u64 s[36:37], s[38:39], s[36:37]
	s_mul_hi_u32 s17, s3, s5
	s_wait_alu 0xfffe
	s_add_co_u32 s4, s36, s4
	s_add_co_ci_u32 s4, s37, s9
	s_add_co_ci_u32 s37, s17, 0
	s_mul_i32 s36, s3, s5
	s_mov_b32 s5, s8
	s_wait_alu 0xfffe
	s_add_nc_u64 s[4:5], s[4:5], s[36:37]
	s_mov_b32 s37, s8
	s_wait_alu 0xfffe
	s_add_co_u32 s9, s2, s4
	s_cselect_b32 s2, -1, 0
	s_wait_alu 0xfffe
	s_cmp_lg_u32 s2, 0
	s_add_co_ci_u32 s17, s3, s5
	s_ashr_i32 s2, s1, 31
	s_wait_alu 0xfffe
	s_mov_b32 s3, s2
	s_wait_alu 0xfffe
	s_add_nc_u64 s[4:5], s[0:1], s[2:3]
	s_wait_alu 0xfffe
	s_xor_b64 s[4:5], s[4:5], s[2:3]
	s_wait_alu 0xfffe
	s_mul_hi_u32 s39, s4, s17
	s_mul_i32 s38, s4, s17
	s_mul_hi_u32 s36, s4, s9
	s_mul_i32 s21, s5, s9
	s_wait_alu 0xfffe
	s_add_nc_u64 s[36:37], s[36:37], s[38:39]
	s_mul_hi_u32 s9, s5, s9
	s_mul_hi_u32 s1, s5, s17
	s_wait_alu 0xfffe
	s_add_co_u32 s21, s36, s21
	s_add_co_ci_u32 s36, s37, s9
	s_add_co_ci_u32 s39, s1, 0
	s_mul_i32 s38, s5, s17
	s_mov_b32 s37, s8
	s_wait_alu 0xfffe
	s_add_nc_u64 s[36:37], s[36:37], s[38:39]
	s_wait_alu 0xfffe
	s_mul_u64 s[38:39], s[6:7], s[36:37]
	s_add_nc_u64 s[40:41], s[36:37], 1
	s_sub_co_u32 s1, s4, s38
	s_cselect_b32 s4, -1, 0
	s_sub_co_i32 s9, s5, s39
	s_wait_alu 0xfffe
	s_cmp_lg_u32 s4, 0
	s_add_nc_u64 s[42:43], s[36:37], 2
	s_sub_co_ci_u32 s9, s9, s7
	s_sub_co_u32 s17, s1, s6
	s_cselect_b32 s21, -1, 0
	s_delay_alu instid0(SALU_CYCLE_1)
	s_cmp_lg_u32 s21, 0
	s_wait_alu 0xfffe
	s_sub_co_ci_u32 s9, s9, 0
	s_wait_alu 0xfffe
	s_cmp_ge_u32 s9, s7
	s_cselect_b32 s21, -1, 0
	s_cmp_ge_u32 s17, s6
	s_cselect_b32 s17, -1, 0
	s_cmp_eq_u32 s9, s7
	s_wait_alu 0xfffe
	s_cselect_b32 s9, s17, s21
	s_wait_alu 0xfffe
	s_cmp_lg_u32 s9, 0
	s_cselect_b32 s9, s42, s40
	s_cselect_b32 s17, s43, s41
	s_cmp_lg_u32 s4, 0
	s_sub_co_ci_u32 s4, s5, s39
	s_wait_alu 0xfffe
	s_cmp_ge_u32 s4, s7
	s_cselect_b32 s5, -1, 0
	s_cmp_ge_u32 s1, s6
	s_cselect_b32 s1, -1, 0
	s_cmp_eq_u32 s4, s7
	s_wait_alu 0xfffe
	s_cselect_b32 s1, s1, s5
	s_wait_alu 0xfffe
	s_cmp_lg_u32 s1, 0
	s_cselect_b32 s5, s17, s37
	s_cselect_b32 s4, s9, s36
	s_xor_b64 s[2:3], s[2:3], 0
	s_wait_alu 0xfffe
	s_xor_b64 s[4:5], s[4:5], s[2:3]
	s_wait_alu 0xfffe
	s_sub_nc_u64 s[38:39], s[4:5], s[2:3]
	s_mov_b32 s2, 0
.LBB70_11:                              ;   in Loop: Header=BB70_9 Depth=1
	s_wait_alu 0xfffe
	s_and_not1_b32 vcc_lo, exec_lo, s2
	s_wait_alu 0xfffe
	s_cbranch_vccnz .LBB70_13
; %bb.12:                               ;   in Loop: Header=BB70_9 Depth=1
	v_readfirstlane_b32 s1, v4
	s_sub_co_i32 s2, 0, s16
	s_wait_alu 0xfffe
	s_mul_i32 s2, s2, s1
	s_wait_alu 0xfffe
	s_mul_hi_u32 s2, s1, s2
	s_wait_alu 0xfffe
	s_add_co_i32 s1, s1, s2
	s_wait_alu 0xfffe
	s_mul_hi_u32 s1, s0, s1
	s_wait_alu 0xfffe
	s_mul_i32 s2, s1, s16
	s_wait_alu 0xfffe
	s_sub_co_i32 s0, s0, s2
	s_add_co_i32 s2, s1, 1
	s_wait_alu 0xfffe
	s_sub_co_i32 s3, s0, s16
	s_cmp_ge_u32 s0, s16
	s_cselect_b32 s1, s2, s1
	s_wait_alu 0xfffe
	s_cselect_b32 s0, s3, s0
	s_add_co_i32 s2, s1, 1
	s_wait_alu 0xfffe
	s_cmp_ge_u32 s0, s16
	s_cselect_b32 s38, s2, s1
.LBB70_13:                              ;   in Loop: Header=BB70_9 Depth=1
	v_readfirstlane_b32 s9, v0
	s_cmp_lg_u32 s20, s38
	s_mov_b32 s0, -1
                                        ; implicit-def: $sgpr21
                                        ; implicit-def: $vgpr6
                                        ; implicit-def: $vgpr7
                                        ; implicit-def: $sgpr17
                                        ; implicit-def: $sgpr27
	s_cbranch_scc1 .LBB70_16
; %bb.14:                               ;   in Loop: Header=BB70_9 Depth=1
	s_wait_alu 0xfffe
	s_and_not1_b32 vcc_lo, exec_lo, s0
	s_wait_alu 0xfffe
	s_cbranch_vccz .LBB70_19
.LBB70_15:                              ;   in Loop: Header=BB70_9 Depth=1
	s_and_not1_b32 vcc_lo, exec_lo, s21
	s_wait_alu 0xfffe
	s_cbranch_vccnz .LBB70_20
	s_branch .LBB70_23
.LBB70_16:                              ;   in Loop: Header=BB70_9 Depth=1
	s_add_co_i32 s0, s34, s16
	s_mov_b32 s1, s8
	s_wait_alu 0xfffe
	s_lshl_b32 s0, s0, 1
	v_max_num_f32_e64 v6, s26, s26
	s_wait_alu 0xfffe
	s_add_co_i32 s0, s0, s15
	s_mov_b32 s39, s8
	s_wait_alu 0xfffe
	s_lshl_b64 s[0:1], s[0:1], 3
	s_mul_u64 s[40:41], s[38:39], s[22:23]
	s_wait_alu 0xfffe
	s_add_nc_u64 s[0:1], s[10:11], s[0:1]
	s_mov_b32 s27, s20
	s_load_b64 s[36:37], s[0:1], 0x0
	v_readfirstlane_b32 s0, v6
	s_wait_kmcnt 0x0
	v_max_num_f32_e64 v7, s36, s36
	s_delay_alu instid0(VALU_DEP_1) | instskip(SKIP_2) | instid1(SALU_CYCLE_2)
	v_readfirstlane_b32 s1, v7
	s_max_num_f32 s9, s0, s1
	s_wait_alu 0xfffe
	s_sub_f32 s33, s26, s9
	s_sub_f32 s35, s36, s9
	s_wait_alu 0xfffe
	s_delay_alu instid0(SALU_CYCLE_1)
	s_cmp_nlt_f32 s33, 0xc2ce8ed0
	s_cselect_b32 s0, -1, 0
	s_cmp_ngt_f32 s33, 0x42b17218
	s_cselect_b32 s1, -1, 0
	s_cmp_ge_f32 s33, 0xc1a00000
	s_cselect_b32 s2, -1, 0
	s_cmp_nlt_f32 s35, 0xc2ce8ed0
	s_cselect_b32 s3, -1, 0
	s_cmp_ngt_f32 s35, 0x42b17218
	s_cselect_b32 s4, -1, 0
	s_cmp_ge_f32 s35, 0xc1a00000
	s_cselect_b32 s5, -1, 0
	s_add_co_i32 s17, s41, s38
	s_wait_alu 0xfffe
	s_lshr_b32 s17, s17, s13
	s_wait_alu 0xfffe
	s_mul_i32 s21, s17, s14
	s_delay_alu instid0(SALU_CYCLE_1)
	s_cmp_eq_u32 s21, s38
	s_cselect_b32 s21, -1, 0
	s_cmp_lt_u32 s17, s12
	s_cselect_b32 s17, -1, 0
	s_wait_alu 0xfffe
	s_or_b32 s17, s17, s21
	s_mov_b32 s21, -1
	s_wait_alu 0xfffe
	s_and_b32 vcc_lo, exec_lo, s17
	s_mov_b32 s17, s34
	s_wait_alu 0xfffe
	s_cbranch_vccnz .LBB70_18
; %bb.17:                               ;   in Loop: Header=BB70_9 Depth=1
	s_add_co_i32 s17, s34, -1
	s_mov_b32 s21, 0
	s_mov_b32 s27, s38
.LBB70_18:                              ;   in Loop: Header=BB70_9 Depth=1
	v_lshl_add_u32 v6, s34, 7, v0
	s_mul_f32 s36, s35, 0x3fb8aa3b
	s_mul_f32 s38, s33, 0x3fb8aa3b
	s_wait_alu 0xfffe
	s_delay_alu instid0(SALU_CYCLE_1)
	s_xor_b32 s39, s36, 0x80000000
	v_ashrrev_i32_e32 v7, 31, v6
	s_rndne_f32 s40, s36
	s_fmamk_f32 s39, s35, 0x3fb8aa3b, s39
	s_xor_b32 s41, s38, 0x80000000
	s_rndne_f32 s42, s38
	v_lshlrev_b64_e32 v[6:7], 2, v[6:7]
	s_sub_f32 s36, s36, s40
	s_fmamk_f32 s35, s35, 0x32a5705f, s39
	s_fmamk_f32 s39, s33, 0x3fb8aa3b, s41
	s_sub_f32 s38, s38, s42
	s_delay_alu instid0(VALU_DEP_1)
	v_add_co_u32 v6, vcc_lo, s24, v6
	s_wait_alu 0xfffd
	v_add_co_ci_u32_e64 v7, null, s25, v7, vcc_lo
	s_wait_alu 0xfffe
	s_add_f32 s35, s36, s35
	s_fmamk_f32 s33, s33, 0x32a5705f, s39
	s_cvt_i32_f32 s36, s40
	global_load_b32 v6, v[6:7], off
	s_wait_alu 0xfffe
	v_s_exp_f32 s35, s35
	s_add_f32 s33, s38, s33
	s_wait_alu 0xfffe
	s_delay_alu instid0(SALU_CYCLE_2) | instskip(NEXT) | instid1(TRANS32_DEP_2)
	v_s_exp_f32 s33, s33
	v_ldexp_f32 v7, s35, s36
	s_cvt_i32_f32 s35, s42
	s_wait_alu 0xf1fe
	s_delay_alu instid0(TRANS32_DEP_1) | instid1(SALU_CYCLE_2)
	v_ldexp_f32 v8, s33, s35
	s_delay_alu instid0(VALU_DEP_2) | instskip(NEXT) | instid1(VALU_DEP_2)
	v_cndmask_b32_e64 v7, 0, v7, s3
	v_cndmask_b32_e64 v8, 0, v8, s0
	s_delay_alu instid0(VALU_DEP_2) | instskip(NEXT) | instid1(VALU_DEP_2)
	v_cndmask_b32_e64 v7, 0x7f800000, v7, s4
	v_cndmask_b32_e64 v8, 0x7f800000, v8, s1
	;; [unrolled: 3-line block ×3, first 2 shown]
	s_wait_loadcnt 0x0
	s_delay_alu instid0(VALU_DEP_2) | instskip(SKIP_1) | instid1(VALU_DEP_1)
	v_mul_f32_e32 v6, v6, v7
	v_mul_f32_e32 v7, s37, v7
	v_fmac_f32_e32 v7, v5, v8
	s_delay_alu instid0(VALU_DEP_3)
	v_fmac_f32_e32 v6, v3, v8
	s_cbranch_execnz .LBB70_15
.LBB70_19:                              ;   in Loop: Header=BB70_9 Depth=1
	s_wait_loadcnt 0x0
	v_dual_mov_b32 v7, v5 :: v_dual_mov_b32 v6, v3
	s_add_co_i32 s17, s34, -1
	s_mov_b32 s27, s20
	s_mov_b32 s9, s26
	s_cbranch_execz .LBB70_23
.LBB70_20:                              ;   in Loop: Header=BB70_9 Depth=1
	v_mov_b32_e32 v5, v7
	s_wait_loadcnt 0x0
	v_mov_b32_e32 v3, v6
	s_wait_alu 0xfffe
	s_mov_b32 s20, s27
	s_mov_b32 s34, s17
	;; [unrolled: 1-line block ×3, first 2 shown]
	s_branch .LBB70_9
.LBB70_21:
                                        ; implicit-def: $sgpr20_sgpr21
	s_branch .LBB70_2
.LBB70_22:
                                        ; implicit-def: $sgpr10_sgpr11
	s_load_b96 s[12:14], s[0:1], 0x44
	s_branch .LBB70_5
.LBB70_23:
	v_div_scale_f32 v0, null, v7, v7, v6
	s_wait_loadcnt 0x0
	s_delay_alu instid0(VALU_DEP_1) | instskip(NEXT) | instid1(TRANS32_DEP_1)
	v_rcp_f32_e32 v3, v0
	v_fma_f32 v4, -v0, v3, 1.0
	s_delay_alu instid0(VALU_DEP_1) | instskip(SKIP_1) | instid1(VALU_DEP_1)
	v_fmac_f32_e32 v3, v4, v3
	v_div_scale_f32 v4, vcc_lo, v6, v7, v6
	v_mul_f32_e32 v5, v4, v3
	s_delay_alu instid0(VALU_DEP_1) | instskip(NEXT) | instid1(VALU_DEP_1)
	v_fma_f32 v8, -v0, v5, v4
	v_fmac_f32_e32 v5, v8, v3
	s_delay_alu instid0(VALU_DEP_1) | instskip(SKIP_1) | instid1(VALU_DEP_1)
	v_fma_f32 v0, -v0, v5, v4
	s_wait_alu 0xfffd
	v_div_fmas_f32 v0, v0, v3, v5
	s_delay_alu instid0(VALU_DEP_1)
	v_div_fixup_f32 v0, v0, v7, v6
	global_store_b32 v[1:2], v0, off
.LBB70_24:
	s_endpgm
	.section	.rodata,"a",@progbits
	.p2align	6, 0x0
	.amdhsa_kernel _ZL33flash_attn_stream_k_fixup_generalILi64ELi2ELi1EEvPfPK15HIP_vector_typeIfLj2EEiiiiS1_IjLj3EES5_S5_S5_
		.amdhsa_group_segment_fixed_size 0
		.amdhsa_private_segment_fixed_size 0
		.amdhsa_kernarg_size 336
		.amdhsa_user_sgpr_count 2
		.amdhsa_user_sgpr_dispatch_ptr 0
		.amdhsa_user_sgpr_queue_ptr 0
		.amdhsa_user_sgpr_kernarg_segment_ptr 1
		.amdhsa_user_sgpr_dispatch_id 0
		.amdhsa_user_sgpr_private_segment_size 0
		.amdhsa_wavefront_size32 1
		.amdhsa_uses_dynamic_stack 0
		.amdhsa_enable_private_segment 0
		.amdhsa_system_sgpr_workgroup_id_x 1
		.amdhsa_system_sgpr_workgroup_id_y 1
		.amdhsa_system_sgpr_workgroup_id_z 1
		.amdhsa_system_sgpr_workgroup_info 0
		.amdhsa_system_vgpr_workitem_id 0
		.amdhsa_next_free_vgpr 9
		.amdhsa_next_free_sgpr 44
		.amdhsa_reserve_vcc 1
		.amdhsa_float_round_mode_32 0
		.amdhsa_float_round_mode_16_64 0
		.amdhsa_float_denorm_mode_32 3
		.amdhsa_float_denorm_mode_16_64 3
		.amdhsa_fp16_overflow 0
		.amdhsa_workgroup_processor_mode 1
		.amdhsa_memory_ordered 1
		.amdhsa_forward_progress 1
		.amdhsa_inst_pref_size 28
		.amdhsa_round_robin_scheduling 0
		.amdhsa_exception_fp_ieee_invalid_op 0
		.amdhsa_exception_fp_denorm_src 0
		.amdhsa_exception_fp_ieee_div_zero 0
		.amdhsa_exception_fp_ieee_overflow 0
		.amdhsa_exception_fp_ieee_underflow 0
		.amdhsa_exception_fp_ieee_inexact 0
		.amdhsa_exception_int_div_zero 0
	.end_amdhsa_kernel
	.section	.text._ZL33flash_attn_stream_k_fixup_generalILi64ELi2ELi1EEvPfPK15HIP_vector_typeIfLj2EEiiiiS1_IjLj3EES5_S5_S5_,"axG",@progbits,_ZL33flash_attn_stream_k_fixup_generalILi64ELi2ELi1EEvPfPK15HIP_vector_typeIfLj2EEiiiiS1_IjLj3EES5_S5_S5_,comdat
.Lfunc_end70:
	.size	_ZL33flash_attn_stream_k_fixup_generalILi64ELi2ELi1EEvPfPK15HIP_vector_typeIfLj2EEiiiiS1_IjLj3EES5_S5_S5_, .Lfunc_end70-_ZL33flash_attn_stream_k_fixup_generalILi64ELi2ELi1EEvPfPK15HIP_vector_typeIfLj2EEiiiiS1_IjLj3EES5_S5_S5_
                                        ; -- End function
	.set _ZL33flash_attn_stream_k_fixup_generalILi64ELi2ELi1EEvPfPK15HIP_vector_typeIfLj2EEiiiiS1_IjLj3EES5_S5_S5_.num_vgpr, 9
	.set _ZL33flash_attn_stream_k_fixup_generalILi64ELi2ELi1EEvPfPK15HIP_vector_typeIfLj2EEiiiiS1_IjLj3EES5_S5_S5_.num_agpr, 0
	.set _ZL33flash_attn_stream_k_fixup_generalILi64ELi2ELi1EEvPfPK15HIP_vector_typeIfLj2EEiiiiS1_IjLj3EES5_S5_S5_.numbered_sgpr, 44
	.set _ZL33flash_attn_stream_k_fixup_generalILi64ELi2ELi1EEvPfPK15HIP_vector_typeIfLj2EEiiiiS1_IjLj3EES5_S5_S5_.num_named_barrier, 0
	.set _ZL33flash_attn_stream_k_fixup_generalILi64ELi2ELi1EEvPfPK15HIP_vector_typeIfLj2EEiiiiS1_IjLj3EES5_S5_S5_.private_seg_size, 0
	.set _ZL33flash_attn_stream_k_fixup_generalILi64ELi2ELi1EEvPfPK15HIP_vector_typeIfLj2EEiiiiS1_IjLj3EES5_S5_S5_.uses_vcc, 1
	.set _ZL33flash_attn_stream_k_fixup_generalILi64ELi2ELi1EEvPfPK15HIP_vector_typeIfLj2EEiiiiS1_IjLj3EES5_S5_S5_.uses_flat_scratch, 0
	.set _ZL33flash_attn_stream_k_fixup_generalILi64ELi2ELi1EEvPfPK15HIP_vector_typeIfLj2EEiiiiS1_IjLj3EES5_S5_S5_.has_dyn_sized_stack, 0
	.set _ZL33flash_attn_stream_k_fixup_generalILi64ELi2ELi1EEvPfPK15HIP_vector_typeIfLj2EEiiiiS1_IjLj3EES5_S5_S5_.has_recursion, 0
	.set _ZL33flash_attn_stream_k_fixup_generalILi64ELi2ELi1EEvPfPK15HIP_vector_typeIfLj2EEiiiiS1_IjLj3EES5_S5_S5_.has_indirect_call, 0
	.section	.AMDGPU.csdata,"",@progbits
; Kernel info:
; codeLenInByte = 3556
; TotalNumSgprs: 46
; NumVgprs: 9
; ScratchSize: 0
; MemoryBound: 0
; FloatMode: 240
; IeeeMode: 1
; LDSByteSize: 0 bytes/workgroup (compile time only)
; SGPRBlocks: 0
; VGPRBlocks: 1
; NumSGPRsForWavesPerEU: 46
; NumVGPRsForWavesPerEU: 9
; Occupancy: 16
; WaveLimiterHint : 0
; COMPUTE_PGM_RSRC2:SCRATCH_EN: 0
; COMPUTE_PGM_RSRC2:USER_SGPR: 2
; COMPUTE_PGM_RSRC2:TRAP_HANDLER: 0
; COMPUTE_PGM_RSRC2:TGID_X_EN: 1
; COMPUTE_PGM_RSRC2:TGID_Y_EN: 1
; COMPUTE_PGM_RSRC2:TGID_Z_EN: 1
; COMPUTE_PGM_RSRC2:TIDIG_COMP_CNT: 0
	.text
	.p2align	2                               ; -- Begin function __ockl_printf_append_string_n
	.type	__ockl_printf_append_string_n,@function
__ockl_printf_append_string_n:          ; @__ockl_printf_append_string_n
; %bb.0:
	s_wait_loadcnt_dscnt 0x0
	s_wait_expcnt 0x0
	s_wait_samplecnt 0x0
	s_wait_bvhcnt 0x0
	s_wait_kmcnt 0x0
	v_mov_b32_e32 v3, v0
	v_mbcnt_lo_u32_b32 v38, -1, 0
	s_getpc_b64 s[0:1]
	s_wait_alu 0xfffe
	s_sext_i32_i16 s1, s1
	s_add_co_u32 s0, s0, __FUNCTION__._ZL15flash_attn_tileILi64ELi64ELi8ELi8ELb1EEvPKcS1_S1_S1_S1_PKiPfP15HIP_vector_typeIfLj2EEffffjfiS5_IjLj3EEiiiiiiiiiiiliiliiiiil@rel32@lo+12
	s_wait_alu 0xfffe
	s_add_co_ci_u32 s1, s1, __FUNCTION__._ZL15flash_attn_tileILi64ELi64ELi8ELi8ELb1EEvPKcS1_S1_S1_S1_PKiPfP15HIP_vector_typeIfLj2EEffffjfiS5_IjLj3EEiiiiiiiiiiiliiliiiiil@rel32@hi+24
	s_wait_alu 0xfffe
	s_cmp_lg_u64 s[0:1], 0
	s_cbranch_scc0 .LBB71_87
; %bb.1:
	s_load_b64 s[2:3], s[8:9], 0x50
	s_getpc_b64 s[0:1]
	s_wait_alu 0xfffe
	s_sext_i32_i16 s1, s1
	s_add_co_u32 s0, s0, __FUNCTION__._ZL15flash_attn_tileILi64ELi64ELi8ELi8ELb1EEvPKcS1_S1_S1_S1_PKiPfP15HIP_vector_typeIfLj2EEffffjfiS5_IjLj3EEiiiiiiiiiiiliiliiiiil@rel32@lo+12
	s_wait_alu 0xfffe
	s_add_co_ci_u32 s1, s1, __FUNCTION__._ZL15flash_attn_tileILi64ELi64ELi8ELi8ELb1EEvPKcS1_S1_S1_S1_PKiPfP15HIP_vector_typeIfLj2EEffffjfiS5_IjLj3EEiiiiiiiiiiiliiliiiiil@rel32@hi+24
	s_wait_alu 0xfffe
	v_dual_mov_b32 v31, s1 :: v_dual_and_b32 v0, -3, v3
	v_dual_mov_b32 v12, 2 :: v_dual_mov_b32 v7, v1
	v_dual_mov_b32 v11, 0 :: v_dual_and_b32 v2, 2, v3
	v_dual_mov_b32 v30, s0 :: v_dual_mov_b32 v13, 1
	s_delay_alu instid0(VALU_DEP_4)
	v_mov_b32_e32 v6, v0
	s_mov_b32 s7, 0
	s_mov_b32 s6, 0
	s_branch .LBB71_3
.LBB71_2:                               ;   in Loop: Header=BB71_3 Depth=1
	s_wait_alu 0xfffe
	s_or_b32 exec_lo, exec_lo, s10
	v_sub_co_u32 v4, vcc_lo, v4, v32
	s_wait_alu 0xfffd
	v_sub_co_ci_u32_e64 v5, null, v5, v33, vcc_lo
	v_add_co_u32 v30, s0, v30, v32
	s_wait_alu 0xf1ff
	v_add_co_ci_u32_e64 v31, null, v31, v33, s0
	s_delay_alu instid0(VALU_DEP_3)
	v_cmp_eq_u64_e32 vcc_lo, 0, v[4:5]
	s_or_b32 s6, vcc_lo, s6
	s_wait_alu 0xfffe
	s_and_not1_b32 exec_lo, exec_lo, s6
	s_cbranch_execz .LBB71_85
.LBB71_3:                               ; =>This Loop Header: Depth=1
                                        ;     Child Loop BB71_6 Depth 2
                                        ;     Child Loop BB71_14 Depth 2
	;; [unrolled: 1-line block ×11, first 2 shown]
	v_cmp_gt_u64_e32 vcc_lo, 56, v[4:5]
	s_mov_b32 s1, exec_lo
	s_wait_alu 0xfffd
	v_dual_cndmask_b32 v33, 0, v5 :: v_dual_cndmask_b32 v32, 56, v4
	v_add_co_u32 v16, vcc_lo, v30, 8
	s_wait_alu 0xfffd
	v_add_co_ci_u32_e64 v17, null, 0, v31, vcc_lo
	v_cmpx_gt_u64_e32 8, v[4:5]
	s_wait_alu 0xfffe
	s_xor_b32 s1, exec_lo, s1
	s_cbranch_execz .LBB71_9
; %bb.4:                                ;   in Loop: Header=BB71_3 Depth=1
	v_mov_b32_e32 v8, 0
	v_mov_b32_e32 v9, 0
	s_mov_b32 s10, exec_lo
	v_cmpx_ne_u64_e32 0, v[4:5]
	s_cbranch_execz .LBB71_8
; %bb.5:                                ;   in Loop: Header=BB71_3 Depth=1
	v_lshlrev_b64_e32 v[14:15], 3, v[32:33]
	v_dual_mov_b32 v8, 0 :: v_dual_mov_b32 v15, v30
	v_dual_mov_b32 v9, 0 :: v_dual_mov_b32 v16, v31
	s_mov_b64 s[4:5], 0
	s_mov_b32 s11, 0
.LBB71_6:                               ;   Parent Loop BB71_3 Depth=1
                                        ; =>  This Inner Loop Header: Depth=2
	global_load_u8 v0, v[15:16], off
	v_mov_b32_e32 v18, s7
	v_add_co_u32 v15, vcc_lo, v15, 1
	s_wait_alu 0xfffd
	v_add_co_ci_u32_e64 v16, null, 0, v16, vcc_lo
	s_wait_loadcnt 0x0
	v_and_b32_e32 v17, 0xffff, v0
	s_wait_alu 0xfffe
	s_delay_alu instid0(VALU_DEP_1) | instskip(SKIP_3) | instid1(VALU_DEP_2)
	v_lshlrev_b64_e32 v[17:18], s4, v[17:18]
	s_add_nc_u64 s[4:5], s[4:5], 8
	s_wait_alu 0xfffe
	v_cmp_eq_u32_e64 s0, s4, v14
	v_or_b32_e32 v9, v18, v9
	s_delay_alu instid0(VALU_DEP_3)
	v_or_b32_e32 v8, v17, v8
	s_or_b32 s11, s0, s11
	s_wait_alu 0xfffe
	s_and_not1_b32 exec_lo, exec_lo, s11
	s_cbranch_execnz .LBB71_6
; %bb.7:                                ;   in Loop: Header=BB71_3 Depth=1
	s_or_b32 exec_lo, exec_lo, s11
.LBB71_8:                               ;   in Loop: Header=BB71_3 Depth=1
	s_wait_alu 0xfffe
	s_or_b32 exec_lo, exec_lo, s10
	v_dual_mov_b32 v16, v30 :: v_dual_mov_b32 v17, v31
.LBB71_9:                               ;   in Loop: Header=BB71_3 Depth=1
	s_wait_alu 0xfffe
	s_or_saveexec_b32 s0, s1
	v_mov_b32_e32 v0, 0
	s_wait_alu 0xfffe
	s_xor_b32 exec_lo, exec_lo, s0
	s_cbranch_execz .LBB71_11
; %bb.10:                               ;   in Loop: Header=BB71_3 Depth=1
	global_load_b64 v[8:9], v[30:31], off
	v_add_nc_u32_e32 v0, -8, v32
.LBB71_11:                              ;   in Loop: Header=BB71_3 Depth=1
	s_or_b32 exec_lo, exec_lo, s0
	v_add_co_u32 v18, s0, v16, 8
	s_wait_alu 0xf1ff
	v_add_co_ci_u32_e64 v19, null, 0, v17, s0
                                        ; implicit-def: $vgpr14_vgpr15
	s_mov_b32 s0, exec_lo
	v_cmpx_gt_u32_e32 8, v0
	s_wait_alu 0xfffe
	s_xor_b32 s10, exec_lo, s0
	s_cbranch_execz .LBB71_17
; %bb.12:                               ;   in Loop: Header=BB71_3 Depth=1
	v_mov_b32_e32 v14, 0
	v_mov_b32_e32 v15, 0
	s_mov_b32 s11, exec_lo
	v_cmpx_ne_u32_e32 0, v0
	s_cbranch_execz .LBB71_16
; %bb.13:                               ;   in Loop: Header=BB71_3 Depth=1
	v_mov_b32_e32 v14, 0
	v_mov_b32_e32 v15, 0
	s_mov_b64 s[0:1], 0
	s_mov_b32 s12, 0
	s_mov_b64 s[4:5], 0
.LBB71_14:                              ;   Parent Loop BB71_3 Depth=1
                                        ; =>  This Inner Loop Header: Depth=2
	s_wait_alu 0xfffe
	v_add_co_u32 v18, vcc_lo, v16, s4
	s_wait_alu 0xfffd
	v_add_co_ci_u32_e64 v19, null, s5, v17, vcc_lo
	s_add_nc_u64 s[4:5], s[4:5], 1
	s_wait_alu 0xfffe
	v_cmp_eq_u32_e32 vcc_lo, s4, v0
	global_load_u8 v10, v[18:19], off
	v_mov_b32_e32 v19, s7
	s_or_b32 s12, vcc_lo, s12
	s_wait_loadcnt 0x0
	v_and_b32_e32 v18, 0xffff, v10
	s_delay_alu instid0(VALU_DEP_1) | instskip(SKIP_1) | instid1(VALU_DEP_1)
	v_lshlrev_b64_e32 v[18:19], s0, v[18:19]
	s_add_nc_u64 s[0:1], s[0:1], 8
	v_or_b32_e32 v15, v19, v15
	s_delay_alu instid0(VALU_DEP_2)
	v_or_b32_e32 v14, v18, v14
	s_wait_alu 0xfffe
	s_and_not1_b32 exec_lo, exec_lo, s12
	s_cbranch_execnz .LBB71_14
; %bb.15:                               ;   in Loop: Header=BB71_3 Depth=1
	s_or_b32 exec_lo, exec_lo, s12
.LBB71_16:                              ;   in Loop: Header=BB71_3 Depth=1
	s_wait_alu 0xfffe
	s_or_b32 exec_lo, exec_lo, s11
	v_dual_mov_b32 v19, v17 :: v_dual_mov_b32 v18, v16
                                        ; implicit-def: $vgpr0
.LBB71_17:                              ;   in Loop: Header=BB71_3 Depth=1
	s_wait_alu 0xfffe
	s_or_saveexec_b32 s0, s10
	v_mov_b32_e32 v10, 0
	s_wait_alu 0xfffe
	s_xor_b32 exec_lo, exec_lo, s0
	s_cbranch_execz .LBB71_19
; %bb.18:                               ;   in Loop: Header=BB71_3 Depth=1
	global_load_b64 v[14:15], v[16:17], off
	v_add_nc_u32_e32 v10, -8, v0
.LBB71_19:                              ;   in Loop: Header=BB71_3 Depth=1
	s_or_b32 exec_lo, exec_lo, s0
	v_add_co_u32 v20, s0, v18, 8
	s_wait_alu 0xf1ff
	v_add_co_ci_u32_e64 v21, null, 0, v19, s0
	s_mov_b32 s0, exec_lo
	v_cmpx_gt_u32_e32 8, v10
	s_wait_alu 0xfffe
	s_xor_b32 s10, exec_lo, s0
	s_cbranch_execz .LBB71_25
; %bb.20:                               ;   in Loop: Header=BB71_3 Depth=1
	v_mov_b32_e32 v16, 0
	v_mov_b32_e32 v17, 0
	s_mov_b32 s11, exec_lo
	v_cmpx_ne_u32_e32 0, v10
	s_cbranch_execz .LBB71_24
; %bb.21:                               ;   in Loop: Header=BB71_3 Depth=1
	v_mov_b32_e32 v16, 0
	v_mov_b32_e32 v17, 0
	s_mov_b64 s[0:1], 0
	s_mov_b32 s12, 0
	s_mov_b64 s[4:5], 0
.LBB71_22:                              ;   Parent Loop BB71_3 Depth=1
                                        ; =>  This Inner Loop Header: Depth=2
	s_wait_alu 0xfffe
	v_add_co_u32 v20, vcc_lo, v18, s4
	s_wait_alu 0xfffd
	v_add_co_ci_u32_e64 v21, null, s5, v19, vcc_lo
	s_add_nc_u64 s[4:5], s[4:5], 1
	s_wait_alu 0xfffe
	v_cmp_eq_u32_e32 vcc_lo, s4, v10
	global_load_u8 v0, v[20:21], off
	v_mov_b32_e32 v21, s7
	s_or_b32 s12, vcc_lo, s12
	s_wait_loadcnt 0x0
	v_and_b32_e32 v20, 0xffff, v0
	s_delay_alu instid0(VALU_DEP_1) | instskip(SKIP_1) | instid1(VALU_DEP_1)
	v_lshlrev_b64_e32 v[20:21], s0, v[20:21]
	s_add_nc_u64 s[0:1], s[0:1], 8
	v_or_b32_e32 v17, v21, v17
	s_delay_alu instid0(VALU_DEP_2)
	v_or_b32_e32 v16, v20, v16
	s_wait_alu 0xfffe
	s_and_not1_b32 exec_lo, exec_lo, s12
	s_cbranch_execnz .LBB71_22
; %bb.23:                               ;   in Loop: Header=BB71_3 Depth=1
	s_or_b32 exec_lo, exec_lo, s12
.LBB71_24:                              ;   in Loop: Header=BB71_3 Depth=1
	s_wait_alu 0xfffe
	s_or_b32 exec_lo, exec_lo, s11
	v_dual_mov_b32 v21, v19 :: v_dual_mov_b32 v20, v18
                                        ; implicit-def: $vgpr10
.LBB71_25:                              ;   in Loop: Header=BB71_3 Depth=1
	s_wait_alu 0xfffe
	s_or_saveexec_b32 s0, s10
	v_mov_b32_e32 v0, 0
	s_wait_alu 0xfffe
	s_xor_b32 exec_lo, exec_lo, s0
	s_cbranch_execz .LBB71_27
; %bb.26:                               ;   in Loop: Header=BB71_3 Depth=1
	global_load_b64 v[16:17], v[18:19], off
	v_add_nc_u32_e32 v0, -8, v10
.LBB71_27:                              ;   in Loop: Header=BB71_3 Depth=1
	s_or_b32 exec_lo, exec_lo, s0
	v_add_co_u32 v22, s0, v20, 8
	s_wait_alu 0xf1ff
	v_add_co_ci_u32_e64 v23, null, 0, v21, s0
                                        ; implicit-def: $vgpr18_vgpr19
	s_mov_b32 s0, exec_lo
	v_cmpx_gt_u32_e32 8, v0
	s_wait_alu 0xfffe
	s_xor_b32 s10, exec_lo, s0
	s_cbranch_execz .LBB71_33
; %bb.28:                               ;   in Loop: Header=BB71_3 Depth=1
	v_mov_b32_e32 v18, 0
	v_mov_b32_e32 v19, 0
	s_mov_b32 s11, exec_lo
	v_cmpx_ne_u32_e32 0, v0
	s_cbranch_execz .LBB71_32
; %bb.29:                               ;   in Loop: Header=BB71_3 Depth=1
	v_mov_b32_e32 v18, 0
	v_mov_b32_e32 v19, 0
	s_mov_b64 s[0:1], 0
	s_mov_b32 s12, 0
	s_mov_b64 s[4:5], 0
.LBB71_30:                              ;   Parent Loop BB71_3 Depth=1
                                        ; =>  This Inner Loop Header: Depth=2
	s_wait_alu 0xfffe
	v_add_co_u32 v22, vcc_lo, v20, s4
	s_wait_alu 0xfffd
	v_add_co_ci_u32_e64 v23, null, s5, v21, vcc_lo
	s_add_nc_u64 s[4:5], s[4:5], 1
	s_wait_alu 0xfffe
	v_cmp_eq_u32_e32 vcc_lo, s4, v0
	global_load_u8 v10, v[22:23], off
	v_mov_b32_e32 v23, s7
	s_or_b32 s12, vcc_lo, s12
	s_wait_loadcnt 0x0
	v_and_b32_e32 v22, 0xffff, v10
	s_delay_alu instid0(VALU_DEP_1) | instskip(SKIP_1) | instid1(VALU_DEP_1)
	v_lshlrev_b64_e32 v[22:23], s0, v[22:23]
	s_add_nc_u64 s[0:1], s[0:1], 8
	v_or_b32_e32 v19, v23, v19
	s_delay_alu instid0(VALU_DEP_2)
	v_or_b32_e32 v18, v22, v18
	s_wait_alu 0xfffe
	s_and_not1_b32 exec_lo, exec_lo, s12
	s_cbranch_execnz .LBB71_30
; %bb.31:                               ;   in Loop: Header=BB71_3 Depth=1
	s_or_b32 exec_lo, exec_lo, s12
.LBB71_32:                              ;   in Loop: Header=BB71_3 Depth=1
	s_wait_alu 0xfffe
	s_or_b32 exec_lo, exec_lo, s11
	v_dual_mov_b32 v23, v21 :: v_dual_mov_b32 v22, v20
                                        ; implicit-def: $vgpr0
.LBB71_33:                              ;   in Loop: Header=BB71_3 Depth=1
	s_wait_alu 0xfffe
	s_or_saveexec_b32 s0, s10
	v_mov_b32_e32 v10, 0
	s_wait_alu 0xfffe
	s_xor_b32 exec_lo, exec_lo, s0
	s_cbranch_execz .LBB71_35
; %bb.34:                               ;   in Loop: Header=BB71_3 Depth=1
	global_load_b64 v[18:19], v[20:21], off
	v_add_nc_u32_e32 v10, -8, v0
.LBB71_35:                              ;   in Loop: Header=BB71_3 Depth=1
	s_or_b32 exec_lo, exec_lo, s0
	v_add_co_u32 v24, s0, v22, 8
	s_wait_alu 0xf1ff
	v_add_co_ci_u32_e64 v25, null, 0, v23, s0
	s_mov_b32 s0, exec_lo
	v_cmpx_gt_u32_e32 8, v10
	s_wait_alu 0xfffe
	s_xor_b32 s10, exec_lo, s0
	s_cbranch_execz .LBB71_41
; %bb.36:                               ;   in Loop: Header=BB71_3 Depth=1
	v_mov_b32_e32 v20, 0
	v_mov_b32_e32 v21, 0
	s_mov_b32 s11, exec_lo
	v_cmpx_ne_u32_e32 0, v10
	s_cbranch_execz .LBB71_40
; %bb.37:                               ;   in Loop: Header=BB71_3 Depth=1
	v_mov_b32_e32 v20, 0
	v_mov_b32_e32 v21, 0
	s_mov_b64 s[0:1], 0
	s_mov_b32 s12, 0
	s_mov_b64 s[4:5], 0
.LBB71_38:                              ;   Parent Loop BB71_3 Depth=1
                                        ; =>  This Inner Loop Header: Depth=2
	s_wait_alu 0xfffe
	v_add_co_u32 v24, vcc_lo, v22, s4
	s_wait_alu 0xfffd
	v_add_co_ci_u32_e64 v25, null, s5, v23, vcc_lo
	s_add_nc_u64 s[4:5], s[4:5], 1
	s_wait_alu 0xfffe
	v_cmp_eq_u32_e32 vcc_lo, s4, v10
	global_load_u8 v0, v[24:25], off
	v_mov_b32_e32 v25, s7
	s_or_b32 s12, vcc_lo, s12
	s_wait_loadcnt 0x0
	v_and_b32_e32 v24, 0xffff, v0
	s_delay_alu instid0(VALU_DEP_1) | instskip(SKIP_1) | instid1(VALU_DEP_1)
	v_lshlrev_b64_e32 v[24:25], s0, v[24:25]
	s_add_nc_u64 s[0:1], s[0:1], 8
	v_or_b32_e32 v21, v25, v21
	s_delay_alu instid0(VALU_DEP_2)
	v_or_b32_e32 v20, v24, v20
	s_wait_alu 0xfffe
	s_and_not1_b32 exec_lo, exec_lo, s12
	s_cbranch_execnz .LBB71_38
; %bb.39:                               ;   in Loop: Header=BB71_3 Depth=1
	s_or_b32 exec_lo, exec_lo, s12
.LBB71_40:                              ;   in Loop: Header=BB71_3 Depth=1
	s_wait_alu 0xfffe
	s_or_b32 exec_lo, exec_lo, s11
	v_dual_mov_b32 v25, v23 :: v_dual_mov_b32 v24, v22
                                        ; implicit-def: $vgpr10
.LBB71_41:                              ;   in Loop: Header=BB71_3 Depth=1
	s_wait_alu 0xfffe
	s_or_saveexec_b32 s0, s10
	v_mov_b32_e32 v0, 0
	s_wait_alu 0xfffe
	s_xor_b32 exec_lo, exec_lo, s0
	s_cbranch_execz .LBB71_43
; %bb.42:                               ;   in Loop: Header=BB71_3 Depth=1
	global_load_b64 v[20:21], v[22:23], off
	v_add_nc_u32_e32 v0, -8, v10
.LBB71_43:                              ;   in Loop: Header=BB71_3 Depth=1
	s_or_b32 exec_lo, exec_lo, s0
	v_add_co_u32 v26, s0, v24, 8
	s_wait_alu 0xf1ff
	v_add_co_ci_u32_e64 v27, null, 0, v25, s0
                                        ; implicit-def: $vgpr22_vgpr23
	s_mov_b32 s0, exec_lo
	v_cmpx_gt_u32_e32 8, v0
	s_wait_alu 0xfffe
	s_xor_b32 s10, exec_lo, s0
	s_cbranch_execz .LBB71_49
; %bb.44:                               ;   in Loop: Header=BB71_3 Depth=1
	v_mov_b32_e32 v22, 0
	v_mov_b32_e32 v23, 0
	s_mov_b32 s11, exec_lo
	v_cmpx_ne_u32_e32 0, v0
	s_cbranch_execz .LBB71_48
; %bb.45:                               ;   in Loop: Header=BB71_3 Depth=1
	v_mov_b32_e32 v22, 0
	v_mov_b32_e32 v23, 0
	s_mov_b64 s[0:1], 0
	s_mov_b32 s12, 0
	s_mov_b64 s[4:5], 0
.LBB71_46:                              ;   Parent Loop BB71_3 Depth=1
                                        ; =>  This Inner Loop Header: Depth=2
	s_wait_alu 0xfffe
	v_add_co_u32 v26, vcc_lo, v24, s4
	s_wait_alu 0xfffd
	v_add_co_ci_u32_e64 v27, null, s5, v25, vcc_lo
	s_add_nc_u64 s[4:5], s[4:5], 1
	s_wait_alu 0xfffe
	v_cmp_eq_u32_e32 vcc_lo, s4, v0
	global_load_u8 v10, v[26:27], off
	v_mov_b32_e32 v27, s7
	s_or_b32 s12, vcc_lo, s12
	s_wait_loadcnt 0x0
	v_and_b32_e32 v26, 0xffff, v10
	s_delay_alu instid0(VALU_DEP_1) | instskip(SKIP_1) | instid1(VALU_DEP_1)
	v_lshlrev_b64_e32 v[26:27], s0, v[26:27]
	s_add_nc_u64 s[0:1], s[0:1], 8
	v_or_b32_e32 v23, v27, v23
	s_delay_alu instid0(VALU_DEP_2)
	v_or_b32_e32 v22, v26, v22
	s_wait_alu 0xfffe
	s_and_not1_b32 exec_lo, exec_lo, s12
	s_cbranch_execnz .LBB71_46
; %bb.47:                               ;   in Loop: Header=BB71_3 Depth=1
	s_or_b32 exec_lo, exec_lo, s12
.LBB71_48:                              ;   in Loop: Header=BB71_3 Depth=1
	s_wait_alu 0xfffe
	s_or_b32 exec_lo, exec_lo, s11
	v_dual_mov_b32 v27, v25 :: v_dual_mov_b32 v26, v24
                                        ; implicit-def: $vgpr0
.LBB71_49:                              ;   in Loop: Header=BB71_3 Depth=1
	s_wait_alu 0xfffe
	s_or_saveexec_b32 s0, s10
	v_mov_b32_e32 v10, 0
	s_wait_alu 0xfffe
	s_xor_b32 exec_lo, exec_lo, s0
	s_cbranch_execz .LBB71_51
; %bb.50:                               ;   in Loop: Header=BB71_3 Depth=1
	global_load_b64 v[22:23], v[24:25], off
	v_add_nc_u32_e32 v10, -8, v0
.LBB71_51:                              ;   in Loop: Header=BB71_3 Depth=1
	s_or_b32 exec_lo, exec_lo, s0
	s_delay_alu instid0(SALU_CYCLE_1) | instskip(NEXT) | instid1(VALU_DEP_1)
	s_mov_b32 s0, exec_lo
	v_cmpx_gt_u32_e32 8, v10
	s_wait_alu 0xfffe
	s_xor_b32 s1, exec_lo, s0
	s_cbranch_execz .LBB71_57
; %bb.52:                               ;   in Loop: Header=BB71_3 Depth=1
	v_mov_b32_e32 v24, 0
	v_mov_b32_e32 v25, 0
	s_mov_b32 s10, exec_lo
	v_cmpx_ne_u32_e32 0, v10
	s_cbranch_execz .LBB71_56
; %bb.53:                               ;   in Loop: Header=BB71_3 Depth=1
	v_mov_b32_e32 v24, 0
	v_mov_b32_e32 v25, 0
	s_mov_b64 s[4:5], 0
	s_mov_b32 s11, 0
.LBB71_54:                              ;   Parent Loop BB71_3 Depth=1
                                        ; =>  This Inner Loop Header: Depth=2
	global_load_u8 v0, v[26:27], off
	v_dual_mov_b32 v29, s7 :: v_dual_add_nc_u32 v10, -1, v10
	v_add_co_u32 v26, vcc_lo, v26, 1
	s_wait_alu 0xfffd
	v_add_co_ci_u32_e64 v27, null, 0, v27, vcc_lo
	s_delay_alu instid0(VALU_DEP_3) | instskip(SKIP_4) | instid1(VALU_DEP_1)
	v_cmp_eq_u32_e64 s0, 0, v10
	s_wait_alu 0xfffe
	s_or_b32 s11, s0, s11
	s_wait_loadcnt 0x0
	v_and_b32_e32 v28, 0xffff, v0
	v_lshlrev_b64_e32 v[28:29], s4, v[28:29]
	s_add_nc_u64 s[4:5], s[4:5], 8
	s_delay_alu instid0(VALU_DEP_1) | instskip(NEXT) | instid1(VALU_DEP_2)
	v_or_b32_e32 v25, v29, v25
	v_or_b32_e32 v24, v28, v24
	s_wait_alu 0xfffe
	s_and_not1_b32 exec_lo, exec_lo, s11
	s_cbranch_execnz .LBB71_54
; %bb.55:                               ;   in Loop: Header=BB71_3 Depth=1
	s_or_b32 exec_lo, exec_lo, s11
.LBB71_56:                              ;   in Loop: Header=BB71_3 Depth=1
	s_wait_alu 0xfffe
	s_or_b32 exec_lo, exec_lo, s10
                                        ; implicit-def: $vgpr26_vgpr27
.LBB71_57:                              ;   in Loop: Header=BB71_3 Depth=1
	s_wait_alu 0xfffe
	s_and_not1_saveexec_b32 s0, s1
	s_cbranch_execz .LBB71_59
; %bb.58:                               ;   in Loop: Header=BB71_3 Depth=1
	global_load_b64 v[24:25], v[26:27], off
.LBB71_59:                              ;   in Loop: Header=BB71_3 Depth=1
	s_wait_alu 0xfffe
	s_or_b32 exec_lo, exec_lo, s0
	v_readfirstlane_b32 s0, v38
	v_mov_b32_e32 v34, 0
	v_mov_b32_e32 v35, 0
	s_wait_alu 0xf1ff
	s_delay_alu instid0(VALU_DEP_3)
	v_cmp_eq_u32_e64 s0, s0, v38
	s_and_saveexec_b32 s1, s0
	s_cbranch_execz .LBB71_65
; %bb.60:                               ;   in Loop: Header=BB71_3 Depth=1
	s_wait_kmcnt 0x0
	global_load_b64 v[28:29], v11, s[2:3] offset:24 scope:SCOPE_SYS
	s_wait_loadcnt 0x0
	global_inv scope:SCOPE_SYS
	s_clause 0x1
	global_load_b64 v[26:27], v11, s[2:3] offset:40
	global_load_b64 v[34:35], v11, s[2:3]
	s_mov_b32 s4, exec_lo
	s_wait_loadcnt 0x1
	v_and_b32_e32 v0, v27, v29
	v_and_b32_e32 v10, v26, v28
	s_delay_alu instid0(VALU_DEP_2) | instskip(NEXT) | instid1(VALU_DEP_2)
	v_mul_lo_u32 v0, 24, v0
	v_mul_lo_u32 v26, 0, v10
	v_mul_hi_u32 v27, 24, v10
	v_mul_lo_u32 v10, 24, v10
	s_delay_alu instid0(VALU_DEP_3) | instskip(SKIP_1) | instid1(VALU_DEP_2)
	v_add_nc_u32_e32 v0, v0, v26
	s_wait_loadcnt 0x0
	v_add_co_u32 v26, vcc_lo, v34, v10
	s_delay_alu instid0(VALU_DEP_2) | instskip(SKIP_1) | instid1(VALU_DEP_1)
	v_add_nc_u32_e32 v0, v0, v27
	s_wait_alu 0xfffd
	v_add_co_ci_u32_e64 v27, null, v35, v0, vcc_lo
	global_load_b64 v[26:27], v[26:27], off scope:SCOPE_SYS
	s_wait_loadcnt 0x0
	global_atomic_cmpswap_b64 v[34:35], v11, v[26:29], s[2:3] offset:24 th:TH_ATOMIC_RETURN scope:SCOPE_SYS
	s_wait_loadcnt 0x0
	global_inv scope:SCOPE_SYS
	v_cmpx_ne_u64_e64 v[34:35], v[28:29]
	s_cbranch_execz .LBB71_64
; %bb.61:                               ;   in Loop: Header=BB71_3 Depth=1
	s_mov_b32 s5, 0
.LBB71_62:                              ;   Parent Loop BB71_3 Depth=1
                                        ; =>  This Inner Loop Header: Depth=2
	s_sleep 1
	s_clause 0x1
	global_load_b64 v[26:27], v11, s[2:3] offset:40
	global_load_b64 v[36:37], v11, s[2:3]
	v_dual_mov_b32 v28, v34 :: v_dual_mov_b32 v29, v35
	s_wait_loadcnt 0x1
	s_delay_alu instid0(VALU_DEP_1) | instskip(NEXT) | instid1(VALU_DEP_2)
	v_and_b32_e32 v0, v26, v28
	v_and_b32_e32 v10, v27, v29
	s_wait_loadcnt 0x0
	s_delay_alu instid0(VALU_DEP_2) | instskip(NEXT) | instid1(VALU_DEP_1)
	v_mad_co_u64_u32 v[34:35], null, v0, 24, v[36:37]
	v_mov_b32_e32 v0, v35
	s_delay_alu instid0(VALU_DEP_1) | instskip(NEXT) | instid1(VALU_DEP_1)
	v_mad_co_u64_u32 v[26:27], null, v10, 24, v[0:1]
	v_mov_b32_e32 v35, v26
	global_load_b64 v[26:27], v[34:35], off scope:SCOPE_SYS
	s_wait_loadcnt 0x0
	global_atomic_cmpswap_b64 v[34:35], v11, v[26:29], s[2:3] offset:24 th:TH_ATOMIC_RETURN scope:SCOPE_SYS
	s_wait_loadcnt 0x0
	global_inv scope:SCOPE_SYS
	v_cmp_eq_u64_e32 vcc_lo, v[34:35], v[28:29]
	s_wait_alu 0xfffe
	s_or_b32 s5, vcc_lo, s5
	s_wait_alu 0xfffe
	s_and_not1_b32 exec_lo, exec_lo, s5
	s_cbranch_execnz .LBB71_62
; %bb.63:                               ;   in Loop: Header=BB71_3 Depth=1
	s_or_b32 exec_lo, exec_lo, s5
.LBB71_64:                              ;   in Loop: Header=BB71_3 Depth=1
	s_wait_alu 0xfffe
	s_or_b32 exec_lo, exec_lo, s4
.LBB71_65:                              ;   in Loop: Header=BB71_3 Depth=1
	s_wait_alu 0xfffe
	s_or_b32 exec_lo, exec_lo, s1
	s_wait_kmcnt 0x0
	s_clause 0x1
	global_load_b64 v[36:37], v11, s[2:3] offset:40
	global_load_b128 v[26:29], v11, s[2:3]
	v_readfirstlane_b32 s5, v35
	v_readfirstlane_b32 s4, v34
	s_mov_b32 s1, exec_lo
	s_wait_loadcnt 0x1
	s_wait_alu 0xf1ff
	v_and_b32_e32 v37, s5, v37
	v_and_b32_e32 v36, s4, v36
	s_delay_alu instid0(VALU_DEP_2) | instskip(NEXT) | instid1(VALU_DEP_2)
	v_mul_lo_u32 v0, 24, v37
	v_mul_lo_u32 v10, 0, v36
	v_mul_hi_u32 v34, 24, v36
	v_mul_lo_u32 v35, 24, v36
	s_delay_alu instid0(VALU_DEP_3) | instskip(NEXT) | instid1(VALU_DEP_1)
	v_add_nc_u32_e32 v0, v0, v10
	v_add_nc_u32_e32 v0, v0, v34
	s_wait_loadcnt 0x0
	s_delay_alu instid0(VALU_DEP_3) | instskip(SKIP_1) | instid1(VALU_DEP_2)
	v_add_co_u32 v34, vcc_lo, v26, v35
	s_wait_alu 0xfffd
	v_add_co_ci_u32_e64 v35, null, v27, v0, vcc_lo
	s_and_saveexec_b32 s10, s0
	s_cbranch_execz .LBB71_67
; %bb.66:                               ;   in Loop: Header=BB71_3 Depth=1
	s_wait_alu 0xfffe
	v_mov_b32_e32 v10, s1
	global_store_b128 v[34:35], v[10:13], off offset:8
.LBB71_67:                              ;   in Loop: Header=BB71_3 Depth=1
	s_wait_alu 0xfffe
	s_or_b32 exec_lo, exec_lo, s10
	v_cmp_gt_u64_e32 vcc_lo, 57, v[4:5]
	v_lshlrev_b64_e32 v[36:37], 12, v[36:37]
	v_and_b32_e32 v6, 0xffffff1f, v6
	v_lshl_add_u32 v10, v32, 2, 28
	s_wait_alu 0xfffd
	v_cndmask_b32_e32 v0, 0, v2, vcc_lo
	s_delay_alu instid0(VALU_DEP_1) | instskip(SKIP_3) | instid1(VALU_DEP_3)
	v_or_b32_e32 v6, v6, v0
	v_add_co_u32 v0, vcc_lo, v28, v36
	s_wait_alu 0xfffd
	v_add_co_ci_u32_e64 v28, null, v29, v37, vcc_lo
	v_and_or_b32 v6, 0x1e0, v10, v6
	v_lshlrev_b32_e32 v29, 6, v38
	v_readfirstlane_b32 s10, v0
	s_delay_alu instid0(VALU_DEP_4)
	v_readfirstlane_b32 s11, v28
	s_clause 0x3
	global_store_b128 v29, v[6:9], s[10:11]
	global_store_b128 v29, v[14:17], s[10:11] offset:16
	global_store_b128 v29, v[18:21], s[10:11] offset:32
	;; [unrolled: 1-line block ×3, first 2 shown]
	s_and_saveexec_b32 s1, s0
	s_cbranch_execz .LBB71_75
; %bb.68:                               ;   in Loop: Header=BB71_3 Depth=1
	s_clause 0x1
	global_load_b64 v[18:19], v11, s[2:3] offset:32 scope:SCOPE_SYS
	global_load_b64 v[6:7], v11, s[2:3] offset:40
	s_mov_b32 s10, exec_lo
	v_dual_mov_b32 v16, s4 :: v_dual_mov_b32 v17, s5
	s_wait_loadcnt 0x0
	v_and_b32_e32 v6, s4, v6
	v_and_b32_e32 v7, s5, v7
	s_delay_alu instid0(VALU_DEP_2) | instskip(NEXT) | instid1(VALU_DEP_2)
	v_mul_lo_u32 v8, 0, v6
	v_mul_lo_u32 v7, 24, v7
	v_mul_hi_u32 v9, 24, v6
	v_mul_lo_u32 v6, 24, v6
	s_delay_alu instid0(VALU_DEP_3) | instskip(NEXT) | instid1(VALU_DEP_2)
	v_add_nc_u32_e32 v7, v7, v8
	v_add_co_u32 v14, vcc_lo, v26, v6
	s_delay_alu instid0(VALU_DEP_2) | instskip(SKIP_1) | instid1(VALU_DEP_1)
	v_add_nc_u32_e32 v7, v7, v9
	s_wait_alu 0xfffd
	v_add_co_ci_u32_e64 v15, null, v27, v7, vcc_lo
	global_store_b64 v[14:15], v[18:19], off
	global_wb scope:SCOPE_SYS
	s_wait_storecnt 0x0
	global_atomic_cmpswap_b64 v[8:9], v11, v[16:19], s[2:3] offset:32 th:TH_ATOMIC_RETURN scope:SCOPE_SYS
	s_wait_loadcnt 0x0
	v_cmpx_ne_u64_e64 v[8:9], v[18:19]
	s_cbranch_execz .LBB71_71
; %bb.69:                               ;   in Loop: Header=BB71_3 Depth=1
	s_mov_b32 s11, 0
.LBB71_70:                              ;   Parent Loop BB71_3 Depth=1
                                        ; =>  This Inner Loop Header: Depth=2
	v_dual_mov_b32 v6, s4 :: v_dual_mov_b32 v7, s5
	s_sleep 1
	global_store_b64 v[14:15], v[8:9], off
	global_wb scope:SCOPE_SYS
	s_wait_storecnt 0x0
	global_atomic_cmpswap_b64 v[6:7], v11, v[6:9], s[2:3] offset:32 th:TH_ATOMIC_RETURN scope:SCOPE_SYS
	s_wait_loadcnt 0x0
	v_cmp_eq_u64_e32 vcc_lo, v[6:7], v[8:9]
	v_dual_mov_b32 v9, v7 :: v_dual_mov_b32 v8, v6
	s_wait_alu 0xfffe
	s_or_b32 s11, vcc_lo, s11
	s_wait_alu 0xfffe
	s_and_not1_b32 exec_lo, exec_lo, s11
	s_cbranch_execnz .LBB71_70
.LBB71_71:                              ;   in Loop: Header=BB71_3 Depth=1
	s_wait_alu 0xfffe
	s_or_b32 exec_lo, exec_lo, s10
	global_load_b64 v[6:7], v11, s[2:3] offset:16
	s_mov_b32 s11, exec_lo
	s_mov_b32 s10, exec_lo
	s_wait_alu 0xfffe
	v_mbcnt_lo_u32_b32 v8, s11, 0
	s_delay_alu instid0(VALU_DEP_1)
	v_cmpx_eq_u32_e32 0, v8
	s_cbranch_execz .LBB71_73
; %bb.72:                               ;   in Loop: Header=BB71_3 Depth=1
	s_bcnt1_i32_b32 s11, s11
	s_wait_alu 0xfffe
	v_mov_b32_e32 v10, s11
	global_wb scope:SCOPE_SYS
	s_wait_loadcnt 0x0
	s_wait_storecnt 0x0
	global_atomic_add_u64 v[6:7], v[10:11], off offset:8 scope:SCOPE_SYS
.LBB71_73:                              ;   in Loop: Header=BB71_3 Depth=1
	s_or_b32 exec_lo, exec_lo, s10
	s_wait_loadcnt 0x0
	global_load_b64 v[8:9], v[6:7], off offset:16
	s_wait_loadcnt 0x0
	v_cmp_eq_u64_e32 vcc_lo, 0, v[8:9]
	s_cbranch_vccnz .LBB71_75
; %bb.74:                               ;   in Loop: Header=BB71_3 Depth=1
	global_load_b32 v10, v[6:7], off offset:24
	s_wait_loadcnt 0x0
	v_readfirstlane_b32 s10, v10
	global_wb scope:SCOPE_SYS
	s_wait_storecnt 0x0
	global_store_b64 v[8:9], v[10:11], off scope:SCOPE_SYS
	s_and_b32 m0, s10, 0xffffff
	s_sendmsg sendmsg(MSG_INTERRUPT)
.LBB71_75:                              ;   in Loop: Header=BB71_3 Depth=1
	s_wait_alu 0xfffe
	s_or_b32 exec_lo, exec_lo, s1
	v_add_co_u32 v6, vcc_lo, v0, v29
	s_wait_alu 0xfffd
	v_add_co_ci_u32_e64 v7, null, 0, v28, vcc_lo
	s_branch .LBB71_79
.LBB71_76:                              ;   in Loop: Header=BB71_79 Depth=2
	s_wait_alu 0xfffe
	s_or_b32 exec_lo, exec_lo, s1
	s_delay_alu instid0(VALU_DEP_1)
	v_readfirstlane_b32 s1, v0
	s_cmp_eq_u32 s1, 0
	s_cbranch_scc1 .LBB71_78
; %bb.77:                               ;   in Loop: Header=BB71_79 Depth=2
	s_sleep 1
	s_cbranch_execnz .LBB71_79
	s_branch .LBB71_81
.LBB71_78:                              ;   in Loop: Header=BB71_3 Depth=1
	s_branch .LBB71_81
.LBB71_79:                              ;   Parent Loop BB71_3 Depth=1
                                        ; =>  This Inner Loop Header: Depth=2
	v_mov_b32_e32 v0, 1
	s_and_saveexec_b32 s1, s0
	s_cbranch_execz .LBB71_76
; %bb.80:                               ;   in Loop: Header=BB71_79 Depth=2
	global_load_b32 v0, v[34:35], off offset:20 scope:SCOPE_SYS
	s_wait_loadcnt 0x0
	global_inv scope:SCOPE_SYS
	v_and_b32_e32 v0, 1, v0
	s_branch .LBB71_76
.LBB71_81:                              ;   in Loop: Header=BB71_3 Depth=1
	global_load_b64 v[6:7], v[6:7], off
	s_and_saveexec_b32 s10, s0
	s_cbranch_execz .LBB71_2
; %bb.82:                               ;   in Loop: Header=BB71_3 Depth=1
	s_clause 0x2
	global_load_b64 v[8:9], v11, s[2:3] offset:40
	global_load_b64 v[18:19], v11, s[2:3] offset:24 scope:SCOPE_SYS
	global_load_b64 v[14:15], v11, s[2:3]
	s_wait_loadcnt 0x2
	v_readfirstlane_b32 s12, v8
	v_readfirstlane_b32 s13, v9
	s_add_nc_u64 s[0:1], s[12:13], 1
	s_wait_alu 0xfffe
	s_add_nc_u64 s[4:5], s[0:1], s[4:5]
	s_wait_alu 0xfffe
	s_cmp_eq_u64 s[4:5], 0
	s_cselect_b32 s1, s1, s5
	s_cselect_b32 s0, s0, s4
	s_wait_alu 0xfffe
	v_dual_mov_b32 v17, s1 :: v_dual_mov_b32 v16, s0
	s_and_b64 s[4:5], s[0:1], s[12:13]
	s_wait_alu 0xfffe
	s_mul_u64 s[4:5], s[4:5], 24
	s_wait_loadcnt 0x0
	s_wait_alu 0xfffe
	v_add_co_u32 v8, vcc_lo, v14, s4
	s_wait_alu 0xfffd
	v_add_co_ci_u32_e64 v9, null, s5, v15, vcc_lo
	global_store_b64 v[8:9], v[18:19], off
	global_wb scope:SCOPE_SYS
	s_wait_storecnt 0x0
	global_atomic_cmpswap_b64 v[16:17], v11, v[16:19], s[2:3] offset:24 th:TH_ATOMIC_RETURN scope:SCOPE_SYS
	s_wait_loadcnt 0x0
	v_cmp_ne_u64_e32 vcc_lo, v[16:17], v[18:19]
	s_and_b32 exec_lo, exec_lo, vcc_lo
	s_cbranch_execz .LBB71_2
; %bb.83:                               ;   in Loop: Header=BB71_3 Depth=1
	s_mov_b32 s4, 0
.LBB71_84:                              ;   Parent Loop BB71_3 Depth=1
                                        ; =>  This Inner Loop Header: Depth=2
	v_dual_mov_b32 v14, s0 :: v_dual_mov_b32 v15, s1
	s_sleep 1
	global_store_b64 v[8:9], v[16:17], off
	global_wb scope:SCOPE_SYS
	s_wait_storecnt 0x0
	global_atomic_cmpswap_b64 v[14:15], v11, v[14:17], s[2:3] offset:24 th:TH_ATOMIC_RETURN scope:SCOPE_SYS
	s_wait_loadcnt 0x0
	v_cmp_eq_u64_e32 vcc_lo, v[14:15], v[16:17]
	v_dual_mov_b32 v17, v15 :: v_dual_mov_b32 v16, v14
	s_wait_alu 0xfffe
	s_or_b32 s4, vcc_lo, s4
	s_wait_alu 0xfffe
	s_and_not1_b32 exec_lo, exec_lo, s4
	s_cbranch_execnz .LBB71_84
	s_branch .LBB71_2
.LBB71_85:
	s_or_b32 exec_lo, exec_lo, s6
.LBB71_86:
	s_wait_loadcnt 0x0
	v_dual_mov_b32 v0, v6 :: v_dual_mov_b32 v1, v7
	s_wait_kmcnt 0x0
	s_setpc_b64 s[30:31]
.LBB71_87:
                                        ; implicit-def: $vgpr6_vgpr7
	s_cbranch_execz .LBB71_86
; %bb.88:
	s_load_b64 s[2:3], s[8:9], 0x50
	v_readfirstlane_b32 s0, v38
	v_mov_b32_e32 v8, 0
	v_mov_b32_e32 v9, 0
	s_wait_alu 0xf1ff
	s_delay_alu instid0(VALU_DEP_3)
	v_cmp_eq_u32_e64 s0, s0, v38
	s_and_saveexec_b32 s1, s0
	s_cbranch_execz .LBB71_94
; %bb.89:
	v_mov_b32_e32 v0, 0
	s_mov_b32 s4, exec_lo
	s_wait_loadcnt 0x0
	s_wait_kmcnt 0x0
	global_load_b64 v[6:7], v0, s[2:3] offset:24 scope:SCOPE_SYS
	s_wait_loadcnt 0x0
	global_inv scope:SCOPE_SYS
	s_clause 0x1
	global_load_b64 v[4:5], v0, s[2:3] offset:40
	global_load_b64 v[8:9], v0, s[2:3]
	s_wait_loadcnt 0x1
	v_and_b32_e32 v2, v5, v7
	v_and_b32_e32 v4, v4, v6
	s_delay_alu instid0(VALU_DEP_2) | instskip(NEXT) | instid1(VALU_DEP_2)
	v_mul_lo_u32 v2, 24, v2
	v_mul_lo_u32 v5, 0, v4
	v_mul_hi_u32 v10, 24, v4
	v_mul_lo_u32 v4, 24, v4
	s_delay_alu instid0(VALU_DEP_3) | instskip(SKIP_1) | instid1(VALU_DEP_2)
	v_add_nc_u32_e32 v2, v2, v5
	s_wait_loadcnt 0x0
	v_add_co_u32 v4, vcc_lo, v8, v4
	s_delay_alu instid0(VALU_DEP_2) | instskip(SKIP_1) | instid1(VALU_DEP_1)
	v_add_nc_u32_e32 v2, v2, v10
	s_wait_alu 0xfffd
	v_add_co_ci_u32_e64 v5, null, v9, v2, vcc_lo
	global_load_b64 v[4:5], v[4:5], off scope:SCOPE_SYS
	s_wait_loadcnt 0x0
	global_atomic_cmpswap_b64 v[8:9], v0, v[4:7], s[2:3] offset:24 th:TH_ATOMIC_RETURN scope:SCOPE_SYS
	s_wait_loadcnt 0x0
	global_inv scope:SCOPE_SYS
	v_cmpx_ne_u64_e64 v[8:9], v[6:7]
	s_cbranch_execz .LBB71_93
; %bb.90:
	s_mov_b32 s5, 0
.LBB71_91:                              ; =>This Inner Loop Header: Depth=1
	s_sleep 1
	s_clause 0x1
	global_load_b64 v[4:5], v0, s[2:3] offset:40
	global_load_b64 v[10:11], v0, s[2:3]
	v_dual_mov_b32 v6, v8 :: v_dual_mov_b32 v7, v9
	s_wait_loadcnt 0x1
	s_delay_alu instid0(VALU_DEP_1) | instskip(NEXT) | instid1(VALU_DEP_2)
	v_and_b32_e32 v2, v4, v6
	v_and_b32_e32 v4, v5, v7
	s_wait_loadcnt 0x0
	s_delay_alu instid0(VALU_DEP_2) | instskip(NEXT) | instid1(VALU_DEP_1)
	v_mad_co_u64_u32 v[8:9], null, v2, 24, v[10:11]
	v_mov_b32_e32 v2, v9
	s_delay_alu instid0(VALU_DEP_1) | instskip(NEXT) | instid1(VALU_DEP_1)
	v_mad_co_u64_u32 v[4:5], null, v4, 24, v[2:3]
	v_mov_b32_e32 v9, v4
	global_load_b64 v[4:5], v[8:9], off scope:SCOPE_SYS
	s_wait_loadcnt 0x0
	global_atomic_cmpswap_b64 v[8:9], v0, v[4:7], s[2:3] offset:24 th:TH_ATOMIC_RETURN scope:SCOPE_SYS
	s_wait_loadcnt 0x0
	global_inv scope:SCOPE_SYS
	v_cmp_eq_u64_e32 vcc_lo, v[8:9], v[6:7]
	s_wait_alu 0xfffe
	s_or_b32 s5, vcc_lo, s5
	s_wait_alu 0xfffe
	s_and_not1_b32 exec_lo, exec_lo, s5
	s_cbranch_execnz .LBB71_91
; %bb.92:
	s_or_b32 exec_lo, exec_lo, s5
.LBB71_93:
	s_wait_alu 0xfffe
	s_or_b32 exec_lo, exec_lo, s4
.LBB71_94:
	s_wait_alu 0xfffe
	s_or_b32 exec_lo, exec_lo, s1
	v_readfirstlane_b32 s5, v9
	v_mov_b32_e32 v2, 0
	v_readfirstlane_b32 s4, v8
	s_mov_b32 s1, exec_lo
	s_wait_kmcnt 0x0
	global_load_b64 v[10:11], v2, s[2:3] offset:40
	s_wait_loadcnt 0x1
	global_load_b128 v[4:7], v2, s[2:3]
	s_wait_loadcnt 0x1
	s_wait_alu 0xf1ff
	v_and_b32_e32 v11, s5, v11
	v_and_b32_e32 v10, s4, v10
	s_delay_alu instid0(VALU_DEP_2) | instskip(NEXT) | instid1(VALU_DEP_2)
	v_mul_lo_u32 v0, 24, v11
	v_mul_lo_u32 v8, 0, v10
	v_mul_hi_u32 v9, 24, v10
	v_mul_lo_u32 v12, 24, v10
	s_delay_alu instid0(VALU_DEP_3) | instskip(SKIP_1) | instid1(VALU_DEP_2)
	v_add_nc_u32_e32 v0, v0, v8
	s_wait_loadcnt 0x0
	v_add_co_u32 v8, vcc_lo, v4, v12
	s_delay_alu instid0(VALU_DEP_2) | instskip(SKIP_1) | instid1(VALU_DEP_1)
	v_add_nc_u32_e32 v0, v0, v9
	s_wait_alu 0xfffd
	v_add_co_ci_u32_e64 v9, null, v5, v0, vcc_lo
	s_and_saveexec_b32 s6, s0
	s_cbranch_execz .LBB71_96
; %bb.95:
	s_wait_alu 0xfffe
	v_dual_mov_b32 v12, s1 :: v_dual_mov_b32 v13, v2
	v_dual_mov_b32 v14, 2 :: v_dual_mov_b32 v15, 1
	global_store_b128 v[8:9], v[12:15], off offset:8
.LBB71_96:
	s_wait_alu 0xfffe
	s_or_b32 exec_lo, exec_lo, s6
	v_lshlrev_b64_e32 v[10:11], 12, v[10:11]
	v_lshlrev_b32_e32 v14, 6, v38
	s_mov_b32 s8, 0
	v_and_or_b32 v0, 0xffffff1f, v3, 32
	v_mov_b32_e32 v3, v2
	s_wait_alu 0xfffe
	s_mov_b32 s11, s8
	v_add_co_u32 v6, vcc_lo, v6, v10
	s_wait_alu 0xfffd
	v_add_co_ci_u32_e64 v7, null, v7, v11, vcc_lo
	s_mov_b32 s9, s8
	v_readfirstlane_b32 s6, v6
	v_add_co_u32 v6, vcc_lo, v6, v14
	s_mov_b32 s10, s8
	v_readfirstlane_b32 s7, v7
	s_wait_alu 0xfffe
	v_dual_mov_b32 v13, s11 :: v_dual_mov_b32 v12, s10
	s_wait_alu 0xfffd
	v_add_co_ci_u32_e64 v7, null, 0, v7, vcc_lo
	v_dual_mov_b32 v11, s9 :: v_dual_mov_b32 v10, s8
	s_clause 0x3
	global_store_b128 v14, v[0:3], s[6:7]
	global_store_b128 v14, v[10:13], s[6:7] offset:16
	global_store_b128 v14, v[10:13], s[6:7] offset:32
	;; [unrolled: 1-line block ×3, first 2 shown]
	s_and_saveexec_b32 s1, s0
	s_cbranch_execz .LBB71_104
; %bb.97:
	v_mov_b32_e32 v10, 0
	s_mov_b32 s6, exec_lo
	s_clause 0x1
	global_load_b64 v[13:14], v10, s[2:3] offset:32 scope:SCOPE_SYS
	global_load_b64 v[0:1], v10, s[2:3] offset:40
	v_dual_mov_b32 v11, s4 :: v_dual_mov_b32 v12, s5
	s_wait_loadcnt 0x0
	v_and_b32_e32 v1, s5, v1
	v_and_b32_e32 v0, s4, v0
	s_delay_alu instid0(VALU_DEP_2) | instskip(NEXT) | instid1(VALU_DEP_2)
	v_mul_lo_u32 v1, 24, v1
	v_mul_lo_u32 v2, 0, v0
	v_mul_hi_u32 v3, 24, v0
	v_mul_lo_u32 v0, 24, v0
	s_delay_alu instid0(VALU_DEP_3) | instskip(NEXT) | instid1(VALU_DEP_2)
	v_add_nc_u32_e32 v1, v1, v2
	v_add_co_u32 v4, vcc_lo, v4, v0
	s_delay_alu instid0(VALU_DEP_2) | instskip(SKIP_1) | instid1(VALU_DEP_1)
	v_add_nc_u32_e32 v1, v1, v3
	s_wait_alu 0xfffd
	v_add_co_ci_u32_e64 v5, null, v5, v1, vcc_lo
	global_store_b64 v[4:5], v[13:14], off
	global_wb scope:SCOPE_SYS
	s_wait_storecnt 0x0
	global_atomic_cmpswap_b64 v[2:3], v10, v[11:14], s[2:3] offset:32 th:TH_ATOMIC_RETURN scope:SCOPE_SYS
	s_wait_loadcnt 0x0
	v_cmpx_ne_u64_e64 v[2:3], v[13:14]
	s_cbranch_execz .LBB71_100
; %bb.98:
	s_mov_b32 s7, 0
.LBB71_99:                              ; =>This Inner Loop Header: Depth=1
	v_dual_mov_b32 v0, s4 :: v_dual_mov_b32 v1, s5
	s_sleep 1
	global_store_b64 v[4:5], v[2:3], off
	global_wb scope:SCOPE_SYS
	s_wait_storecnt 0x0
	global_atomic_cmpswap_b64 v[0:1], v10, v[0:3], s[2:3] offset:32 th:TH_ATOMIC_RETURN scope:SCOPE_SYS
	s_wait_loadcnt 0x0
	v_cmp_eq_u64_e32 vcc_lo, v[0:1], v[2:3]
	v_dual_mov_b32 v3, v1 :: v_dual_mov_b32 v2, v0
	s_wait_alu 0xfffe
	s_or_b32 s7, vcc_lo, s7
	s_wait_alu 0xfffe
	s_and_not1_b32 exec_lo, exec_lo, s7
	s_cbranch_execnz .LBB71_99
.LBB71_100:
	s_wait_alu 0xfffe
	s_or_b32 exec_lo, exec_lo, s6
	v_mov_b32_e32 v3, 0
	s_mov_b32 s7, exec_lo
	s_mov_b32 s6, exec_lo
	s_wait_alu 0xfffe
	v_mbcnt_lo_u32_b32 v2, s7, 0
	global_load_b64 v[0:1], v3, s[2:3] offset:16
	v_cmpx_eq_u32_e32 0, v2
	s_cbranch_execz .LBB71_102
; %bb.101:
	s_bcnt1_i32_b32 s7, s7
	s_wait_alu 0xfffe
	v_mov_b32_e32 v2, s7
	global_wb scope:SCOPE_SYS
	s_wait_loadcnt 0x0
	s_wait_storecnt 0x0
	global_atomic_add_u64 v[0:1], v[2:3], off offset:8 scope:SCOPE_SYS
.LBB71_102:
	s_or_b32 exec_lo, exec_lo, s6
	s_wait_loadcnt 0x0
	global_load_b64 v[2:3], v[0:1], off offset:16
	s_wait_loadcnt 0x0
	v_cmp_eq_u64_e32 vcc_lo, 0, v[2:3]
	s_cbranch_vccnz .LBB71_104
; %bb.103:
	global_load_b32 v0, v[0:1], off offset:24
	v_mov_b32_e32 v1, 0
	s_wait_loadcnt 0x0
	v_readfirstlane_b32 s6, v0
	global_wb scope:SCOPE_SYS
	s_wait_storecnt 0x0
	global_store_b64 v[2:3], v[0:1], off scope:SCOPE_SYS
	s_and_b32 m0, s6, 0xffffff
	s_sendmsg sendmsg(MSG_INTERRUPT)
.LBB71_104:
	s_wait_alu 0xfffe
	s_or_b32 exec_lo, exec_lo, s1
	s_branch .LBB71_108
.LBB71_105:                             ;   in Loop: Header=BB71_108 Depth=1
	s_wait_alu 0xfffe
	s_or_b32 exec_lo, exec_lo, s1
	s_delay_alu instid0(VALU_DEP_1)
	v_readfirstlane_b32 s1, v0
	s_cmp_eq_u32 s1, 0
	s_cbranch_scc1 .LBB71_107
; %bb.106:                              ;   in Loop: Header=BB71_108 Depth=1
	s_sleep 1
	s_cbranch_execnz .LBB71_108
	s_branch .LBB71_110
.LBB71_107:
	s_branch .LBB71_110
.LBB71_108:                             ; =>This Inner Loop Header: Depth=1
	v_mov_b32_e32 v0, 1
	s_and_saveexec_b32 s1, s0
	s_cbranch_execz .LBB71_105
; %bb.109:                              ;   in Loop: Header=BB71_108 Depth=1
	global_load_b32 v0, v[8:9], off offset:20 scope:SCOPE_SYS
	s_wait_loadcnt 0x0
	global_inv scope:SCOPE_SYS
	v_and_b32_e32 v0, 1, v0
	s_branch .LBB71_105
.LBB71_110:
	global_load_b64 v[6:7], v[6:7], off
	s_and_saveexec_b32 s6, s0
	s_cbranch_execz .LBB71_114
; %bb.111:
	v_mov_b32_e32 v8, 0
	s_clause 0x2
	global_load_b64 v[0:1], v8, s[2:3] offset:40
	global_load_b64 v[11:12], v8, s[2:3] offset:24 scope:SCOPE_SYS
	global_load_b64 v[2:3], v8, s[2:3]
	s_wait_loadcnt 0x2
	v_readfirstlane_b32 s8, v0
	v_readfirstlane_b32 s9, v1
	s_add_nc_u64 s[0:1], s[8:9], 1
	s_wait_alu 0xfffe
	s_add_nc_u64 s[4:5], s[0:1], s[4:5]
	s_wait_alu 0xfffe
	s_cmp_eq_u64 s[4:5], 0
	s_cselect_b32 s1, s1, s5
	s_cselect_b32 s0, s0, s4
	s_wait_alu 0xfffe
	v_mov_b32_e32 v10, s1
	s_and_b64 s[4:5], s[0:1], s[8:9]
	v_mov_b32_e32 v9, s0
	s_wait_alu 0xfffe
	s_mul_u64 s[4:5], s[4:5], 24
	s_wait_loadcnt 0x0
	s_wait_alu 0xfffe
	v_add_co_u32 v4, vcc_lo, v2, s4
	s_wait_alu 0xfffd
	v_add_co_ci_u32_e64 v5, null, s5, v3, vcc_lo
	global_store_b64 v[4:5], v[11:12], off
	global_wb scope:SCOPE_SYS
	s_wait_storecnt 0x0
	global_atomic_cmpswap_b64 v[2:3], v8, v[9:12], s[2:3] offset:24 th:TH_ATOMIC_RETURN scope:SCOPE_SYS
	s_wait_loadcnt 0x0
	v_cmp_ne_u64_e32 vcc_lo, v[2:3], v[11:12]
	s_and_b32 exec_lo, exec_lo, vcc_lo
	s_cbranch_execz .LBB71_114
; %bb.112:
	s_mov_b32 s4, 0
.LBB71_113:                             ; =>This Inner Loop Header: Depth=1
	v_dual_mov_b32 v0, s0 :: v_dual_mov_b32 v1, s1
	s_sleep 1
	global_store_b64 v[4:5], v[2:3], off
	global_wb scope:SCOPE_SYS
	s_wait_storecnt 0x0
	global_atomic_cmpswap_b64 v[0:1], v8, v[0:3], s[2:3] offset:24 th:TH_ATOMIC_RETURN scope:SCOPE_SYS
	s_wait_loadcnt 0x0
	v_cmp_eq_u64_e32 vcc_lo, v[0:1], v[2:3]
	v_dual_mov_b32 v3, v1 :: v_dual_mov_b32 v2, v0
	s_wait_alu 0xfffe
	s_or_b32 s4, vcc_lo, s4
	s_wait_alu 0xfffe
	s_and_not1_b32 exec_lo, exec_lo, s4
	s_cbranch_execnz .LBB71_113
.LBB71_114:
	s_wait_alu 0xfffe
	s_or_b32 exec_lo, exec_lo, s6
	s_wait_loadcnt 0x0
	v_dual_mov_b32 v0, v6 :: v_dual_mov_b32 v1, v7
	s_wait_kmcnt 0x0
	s_setpc_b64 s[30:31]
.Lfunc_end71:
	.size	__ockl_printf_append_string_n, .Lfunc_end71-__ockl_printf_append_string_n
                                        ; -- End function
	.set .L__ockl_printf_append_string_n.num_vgpr, 39
	.set .L__ockl_printf_append_string_n.num_agpr, 0
	.set .L__ockl_printf_append_string_n.numbered_sgpr, 32
	.set .L__ockl_printf_append_string_n.num_named_barrier, 0
	.set .L__ockl_printf_append_string_n.private_seg_size, 0
	.set .L__ockl_printf_append_string_n.uses_vcc, 1
	.set .L__ockl_printf_append_string_n.uses_flat_scratch, 0
	.set .L__ockl_printf_append_string_n.has_dyn_sized_stack, 0
	.set .L__ockl_printf_append_string_n.has_recursion, 0
	.set .L__ockl_printf_append_string_n.has_indirect_call, 0
	.section	.AMDGPU.csdata,"",@progbits
; Function info:
; codeLenInByte = 5328
; TotalNumSgprs: 34
; NumVgprs: 39
; ScratchSize: 0
; MemoryBound: 0
	.text
	.p2align	2                               ; -- Begin function __ockl_printf_append_args
	.type	__ockl_printf_append_args,@function
__ockl_printf_append_args:              ; @__ockl_printf_append_args
; %bb.0:
	s_wait_loadcnt_dscnt 0x0
	s_wait_expcnt 0x0
	s_wait_samplecnt 0x0
	s_wait_bvhcnt 0x0
	s_wait_kmcnt 0x0
	s_load_b64 s[2:3], s[8:9], 0x50
	v_mbcnt_lo_u32_b32 v17, -1, 0
	v_mov_b32_e32 v11, 0
	v_mov_b32_e32 v12, 0
	s_delay_alu instid0(VALU_DEP_3) | instskip(SKIP_1) | instid1(VALU_DEP_1)
	v_readfirstlane_b32 s0, v17
	s_wait_alu 0xf1ff
	v_cmp_eq_u32_e64 s0, s0, v17
	s_and_saveexec_b32 s1, s0
	s_cbranch_execz .LBB72_6
; %bb.1:
	v_mov_b32_e32 v5, 0
	s_mov_b32 s4, exec_lo
	s_wait_kmcnt 0x0
	global_load_b64 v[8:9], v5, s[2:3] offset:24 scope:SCOPE_SYS
	s_wait_loadcnt 0x0
	global_inv scope:SCOPE_SYS
	s_clause 0x1
	global_load_b64 v[6:7], v5, s[2:3] offset:40
	global_load_b64 v[10:11], v5, s[2:3]
	s_wait_loadcnt 0x1
	v_and_b32_e32 v7, v7, v9
	v_and_b32_e32 v6, v6, v8
	s_delay_alu instid0(VALU_DEP_2) | instskip(NEXT) | instid1(VALU_DEP_2)
	v_mul_lo_u32 v7, 24, v7
	v_mul_lo_u32 v12, 0, v6
	v_mul_hi_u32 v13, 24, v6
	v_mul_lo_u32 v6, 24, v6
	s_delay_alu instid0(VALU_DEP_3) | instskip(SKIP_1) | instid1(VALU_DEP_2)
	v_add_nc_u32_e32 v7, v7, v12
	s_wait_loadcnt 0x0
	v_add_co_u32 v6, vcc_lo, v10, v6
	s_delay_alu instid0(VALU_DEP_2) | instskip(SKIP_1) | instid1(VALU_DEP_1)
	v_add_nc_u32_e32 v7, v7, v13
	s_wait_alu 0xfffd
	v_add_co_ci_u32_e64 v7, null, v11, v7, vcc_lo
	global_load_b64 v[6:7], v[6:7], off scope:SCOPE_SYS
	s_wait_loadcnt 0x0
	global_atomic_cmpswap_b64 v[11:12], v5, v[6:9], s[2:3] offset:24 th:TH_ATOMIC_RETURN scope:SCOPE_SYS
	s_wait_loadcnt 0x0
	global_inv scope:SCOPE_SYS
	v_cmpx_ne_u64_e64 v[11:12], v[8:9]
	s_cbranch_execz .LBB72_5
; %bb.2:
	s_mov_b32 s5, 0
.LBB72_3:                               ; =>This Inner Loop Header: Depth=1
	s_sleep 1
	s_clause 0x1
	global_load_b64 v[6:7], v5, s[2:3] offset:40
	global_load_b64 v[13:14], v5, s[2:3]
	v_dual_mov_b32 v8, v11 :: v_dual_mov_b32 v9, v12
	s_wait_loadcnt 0x1
	s_delay_alu instid0(VALU_DEP_1) | instskip(NEXT) | instid1(VALU_DEP_2)
	v_and_b32_e32 v6, v6, v8
	v_and_b32_e32 v7, v7, v9
	s_wait_loadcnt 0x0
	s_delay_alu instid0(VALU_DEP_2) | instskip(NEXT) | instid1(VALU_DEP_1)
	v_mad_co_u64_u32 v[10:11], null, v6, 24, v[13:14]
	v_mov_b32_e32 v6, v11
	s_delay_alu instid0(VALU_DEP_1) | instskip(NEXT) | instid1(VALU_DEP_1)
	v_mad_co_u64_u32 v[6:7], null, v7, 24, v[6:7]
	v_mov_b32_e32 v11, v6
	global_load_b64 v[6:7], v[10:11], off scope:SCOPE_SYS
	s_wait_loadcnt 0x0
	global_atomic_cmpswap_b64 v[11:12], v5, v[6:9], s[2:3] offset:24 th:TH_ATOMIC_RETURN scope:SCOPE_SYS
	s_wait_loadcnt 0x0
	global_inv scope:SCOPE_SYS
	v_cmp_eq_u64_e32 vcc_lo, v[11:12], v[8:9]
	s_wait_alu 0xfffe
	s_or_b32 s5, vcc_lo, s5
	s_wait_alu 0xfffe
	s_and_not1_b32 exec_lo, exec_lo, s5
	s_cbranch_execnz .LBB72_3
; %bb.4:
	s_or_b32 exec_lo, exec_lo, s5
.LBB72_5:
	s_wait_alu 0xfffe
	s_or_b32 exec_lo, exec_lo, s4
.LBB72_6:
	s_wait_alu 0xfffe
	s_or_b32 exec_lo, exec_lo, s1
	v_readfirstlane_b32 s4, v11
	v_mov_b32_e32 v10, 0
	v_readfirstlane_b32 s5, v12
	s_mov_b32 s1, exec_lo
	s_wait_kmcnt 0x0
	s_clause 0x1
	global_load_b64 v[13:14], v10, s[2:3] offset:40
	global_load_b128 v[5:8], v10, s[2:3]
	s_wait_loadcnt 0x1
	s_wait_alu 0xf1ff
	v_and_b32_e32 v16, s5, v14
	v_and_b32_e32 v15, s4, v13
	s_delay_alu instid0(VALU_DEP_2) | instskip(NEXT) | instid1(VALU_DEP_2)
	v_mul_lo_u32 v9, 24, v16
	v_mul_lo_u32 v11, 0, v15
	v_mul_hi_u32 v12, 24, v15
	v_mul_lo_u32 v13, 24, v15
	s_delay_alu instid0(VALU_DEP_3) | instskip(SKIP_1) | instid1(VALU_DEP_2)
	v_add_nc_u32_e32 v9, v9, v11
	s_wait_loadcnt 0x0
	v_add_co_u32 v13, vcc_lo, v5, v13
	s_delay_alu instid0(VALU_DEP_2) | instskip(SKIP_1) | instid1(VALU_DEP_1)
	v_add_nc_u32_e32 v9, v9, v12
	s_wait_alu 0xfffd
	v_add_co_ci_u32_e64 v14, null, v6, v9, vcc_lo
	s_and_saveexec_b32 s6, s0
	s_cbranch_execz .LBB72_8
; %bb.7:
	s_wait_alu 0xfffe
	v_dual_mov_b32 v9, s1 :: v_dual_mov_b32 v12, 1
	v_mov_b32_e32 v11, 2
	global_store_b128 v[13:14], v[9:12], off offset:8
.LBB72_8:
	s_wait_alu 0xfffe
	s_or_b32 exec_lo, exec_lo, s6
	v_lshlrev_b64_e32 v[9:10], 12, v[15:16]
	v_or_b32_e32 v11, 2, v0
	v_cmp_eq_u32_e32 vcc_lo, 0, v4
	s_mov_b32 s8, 0
	s_wait_alu 0xfffe
	s_mov_b32 s9, s8
	s_mov_b32 s10, s8
	s_wait_alu 0xfffd
	v_dual_cndmask_b32 v0, v11, v0 :: v_dual_lshlrev_b32 v11, 6, v17
	v_add_co_u32 v4, vcc_lo, v7, v9
	s_wait_alu 0xfffd
	v_add_co_ci_u32_e64 v7, null, v8, v10, vcc_lo
	s_mov_b32 s11, s8
	v_and_or_b32 v0, 0xffffff1f, v0, 32
	v_readfirstlane_b32 s6, v4
	v_readfirstlane_b32 s7, v7
	s_wait_alu 0xfffe
	v_dual_mov_b32 v7, s8 :: v_dual_mov_b32 v8, s9
	v_dual_mov_b32 v9, s10 :: v_dual_mov_b32 v10, s11
	s_clause 0x3
	global_store_b128 v11, v[0:3], s[6:7]
	global_store_b128 v11, v[7:10], s[6:7] offset:16
	global_store_b128 v11, v[7:10], s[6:7] offset:32
	;; [unrolled: 1-line block ×3, first 2 shown]
	s_and_saveexec_b32 s1, s0
	s_cbranch_execz .LBB72_16
; %bb.9:
	v_mov_b32_e32 v7, 0
	v_mov_b32_e32 v9, s5
	s_mov_b32 s6, exec_lo
	s_clause 0x1
	global_load_b64 v[10:11], v7, s[2:3] offset:32 scope:SCOPE_SYS
	global_load_b64 v[0:1], v7, s[2:3] offset:40
	s_wait_loadcnt 0x0
	v_dual_mov_b32 v8, s4 :: v_dual_and_b32 v1, s5, v1
	v_and_b32_e32 v0, s4, v0
	s_delay_alu instid0(VALU_DEP_2) | instskip(NEXT) | instid1(VALU_DEP_2)
	v_mul_lo_u32 v1, 24, v1
	v_mul_lo_u32 v2, 0, v0
	v_mul_hi_u32 v3, 24, v0
	v_mul_lo_u32 v0, 24, v0
	s_delay_alu instid0(VALU_DEP_3) | instskip(NEXT) | instid1(VALU_DEP_2)
	v_add_nc_u32_e32 v1, v1, v2
	v_add_co_u32 v4, vcc_lo, v5, v0
	s_delay_alu instid0(VALU_DEP_2) | instskip(SKIP_1) | instid1(VALU_DEP_1)
	v_add_nc_u32_e32 v1, v1, v3
	s_wait_alu 0xfffd
	v_add_co_ci_u32_e64 v5, null, v6, v1, vcc_lo
	global_store_b64 v[4:5], v[10:11], off
	global_wb scope:SCOPE_SYS
	s_wait_storecnt 0x0
	global_atomic_cmpswap_b64 v[2:3], v7, v[8:11], s[2:3] offset:32 th:TH_ATOMIC_RETURN scope:SCOPE_SYS
	s_wait_loadcnt 0x0
	v_cmpx_ne_u64_e64 v[2:3], v[10:11]
	s_cbranch_execz .LBB72_12
; %bb.10:
	s_mov_b32 s7, 0
.LBB72_11:                              ; =>This Inner Loop Header: Depth=1
	v_dual_mov_b32 v0, s4 :: v_dual_mov_b32 v1, s5
	s_sleep 1
	global_store_b64 v[4:5], v[2:3], off
	global_wb scope:SCOPE_SYS
	s_wait_storecnt 0x0
	global_atomic_cmpswap_b64 v[0:1], v7, v[0:3], s[2:3] offset:32 th:TH_ATOMIC_RETURN scope:SCOPE_SYS
	s_wait_loadcnt 0x0
	v_cmp_eq_u64_e32 vcc_lo, v[0:1], v[2:3]
	v_dual_mov_b32 v3, v1 :: v_dual_mov_b32 v2, v0
	s_wait_alu 0xfffe
	s_or_b32 s7, vcc_lo, s7
	s_wait_alu 0xfffe
	s_and_not1_b32 exec_lo, exec_lo, s7
	s_cbranch_execnz .LBB72_11
.LBB72_12:
	s_wait_alu 0xfffe
	s_or_b32 exec_lo, exec_lo, s6
	v_mov_b32_e32 v3, 0
	s_mov_b32 s7, exec_lo
	s_mov_b32 s6, exec_lo
	s_wait_alu 0xfffe
	v_mbcnt_lo_u32_b32 v2, s7, 0
	global_load_b64 v[0:1], v3, s[2:3] offset:16
	v_cmpx_eq_u32_e32 0, v2
	s_cbranch_execz .LBB72_14
; %bb.13:
	s_bcnt1_i32_b32 s7, s7
	s_wait_alu 0xfffe
	v_mov_b32_e32 v2, s7
	global_wb scope:SCOPE_SYS
	s_wait_loadcnt 0x0
	s_wait_storecnt 0x0
	global_atomic_add_u64 v[0:1], v[2:3], off offset:8 scope:SCOPE_SYS
.LBB72_14:
	s_or_b32 exec_lo, exec_lo, s6
	s_wait_loadcnt 0x0
	global_load_b64 v[2:3], v[0:1], off offset:16
	s_wait_loadcnt 0x0
	v_cmp_eq_u64_e32 vcc_lo, 0, v[2:3]
	s_cbranch_vccnz .LBB72_16
; %bb.15:
	global_load_b32 v0, v[0:1], off offset:24
	v_mov_b32_e32 v1, 0
	s_wait_loadcnt 0x0
	v_readfirstlane_b32 s6, v0
	global_wb scope:SCOPE_SYS
	s_wait_storecnt 0x0
	global_store_b64 v[2:3], v[0:1], off scope:SCOPE_SYS
	s_and_b32 m0, s6, 0xffffff
	s_sendmsg sendmsg(MSG_INTERRUPT)
.LBB72_16:
	s_wait_alu 0xfffe
	s_or_b32 exec_lo, exec_lo, s1
	s_branch .LBB72_20
.LBB72_17:                              ;   in Loop: Header=BB72_20 Depth=1
	s_wait_alu 0xfffe
	s_or_b32 exec_lo, exec_lo, s1
	s_delay_alu instid0(VALU_DEP_1)
	v_readfirstlane_b32 s1, v0
	s_cmp_eq_u32 s1, 0
	s_cbranch_scc1 .LBB72_19
; %bb.18:                               ;   in Loop: Header=BB72_20 Depth=1
	s_sleep 1
	s_cbranch_execnz .LBB72_20
	s_branch .LBB72_22
.LBB72_19:
	s_branch .LBB72_22
.LBB72_20:                              ; =>This Inner Loop Header: Depth=1
	v_mov_b32_e32 v0, 1
	s_and_saveexec_b32 s1, s0
	s_cbranch_execz .LBB72_17
; %bb.21:                               ;   in Loop: Header=BB72_20 Depth=1
	global_load_b32 v0, v[13:14], off offset:20 scope:SCOPE_SYS
	s_wait_loadcnt 0x0
	global_inv scope:SCOPE_SYS
	v_and_b32_e32 v0, 1, v0
	s_branch .LBB72_17
.LBB72_22:
	s_and_saveexec_b32 s6, s0
	s_cbranch_execz .LBB72_26
; %bb.23:
	v_mov_b32_e32 v6, 0
	s_clause 0x2
	global_load_b64 v[0:1], v6, s[2:3] offset:40
	global_load_b64 v[9:10], v6, s[2:3] offset:24 scope:SCOPE_SYS
	global_load_b64 v[2:3], v6, s[2:3]
	s_wait_loadcnt 0x2
	v_readfirstlane_b32 s8, v0
	v_readfirstlane_b32 s9, v1
	s_add_nc_u64 s[0:1], s[8:9], 1
	s_wait_alu 0xfffe
	s_add_nc_u64 s[4:5], s[0:1], s[4:5]
	s_wait_alu 0xfffe
	s_cmp_eq_u64 s[4:5], 0
	s_cselect_b32 s1, s1, s5
	s_cselect_b32 s0, s0, s4
	s_wait_alu 0xfffe
	v_mov_b32_e32 v8, s1
	s_and_b64 s[4:5], s[0:1], s[8:9]
	v_mov_b32_e32 v7, s0
	s_wait_alu 0xfffe
	s_mul_u64 s[4:5], s[4:5], 24
	s_wait_loadcnt 0x0
	s_wait_alu 0xfffe
	v_add_co_u32 v4, vcc_lo, v2, s4
	s_wait_alu 0xfffd
	v_add_co_ci_u32_e64 v5, null, s5, v3, vcc_lo
	global_store_b64 v[4:5], v[9:10], off
	global_wb scope:SCOPE_SYS
	s_wait_storecnt 0x0
	global_atomic_cmpswap_b64 v[2:3], v6, v[7:10], s[2:3] offset:24 th:TH_ATOMIC_RETURN scope:SCOPE_SYS
	s_wait_loadcnt 0x0
	v_cmp_ne_u64_e32 vcc_lo, v[2:3], v[9:10]
	s_and_b32 exec_lo, exec_lo, vcc_lo
	s_cbranch_execz .LBB72_26
; %bb.24:
	s_mov_b32 s4, 0
.LBB72_25:                              ; =>This Inner Loop Header: Depth=1
	v_dual_mov_b32 v0, s0 :: v_dual_mov_b32 v1, s1
	s_sleep 1
	global_store_b64 v[4:5], v[2:3], off
	global_wb scope:SCOPE_SYS
	s_wait_storecnt 0x0
	global_atomic_cmpswap_b64 v[0:1], v6, v[0:3], s[2:3] offset:24 th:TH_ATOMIC_RETURN scope:SCOPE_SYS
	s_wait_loadcnt 0x0
	v_cmp_eq_u64_e32 vcc_lo, v[0:1], v[2:3]
	v_dual_mov_b32 v3, v1 :: v_dual_mov_b32 v2, v0
	s_wait_alu 0xfffe
	s_or_b32 s4, vcc_lo, s4
	s_wait_alu 0xfffe
	s_and_not1_b32 exec_lo, exec_lo, s4
	s_cbranch_execnz .LBB72_25
.LBB72_26:
	s_wait_alu 0xfffe
	s_or_b32 exec_lo, exec_lo, s6
	s_wait_loadcnt 0x0
	s_wait_kmcnt 0x0
	s_setpc_b64 s[30:31]
.Lfunc_end72:
	.size	__ockl_printf_append_args, .Lfunc_end72-__ockl_printf_append_args
                                        ; -- End function
	.set .L__ockl_printf_append_args.num_vgpr, 18
	.set .L__ockl_printf_append_args.num_agpr, 0
	.set .L__ockl_printf_append_args.numbered_sgpr, 32
	.set .L__ockl_printf_append_args.num_named_barrier, 0
	.set .L__ockl_printf_append_args.private_seg_size, 0
	.set .L__ockl_printf_append_args.uses_vcc, 1
	.set .L__ockl_printf_append_args.uses_flat_scratch, 0
	.set .L__ockl_printf_append_args.has_dyn_sized_stack, 0
	.set .L__ockl_printf_append_args.has_recursion, 0
	.set .L__ockl_printf_append_args.has_indirect_call, 0
	.section	.AMDGPU.csdata,"",@progbits
; Function info:
; codeLenInByte = 1696
; TotalNumSgprs: 34
; NumVgprs: 18
; ScratchSize: 0
; MemoryBound: 0
	.text
	.p2align	2                               ; -- Begin function _ZL14no_device_codePKciS0_iS0_
	.type	_ZL14no_device_codePKciS0_iS0_,@function
_ZL14no_device_codePKciS0_iS0_:         ; @_ZL14no_device_codePKciS0_iS0_
; %bb.0:
	s_wait_loadcnt_dscnt 0x0
	s_wait_expcnt 0x0
	s_wait_samplecnt 0x0
	s_wait_bvhcnt 0x0
	s_wait_kmcnt 0x0
	s_mov_b32 s20, s33
	s_mov_b32 s33, s32
	s_xor_saveexec_b32 s0, -1
	scratch_store_b32 off, v39, s33         ; 4-byte Folded Spill
	s_wait_alu 0xfffe
	s_mov_b32 exec_lo, s0
	v_writelane_b32 v39, s30, 0
	s_add_co_i32 s32, s32, 16
	v_writelane_b32 v39, s31, 1
	s_load_b64 s[2:3], s[8:9], 0x50
	v_mbcnt_lo_u32_b32 v31, -1, 0
	v_mov_b32_e32 v6, 0
	v_mov_b32_e32 v7, 0
	s_delay_alu instid0(VALU_DEP_3) | instskip(SKIP_1) | instid1(VALU_DEP_1)
	v_readfirstlane_b32 s0, v31
	s_wait_alu 0xf1ff
	v_cmp_eq_u32_e64 s0, s0, v31
	s_and_saveexec_b32 s1, s0
	s_cbranch_execz .LBB73_6
; %bb.1:
	v_mov_b32_e32 v0, 0
	s_mov_b32 s4, exec_lo
	s_wait_kmcnt 0x0
	global_load_b64 v[3:4], v0, s[2:3] offset:24 scope:SCOPE_SYS
	s_wait_loadcnt 0x0
	global_inv scope:SCOPE_SYS
	s_clause 0x1
	global_load_b64 v[1:2], v0, s[2:3] offset:40
	global_load_b64 v[5:6], v0, s[2:3]
	s_wait_loadcnt 0x1
	v_and_b32_e32 v2, v2, v4
	v_and_b32_e32 v1, v1, v3
	s_delay_alu instid0(VALU_DEP_2) | instskip(NEXT) | instid1(VALU_DEP_2)
	v_mul_lo_u32 v2, 24, v2
	v_mul_lo_u32 v7, 0, v1
	v_mul_hi_u32 v8, 24, v1
	v_mul_lo_u32 v1, 24, v1
	s_delay_alu instid0(VALU_DEP_3) | instskip(SKIP_1) | instid1(VALU_DEP_2)
	v_add_nc_u32_e32 v2, v2, v7
	s_wait_loadcnt 0x0
	v_add_co_u32 v1, vcc_lo, v5, v1
	s_delay_alu instid0(VALU_DEP_2) | instskip(SKIP_1) | instid1(VALU_DEP_1)
	v_add_nc_u32_e32 v2, v2, v8
	s_wait_alu 0xfffd
	v_add_co_ci_u32_e64 v2, null, v6, v2, vcc_lo
	global_load_b64 v[1:2], v[1:2], off scope:SCOPE_SYS
	s_wait_loadcnt 0x0
	global_atomic_cmpswap_b64 v[6:7], v0, v[1:4], s[2:3] offset:24 th:TH_ATOMIC_RETURN scope:SCOPE_SYS
	s_wait_loadcnt 0x0
	global_inv scope:SCOPE_SYS
	v_cmpx_ne_u64_e64 v[6:7], v[3:4]
	s_cbranch_execz .LBB73_5
; %bb.2:
	s_mov_b32 s5, 0
.LBB73_3:                               ; =>This Inner Loop Header: Depth=1
	s_sleep 1
	s_clause 0x1
	global_load_b64 v[1:2], v0, s[2:3] offset:40
	global_load_b64 v[8:9], v0, s[2:3]
	v_dual_mov_b32 v3, v6 :: v_dual_mov_b32 v4, v7
	s_wait_loadcnt 0x1
	s_delay_alu instid0(VALU_DEP_1) | instskip(NEXT) | instid1(VALU_DEP_2)
	v_and_b32_e32 v1, v1, v3
	v_and_b32_e32 v2, v2, v4
	s_wait_loadcnt 0x0
	s_delay_alu instid0(VALU_DEP_2) | instskip(NEXT) | instid1(VALU_DEP_1)
	v_mad_co_u64_u32 v[5:6], null, v1, 24, v[8:9]
	v_mov_b32_e32 v1, v6
	s_delay_alu instid0(VALU_DEP_1) | instskip(NEXT) | instid1(VALU_DEP_1)
	v_mad_co_u64_u32 v[1:2], null, v2, 24, v[1:2]
	v_mov_b32_e32 v6, v1
	global_load_b64 v[1:2], v[5:6], off scope:SCOPE_SYS
	s_wait_loadcnt 0x0
	global_atomic_cmpswap_b64 v[6:7], v0, v[1:4], s[2:3] offset:24 th:TH_ATOMIC_RETURN scope:SCOPE_SYS
	s_wait_loadcnt 0x0
	global_inv scope:SCOPE_SYS
	v_cmp_eq_u64_e32 vcc_lo, v[6:7], v[3:4]
	s_wait_alu 0xfffe
	s_or_b32 s5, vcc_lo, s5
	s_wait_alu 0xfffe
	s_and_not1_b32 exec_lo, exec_lo, s5
	s_cbranch_execnz .LBB73_3
; %bb.4:
	s_or_b32 exec_lo, exec_lo, s5
.LBB73_5:
	s_wait_alu 0xfffe
	s_or_b32 exec_lo, exec_lo, s4
.LBB73_6:
	s_wait_alu 0xfffe
	s_or_b32 exec_lo, exec_lo, s1
	v_readfirstlane_b32 s4, v6
	v_mov_b32_e32 v5, 0
	v_readfirstlane_b32 s5, v7
	s_mov_b32 s1, exec_lo
	s_wait_kmcnt 0x0
	s_clause 0x1
	global_load_b64 v[8:9], v5, s[2:3] offset:40
	global_load_b128 v[0:3], v5, s[2:3]
	s_wait_loadcnt 0x1
	s_wait_alu 0xf1ff
	v_and_b32_e32 v11, s5, v9
	v_and_b32_e32 v10, s4, v8
	s_delay_alu instid0(VALU_DEP_2) | instskip(NEXT) | instid1(VALU_DEP_2)
	v_mul_lo_u32 v4, 24, v11
	v_mul_lo_u32 v6, 0, v10
	v_mul_hi_u32 v7, 24, v10
	v_mul_lo_u32 v8, 24, v10
	s_delay_alu instid0(VALU_DEP_3) | instskip(SKIP_1) | instid1(VALU_DEP_2)
	v_add_nc_u32_e32 v4, v4, v6
	s_wait_loadcnt 0x0
	v_add_co_u32 v8, vcc_lo, v0, v8
	s_delay_alu instid0(VALU_DEP_2) | instskip(SKIP_1) | instid1(VALU_DEP_1)
	v_add_nc_u32_e32 v4, v4, v7
	s_wait_alu 0xfffd
	v_add_co_ci_u32_e64 v9, null, v1, v4, vcc_lo
	s_and_saveexec_b32 s6, s0
	s_cbranch_execz .LBB73_8
; %bb.7:
	s_wait_alu 0xfffe
	v_dual_mov_b32 v4, s1 :: v_dual_mov_b32 v7, 1
	v_mov_b32_e32 v6, 2
	global_store_b128 v[8:9], v[4:7], off offset:8
.LBB73_8:
	s_wait_alu 0xfffe
	s_or_b32 exec_lo, exec_lo, s6
	v_lshlrev_b64_e32 v[10:11], 12, v[10:11]
	v_dual_mov_b32 v7, v5 :: v_dual_lshlrev_b32 v30, 6, v31
	s_mov_b32 s12, 0
	s_wait_alu 0xfffe
	s_mov_b32 s13, s12
	s_delay_alu instid0(VALU_DEP_2)
	v_add_co_u32 v2, vcc_lo, v2, v10
	s_wait_alu 0xfffd
	v_add_co_ci_u32_e64 v3, null, v3, v11, vcc_lo
	s_mov_b32 s14, s12
	v_add_co_u32 v10, vcc_lo, v2, v30
	s_mov_b32 s15, s12
	v_mov_b32_e32 v4, 33
	v_mov_b32_e32 v6, v5
	v_readfirstlane_b32 s6, v2
	v_readfirstlane_b32 s7, v3
	v_mov_b32_e32 v12, s12
	s_wait_alu 0xfffd
	v_add_co_ci_u32_e64 v11, null, 0, v3, vcc_lo
	s_wait_alu 0xfffe
	v_dual_mov_b32 v13, s13 :: v_dual_mov_b32 v14, s14
	v_mov_b32_e32 v15, s15
	s_clause 0x3
	global_store_b128 v30, v[4:7], s[6:7]
	global_store_b128 v30, v[12:15], s[6:7] offset:16
	global_store_b128 v30, v[12:15], s[6:7] offset:32
	;; [unrolled: 1-line block ×3, first 2 shown]
	s_and_saveexec_b32 s1, s0
	s_cbranch_execz .LBB73_16
; %bb.9:
	v_mov_b32_e32 v6, 0
	s_mov_b32 s6, exec_lo
	s_clause 0x1
	global_load_b64 v[14:15], v6, s[2:3] offset:32 scope:SCOPE_SYS
	global_load_b64 v[2:3], v6, s[2:3] offset:40
	v_dual_mov_b32 v13, s5 :: v_dual_mov_b32 v12, s4
	s_wait_loadcnt 0x0
	v_and_b32_e32 v3, s5, v3
	v_and_b32_e32 v2, s4, v2
	s_delay_alu instid0(VALU_DEP_2) | instskip(NEXT) | instid1(VALU_DEP_2)
	v_mul_lo_u32 v3, 24, v3
	v_mul_lo_u32 v4, 0, v2
	v_mul_hi_u32 v5, 24, v2
	v_mul_lo_u32 v2, 24, v2
	s_delay_alu instid0(VALU_DEP_3) | instskip(NEXT) | instid1(VALU_DEP_2)
	v_add_nc_u32_e32 v3, v3, v4
	v_add_co_u32 v4, vcc_lo, v0, v2
	s_delay_alu instid0(VALU_DEP_2) | instskip(SKIP_1) | instid1(VALU_DEP_1)
	v_add_nc_u32_e32 v3, v3, v5
	s_wait_alu 0xfffd
	v_add_co_ci_u32_e64 v5, null, v1, v3, vcc_lo
	global_store_b64 v[4:5], v[14:15], off
	global_wb scope:SCOPE_SYS
	s_wait_storecnt 0x0
	global_atomic_cmpswap_b64 v[2:3], v6, v[12:15], s[2:3] offset:32 th:TH_ATOMIC_RETURN scope:SCOPE_SYS
	s_wait_loadcnt 0x0
	v_cmpx_ne_u64_e64 v[2:3], v[14:15]
	s_cbranch_execz .LBB73_12
; %bb.10:
	s_mov_b32 s7, 0
.LBB73_11:                              ; =>This Inner Loop Header: Depth=1
	v_dual_mov_b32 v0, s4 :: v_dual_mov_b32 v1, s5
	s_sleep 1
	global_store_b64 v[4:5], v[2:3], off
	global_wb scope:SCOPE_SYS
	s_wait_storecnt 0x0
	global_atomic_cmpswap_b64 v[0:1], v6, v[0:3], s[2:3] offset:32 th:TH_ATOMIC_RETURN scope:SCOPE_SYS
	s_wait_loadcnt 0x0
	v_cmp_eq_u64_e32 vcc_lo, v[0:1], v[2:3]
	v_dual_mov_b32 v3, v1 :: v_dual_mov_b32 v2, v0
	s_wait_alu 0xfffe
	s_or_b32 s7, vcc_lo, s7
	s_wait_alu 0xfffe
	s_and_not1_b32 exec_lo, exec_lo, s7
	s_cbranch_execnz .LBB73_11
.LBB73_12:
	s_wait_alu 0xfffe
	s_or_b32 exec_lo, exec_lo, s6
	v_mov_b32_e32 v3, 0
	s_mov_b32 s7, exec_lo
	s_mov_b32 s6, exec_lo
	s_wait_alu 0xfffe
	v_mbcnt_lo_u32_b32 v2, s7, 0
	global_load_b64 v[0:1], v3, s[2:3] offset:16
	v_cmpx_eq_u32_e32 0, v2
	s_cbranch_execz .LBB73_14
; %bb.13:
	s_bcnt1_i32_b32 s7, s7
	s_wait_alu 0xfffe
	v_mov_b32_e32 v2, s7
	global_wb scope:SCOPE_SYS
	s_wait_loadcnt 0x0
	s_wait_storecnt 0x0
	global_atomic_add_u64 v[0:1], v[2:3], off offset:8 scope:SCOPE_SYS
.LBB73_14:
	s_or_b32 exec_lo, exec_lo, s6
	s_wait_loadcnt 0x0
	global_load_b64 v[2:3], v[0:1], off offset:16
	s_wait_loadcnt 0x0
	v_cmp_eq_u64_e32 vcc_lo, 0, v[2:3]
	s_cbranch_vccnz .LBB73_16
; %bb.15:
	global_load_b32 v0, v[0:1], off offset:24
	v_mov_b32_e32 v1, 0
	s_wait_loadcnt 0x0
	v_readfirstlane_b32 s6, v0
	global_wb scope:SCOPE_SYS
	s_wait_storecnt 0x0
	global_store_b64 v[2:3], v[0:1], off scope:SCOPE_SYS
	s_and_b32 m0, s6, 0xffffff
	s_sendmsg sendmsg(MSG_INTERRUPT)
.LBB73_16:
	s_wait_alu 0xfffe
	s_or_b32 exec_lo, exec_lo, s1
	s_branch .LBB73_20
.LBB73_17:                              ;   in Loop: Header=BB73_20 Depth=1
	s_wait_alu 0xfffe
	s_or_b32 exec_lo, exec_lo, s1
	s_delay_alu instid0(VALU_DEP_1)
	v_readfirstlane_b32 s1, v0
	s_cmp_eq_u32 s1, 0
	s_cbranch_scc1 .LBB73_19
; %bb.18:                               ;   in Loop: Header=BB73_20 Depth=1
	s_sleep 1
	s_cbranch_execnz .LBB73_20
	s_branch .LBB73_22
.LBB73_19:
	s_branch .LBB73_22
.LBB73_20:                              ; =>This Inner Loop Header: Depth=1
	v_mov_b32_e32 v0, 1
	s_and_saveexec_b32 s1, s0
	s_cbranch_execz .LBB73_17
; %bb.21:                               ;   in Loop: Header=BB73_20 Depth=1
	global_load_b32 v0, v[8:9], off offset:20 scope:SCOPE_SYS
	s_wait_loadcnt 0x0
	global_inv scope:SCOPE_SYS
	v_and_b32_e32 v0, 1, v0
	s_branch .LBB73_17
.LBB73_22:
	global_load_b64 v[4:5], v[10:11], off
	s_and_saveexec_b32 s6, s0
	s_cbranch_execz .LBB73_26
; %bb.23:
	v_mov_b32_e32 v8, 0
	s_clause 0x2
	global_load_b64 v[0:1], v8, s[2:3] offset:40
	global_load_b64 v[11:12], v8, s[2:3] offset:24 scope:SCOPE_SYS
	global_load_b64 v[2:3], v8, s[2:3]
	s_wait_loadcnt 0x2
	v_readfirstlane_b32 s10, v0
	v_readfirstlane_b32 s11, v1
	s_add_nc_u64 s[0:1], s[10:11], 1
	s_wait_alu 0xfffe
	s_add_nc_u64 s[4:5], s[0:1], s[4:5]
	s_wait_alu 0xfffe
	s_cmp_eq_u64 s[4:5], 0
	s_cselect_b32 s1, s1, s5
	s_cselect_b32 s0, s0, s4
	s_wait_alu 0xfffe
	v_mov_b32_e32 v10, s1
	s_and_b64 s[4:5], s[0:1], s[10:11]
	v_mov_b32_e32 v9, s0
	s_wait_alu 0xfffe
	s_mul_u64 s[4:5], s[4:5], 24
	s_wait_loadcnt 0x0
	s_wait_alu 0xfffe
	v_add_co_u32 v6, vcc_lo, v2, s4
	s_wait_alu 0xfffd
	v_add_co_ci_u32_e64 v7, null, s5, v3, vcc_lo
	global_store_b64 v[6:7], v[11:12], off
	global_wb scope:SCOPE_SYS
	s_wait_storecnt 0x0
	global_atomic_cmpswap_b64 v[2:3], v8, v[9:12], s[2:3] offset:24 th:TH_ATOMIC_RETURN scope:SCOPE_SYS
	s_wait_loadcnt 0x0
	v_cmp_ne_u64_e32 vcc_lo, v[2:3], v[11:12]
	s_and_b32 exec_lo, exec_lo, vcc_lo
	s_cbranch_execz .LBB73_26
; %bb.24:
	s_mov_b32 s4, 0
.LBB73_25:                              ; =>This Inner Loop Header: Depth=1
	v_dual_mov_b32 v0, s0 :: v_dual_mov_b32 v1, s1
	s_sleep 1
	global_store_b64 v[6:7], v[2:3], off
	global_wb scope:SCOPE_SYS
	s_wait_storecnt 0x0
	global_atomic_cmpswap_b64 v[0:1], v8, v[0:3], s[2:3] offset:24 th:TH_ATOMIC_RETURN scope:SCOPE_SYS
	s_wait_loadcnt 0x0
	v_cmp_eq_u64_e32 vcc_lo, v[0:1], v[2:3]
	v_dual_mov_b32 v3, v1 :: v_dual_mov_b32 v2, v0
	s_wait_alu 0xfffe
	s_or_b32 s4, vcc_lo, s4
	s_wait_alu 0xfffe
	s_and_not1_b32 exec_lo, exec_lo, s4
	s_cbranch_execnz .LBB73_25
.LBB73_26:
	s_wait_alu 0xfffe
	s_or_b32 exec_lo, exec_lo, s6
	s_getpc_b64 s[4:5]
	s_wait_alu 0xfffe
	s_sext_i32_i16 s5, s5
	s_add_co_u32 s4, s4, .str.5@rel32@lo+12
	s_wait_alu 0xfffe
	s_add_co_ci_u32 s5, s5, .str.5@rel32@hi+24
	s_wait_alu 0xfffe
	s_cmp_lg_u64 s[4:5], 0
	s_cbranch_scc0 .LBB73_104
; %bb.27:
	s_wait_loadcnt 0x0
	v_dual_mov_b32 v7, 0 :: v_dual_and_b32 v32, 2, v4
	v_dual_mov_b32 v1, v5 :: v_dual_and_b32 v0, -3, v4
	v_dual_mov_b32 v8, 2 :: v_dual_mov_b32 v9, 1
	s_mov_b64 s[6:7], 0x4d
	s_branch .LBB73_29
.LBB73_28:                              ;   in Loop: Header=BB73_29 Depth=1
	s_wait_alu 0xfffe
	s_or_b32 exec_lo, exec_lo, s14
	s_sub_nc_u64 s[6:7], s[6:7], s[10:11]
	s_add_nc_u64 s[4:5], s[4:5], s[10:11]
	s_wait_alu 0xfffe
	s_cmp_lg_u64 s[6:7], 0
	s_cbranch_scc0 .LBB73_105
.LBB73_29:                              ; =>This Loop Header: Depth=1
                                        ;     Child Loop BB73_32 Depth 2
                                        ;     Child Loop BB73_39 Depth 2
                                        ;     Child Loop BB73_46 Depth 2
                                        ;     Child Loop BB73_53 Depth 2
                                        ;     Child Loop BB73_60 Depth 2
                                        ;     Child Loop BB73_67 Depth 2
                                        ;     Child Loop BB73_74 Depth 2
                                        ;     Child Loop BB73_81 Depth 2
                                        ;     Child Loop BB73_89 Depth 2
                                        ;     Child Loop BB73_98 Depth 2
                                        ;     Child Loop BB73_103 Depth 2
	s_wait_alu 0xfffe
	v_cmp_lt_u64_e64 s0, s[6:7], 56
	v_cmp_gt_u64_e64 s1, s[6:7], 7
	s_and_b32 s0, s0, exec_lo
	s_cselect_b32 s11, s7, 0
	s_cselect_b32 s10, s6, 56
	s_and_b32 vcc_lo, exec_lo, s1
	s_wait_alu 0xfffe
	s_cbranch_vccnz .LBB73_34
; %bb.30:                               ;   in Loop: Header=BB73_29 Depth=1
	v_mov_b32_e32 v2, 0
	v_mov_b32_e32 v3, 0
	s_cmp_eq_u64 s[6:7], 0
	s_cbranch_scc1 .LBB73_33
; %bb.31:                               ;   in Loop: Header=BB73_29 Depth=1
	s_mov_b64 s[0:1], 0
	s_mov_b64 s[12:13], 0
.LBB73_32:                              ;   Parent Loop BB73_29 Depth=1
                                        ; =>  This Inner Loop Header: Depth=2
	s_wait_alu 0xfffe
	s_add_nc_u64 s[14:15], s[4:5], s[12:13]
	s_add_nc_u64 s[12:13], s[12:13], 1
	global_load_u8 v6, v7, s[14:15]
	s_wait_alu 0xfffe
	s_cmp_lg_u32 s10, s12
	s_wait_loadcnt 0x0
	v_and_b32_e32 v6, 0xffff, v6
	s_delay_alu instid0(VALU_DEP_1) | instskip(SKIP_1) | instid1(VALU_DEP_1)
	v_lshlrev_b64_e32 v[10:11], s0, v[6:7]
	s_add_nc_u64 s[0:1], s[0:1], 8
	v_or_b32_e32 v2, v10, v2
	s_delay_alu instid0(VALU_DEP_2)
	v_or_b32_e32 v3, v11, v3
	s_cbranch_scc1 .LBB73_32
.LBB73_33:                              ;   in Loop: Header=BB73_29 Depth=1
	s_mov_b64 s[12:13], s[4:5]
	s_mov_b32 s16, 0
	s_cbranch_execz .LBB73_35
	s_branch .LBB73_36
.LBB73_34:                              ;   in Loop: Header=BB73_29 Depth=1
	s_add_nc_u64 s[12:13], s[4:5], 8
	s_mov_b32 s16, 0
.LBB73_35:                              ;   in Loop: Header=BB73_29 Depth=1
	global_load_b64 v[2:3], v7, s[4:5]
	s_add_co_i32 s16, s10, -8
.LBB73_36:                              ;   in Loop: Header=BB73_29 Depth=1
	s_wait_alu 0xfffe
	s_cmp_gt_u32 s16, 7
	s_cbranch_scc1 .LBB73_41
; %bb.37:                               ;   in Loop: Header=BB73_29 Depth=1
	v_mov_b32_e32 v10, 0
	v_mov_b32_e32 v11, 0
	s_cmp_eq_u32 s16, 0
	s_cbranch_scc1 .LBB73_40
; %bb.38:                               ;   in Loop: Header=BB73_29 Depth=1
	s_mov_b64 s[0:1], 0
	s_mov_b64 s[14:15], 0
.LBB73_39:                              ;   Parent Loop BB73_29 Depth=1
                                        ; =>  This Inner Loop Header: Depth=2
	s_wait_alu 0xfffe
	s_add_nc_u64 s[18:19], s[12:13], s[14:15]
	s_add_nc_u64 s[14:15], s[14:15], 1
	global_load_u8 v6, v7, s[18:19]
	s_wait_alu 0xfffe
	s_cmp_lg_u32 s16, s14
	s_wait_loadcnt 0x0
	v_and_b32_e32 v6, 0xffff, v6
	s_delay_alu instid0(VALU_DEP_1) | instskip(SKIP_1) | instid1(VALU_DEP_1)
	v_lshlrev_b64_e32 v[12:13], s0, v[6:7]
	s_add_nc_u64 s[0:1], s[0:1], 8
	v_or_b32_e32 v10, v12, v10
	s_delay_alu instid0(VALU_DEP_2)
	v_or_b32_e32 v11, v13, v11
	s_cbranch_scc1 .LBB73_39
.LBB73_40:                              ;   in Loop: Header=BB73_29 Depth=1
	s_mov_b64 s[0:1], s[12:13]
	s_mov_b32 s17, 0
	s_cbranch_execz .LBB73_42
	s_branch .LBB73_43
.LBB73_41:                              ;   in Loop: Header=BB73_29 Depth=1
	s_add_nc_u64 s[0:1], s[12:13], 8
                                        ; implicit-def: $vgpr10_vgpr11
	s_mov_b32 s17, 0
.LBB73_42:                              ;   in Loop: Header=BB73_29 Depth=1
	global_load_b64 v[10:11], v7, s[12:13]
	s_add_co_i32 s17, s16, -8
.LBB73_43:                              ;   in Loop: Header=BB73_29 Depth=1
	s_wait_alu 0xfffe
	s_cmp_gt_u32 s17, 7
	s_cbranch_scc1 .LBB73_48
; %bb.44:                               ;   in Loop: Header=BB73_29 Depth=1
	v_mov_b32_e32 v12, 0
	v_mov_b32_e32 v13, 0
	s_cmp_eq_u32 s17, 0
	s_cbranch_scc1 .LBB73_47
; %bb.45:                               ;   in Loop: Header=BB73_29 Depth=1
	s_mov_b64 s[12:13], 0
	s_mov_b64 s[14:15], 0
.LBB73_46:                              ;   Parent Loop BB73_29 Depth=1
                                        ; =>  This Inner Loop Header: Depth=2
	s_wait_alu 0xfffe
	s_add_nc_u64 s[18:19], s[0:1], s[14:15]
	s_add_nc_u64 s[14:15], s[14:15], 1
	global_load_u8 v6, v7, s[18:19]
	s_wait_alu 0xfffe
	s_cmp_lg_u32 s17, s14
	s_wait_loadcnt 0x0
	v_and_b32_e32 v6, 0xffff, v6
	s_delay_alu instid0(VALU_DEP_1) | instskip(SKIP_1) | instid1(VALU_DEP_1)
	v_lshlrev_b64_e32 v[14:15], s12, v[6:7]
	s_add_nc_u64 s[12:13], s[12:13], 8
	v_or_b32_e32 v12, v14, v12
	s_delay_alu instid0(VALU_DEP_2)
	v_or_b32_e32 v13, v15, v13
	s_cbranch_scc1 .LBB73_46
.LBB73_47:                              ;   in Loop: Header=BB73_29 Depth=1
	s_mov_b64 s[12:13], s[0:1]
	s_mov_b32 s16, 0
	s_cbranch_execz .LBB73_49
	s_branch .LBB73_50
.LBB73_48:                              ;   in Loop: Header=BB73_29 Depth=1
	s_add_nc_u64 s[12:13], s[0:1], 8
	s_mov_b32 s16, 0
.LBB73_49:                              ;   in Loop: Header=BB73_29 Depth=1
	global_load_b64 v[12:13], v7, s[0:1]
	s_add_co_i32 s16, s17, -8
.LBB73_50:                              ;   in Loop: Header=BB73_29 Depth=1
	s_wait_alu 0xfffe
	s_cmp_gt_u32 s16, 7
	s_cbranch_scc1 .LBB73_55
; %bb.51:                               ;   in Loop: Header=BB73_29 Depth=1
	v_mov_b32_e32 v14, 0
	v_mov_b32_e32 v15, 0
	s_cmp_eq_u32 s16, 0
	s_cbranch_scc1 .LBB73_54
; %bb.52:                               ;   in Loop: Header=BB73_29 Depth=1
	s_mov_b64 s[0:1], 0
	s_mov_b64 s[14:15], 0
.LBB73_53:                              ;   Parent Loop BB73_29 Depth=1
                                        ; =>  This Inner Loop Header: Depth=2
	s_wait_alu 0xfffe
	s_add_nc_u64 s[18:19], s[12:13], s[14:15]
	s_add_nc_u64 s[14:15], s[14:15], 1
	global_load_u8 v6, v7, s[18:19]
	s_wait_alu 0xfffe
	s_cmp_lg_u32 s16, s14
	s_wait_loadcnt 0x0
	v_and_b32_e32 v6, 0xffff, v6
	s_delay_alu instid0(VALU_DEP_1) | instskip(SKIP_1) | instid1(VALU_DEP_1)
	v_lshlrev_b64_e32 v[16:17], s0, v[6:7]
	s_add_nc_u64 s[0:1], s[0:1], 8
	v_or_b32_e32 v14, v16, v14
	s_delay_alu instid0(VALU_DEP_2)
	v_or_b32_e32 v15, v17, v15
	s_cbranch_scc1 .LBB73_53
.LBB73_54:                              ;   in Loop: Header=BB73_29 Depth=1
	s_mov_b64 s[0:1], s[12:13]
	s_mov_b32 s17, 0
	s_cbranch_execz .LBB73_56
	s_branch .LBB73_57
.LBB73_55:                              ;   in Loop: Header=BB73_29 Depth=1
	s_add_nc_u64 s[0:1], s[12:13], 8
                                        ; implicit-def: $vgpr14_vgpr15
	s_mov_b32 s17, 0
.LBB73_56:                              ;   in Loop: Header=BB73_29 Depth=1
	global_load_b64 v[14:15], v7, s[12:13]
	s_add_co_i32 s17, s16, -8
.LBB73_57:                              ;   in Loop: Header=BB73_29 Depth=1
	s_wait_alu 0xfffe
	s_cmp_gt_u32 s17, 7
	s_cbranch_scc1 .LBB73_62
; %bb.58:                               ;   in Loop: Header=BB73_29 Depth=1
	v_mov_b32_e32 v16, 0
	v_mov_b32_e32 v17, 0
	s_cmp_eq_u32 s17, 0
	s_cbranch_scc1 .LBB73_61
; %bb.59:                               ;   in Loop: Header=BB73_29 Depth=1
	s_mov_b64 s[12:13], 0
	s_mov_b64 s[14:15], 0
.LBB73_60:                              ;   Parent Loop BB73_29 Depth=1
                                        ; =>  This Inner Loop Header: Depth=2
	s_wait_alu 0xfffe
	s_add_nc_u64 s[18:19], s[0:1], s[14:15]
	s_add_nc_u64 s[14:15], s[14:15], 1
	global_load_u8 v6, v7, s[18:19]
	s_wait_alu 0xfffe
	s_cmp_lg_u32 s17, s14
	s_wait_loadcnt 0x0
	v_and_b32_e32 v6, 0xffff, v6
	s_delay_alu instid0(VALU_DEP_1) | instskip(SKIP_1) | instid1(VALU_DEP_1)
	v_lshlrev_b64_e32 v[18:19], s12, v[6:7]
	s_add_nc_u64 s[12:13], s[12:13], 8
	v_or_b32_e32 v16, v18, v16
	s_delay_alu instid0(VALU_DEP_2)
	v_or_b32_e32 v17, v19, v17
	s_cbranch_scc1 .LBB73_60
.LBB73_61:                              ;   in Loop: Header=BB73_29 Depth=1
	s_mov_b64 s[12:13], s[0:1]
	s_mov_b32 s16, 0
	s_cbranch_execz .LBB73_63
	s_branch .LBB73_64
.LBB73_62:                              ;   in Loop: Header=BB73_29 Depth=1
	s_add_nc_u64 s[12:13], s[0:1], 8
	s_mov_b32 s16, 0
.LBB73_63:                              ;   in Loop: Header=BB73_29 Depth=1
	global_load_b64 v[16:17], v7, s[0:1]
	s_add_co_i32 s16, s17, -8
.LBB73_64:                              ;   in Loop: Header=BB73_29 Depth=1
	s_wait_alu 0xfffe
	s_cmp_gt_u32 s16, 7
	s_cbranch_scc1 .LBB73_69
; %bb.65:                               ;   in Loop: Header=BB73_29 Depth=1
	v_mov_b32_e32 v18, 0
	v_mov_b32_e32 v19, 0
	s_cmp_eq_u32 s16, 0
	s_cbranch_scc1 .LBB73_68
; %bb.66:                               ;   in Loop: Header=BB73_29 Depth=1
	s_mov_b64 s[0:1], 0
	s_mov_b64 s[14:15], 0
.LBB73_67:                              ;   Parent Loop BB73_29 Depth=1
                                        ; =>  This Inner Loop Header: Depth=2
	s_wait_alu 0xfffe
	s_add_nc_u64 s[18:19], s[12:13], s[14:15]
	s_add_nc_u64 s[14:15], s[14:15], 1
	global_load_u8 v6, v7, s[18:19]
	s_wait_alu 0xfffe
	s_cmp_lg_u32 s16, s14
	s_wait_loadcnt 0x0
	v_and_b32_e32 v6, 0xffff, v6
	s_delay_alu instid0(VALU_DEP_1) | instskip(SKIP_1) | instid1(VALU_DEP_1)
	v_lshlrev_b64_e32 v[20:21], s0, v[6:7]
	s_add_nc_u64 s[0:1], s[0:1], 8
	v_or_b32_e32 v18, v20, v18
	s_delay_alu instid0(VALU_DEP_2)
	v_or_b32_e32 v19, v21, v19
	s_cbranch_scc1 .LBB73_67
.LBB73_68:                              ;   in Loop: Header=BB73_29 Depth=1
	s_mov_b64 s[0:1], s[12:13]
	s_mov_b32 s17, 0
	s_cbranch_execz .LBB73_70
	s_branch .LBB73_71
.LBB73_69:                              ;   in Loop: Header=BB73_29 Depth=1
	s_add_nc_u64 s[0:1], s[12:13], 8
                                        ; implicit-def: $vgpr18_vgpr19
	s_mov_b32 s17, 0
.LBB73_70:                              ;   in Loop: Header=BB73_29 Depth=1
	global_load_b64 v[18:19], v7, s[12:13]
	s_add_co_i32 s17, s16, -8
.LBB73_71:                              ;   in Loop: Header=BB73_29 Depth=1
	s_wait_alu 0xfffe
	s_cmp_gt_u32 s17, 7
	s_cbranch_scc1 .LBB73_76
; %bb.72:                               ;   in Loop: Header=BB73_29 Depth=1
	v_mov_b32_e32 v20, 0
	v_mov_b32_e32 v21, 0
	s_cmp_eq_u32 s17, 0
	s_cbranch_scc1 .LBB73_75
; %bb.73:                               ;   in Loop: Header=BB73_29 Depth=1
	s_mov_b64 s[12:13], 0
	s_mov_b64 s[14:15], s[0:1]
.LBB73_74:                              ;   Parent Loop BB73_29 Depth=1
                                        ; =>  This Inner Loop Header: Depth=2
	global_load_u8 v6, v7, s[14:15]
	s_add_co_i32 s17, s17, -1
	s_wait_alu 0xfffe
	s_add_nc_u64 s[14:15], s[14:15], 1
	s_cmp_lg_u32 s17, 0
	s_wait_loadcnt 0x0
	v_and_b32_e32 v6, 0xffff, v6
	s_delay_alu instid0(VALU_DEP_1) | instskip(SKIP_1) | instid1(VALU_DEP_1)
	v_lshlrev_b64_e32 v[22:23], s12, v[6:7]
	s_add_nc_u64 s[12:13], s[12:13], 8
	v_or_b32_e32 v20, v22, v20
	s_delay_alu instid0(VALU_DEP_2)
	v_or_b32_e32 v21, v23, v21
	s_cbranch_scc1 .LBB73_74
.LBB73_75:                              ;   in Loop: Header=BB73_29 Depth=1
	s_cbranch_execz .LBB73_77
	s_branch .LBB73_78
.LBB73_76:                              ;   in Loop: Header=BB73_29 Depth=1
.LBB73_77:                              ;   in Loop: Header=BB73_29 Depth=1
	global_load_b64 v[20:21], v7, s[0:1]
.LBB73_78:                              ;   in Loop: Header=BB73_29 Depth=1
	v_readfirstlane_b32 s0, v31
	v_mov_b32_e32 v26, 0
	v_mov_b32_e32 v27, 0
	s_wait_alu 0xf1ff
	s_delay_alu instid0(VALU_DEP_3)
	v_cmp_eq_u32_e64 s0, s0, v31
	s_and_saveexec_b32 s1, s0
	s_cbranch_execz .LBB73_84
; %bb.79:                               ;   in Loop: Header=BB73_29 Depth=1
	global_load_b64 v[24:25], v7, s[2:3] offset:24 scope:SCOPE_SYS
	s_wait_loadcnt 0x0
	global_inv scope:SCOPE_SYS
	s_clause 0x1
	global_load_b64 v[22:23], v7, s[2:3] offset:40
	global_load_b64 v[26:27], v7, s[2:3]
	s_mov_b32 s12, exec_lo
	s_wait_loadcnt 0x1
	v_and_b32_e32 v6, v23, v25
	v_and_b32_e32 v22, v22, v24
	s_delay_alu instid0(VALU_DEP_2) | instskip(NEXT) | instid1(VALU_DEP_2)
	v_mul_lo_u32 v6, 24, v6
	v_mul_lo_u32 v23, 0, v22
	v_mul_hi_u32 v28, 24, v22
	v_mul_lo_u32 v22, 24, v22
	s_delay_alu instid0(VALU_DEP_3) | instskip(SKIP_1) | instid1(VALU_DEP_2)
	v_add_nc_u32_e32 v6, v6, v23
	s_wait_loadcnt 0x0
	v_add_co_u32 v22, vcc_lo, v26, v22
	s_delay_alu instid0(VALU_DEP_2) | instskip(SKIP_1) | instid1(VALU_DEP_1)
	v_add_nc_u32_e32 v6, v6, v28
	s_wait_alu 0xfffd
	v_add_co_ci_u32_e64 v23, null, v27, v6, vcc_lo
	global_load_b64 v[22:23], v[22:23], off scope:SCOPE_SYS
	s_wait_loadcnt 0x0
	global_atomic_cmpswap_b64 v[26:27], v7, v[22:25], s[2:3] offset:24 th:TH_ATOMIC_RETURN scope:SCOPE_SYS
	s_wait_loadcnt 0x0
	global_inv scope:SCOPE_SYS
	v_cmpx_ne_u64_e64 v[26:27], v[24:25]
	s_cbranch_execz .LBB73_83
; %bb.80:                               ;   in Loop: Header=BB73_29 Depth=1
	s_mov_b32 s13, 0
.LBB73_81:                              ;   Parent Loop BB73_29 Depth=1
                                        ; =>  This Inner Loop Header: Depth=2
	s_sleep 1
	s_clause 0x1
	global_load_b64 v[22:23], v7, s[2:3] offset:40
	global_load_b64 v[28:29], v7, s[2:3]
	v_dual_mov_b32 v24, v26 :: v_dual_mov_b32 v25, v27
	s_wait_loadcnt 0x1
	s_delay_alu instid0(VALU_DEP_1) | instskip(NEXT) | instid1(VALU_DEP_2)
	v_and_b32_e32 v6, v22, v24
	v_and_b32_e32 v22, v23, v25
	s_wait_loadcnt 0x0
	s_delay_alu instid0(VALU_DEP_2) | instskip(NEXT) | instid1(VALU_DEP_1)
	v_mad_co_u64_u32 v[26:27], null, v6, 24, v[28:29]
	v_mov_b32_e32 v6, v27
	s_delay_alu instid0(VALU_DEP_1) | instskip(NEXT) | instid1(VALU_DEP_1)
	v_mad_co_u64_u32 v[22:23], null, v22, 24, v[6:7]
	v_mov_b32_e32 v27, v22
	global_load_b64 v[22:23], v[26:27], off scope:SCOPE_SYS
	s_wait_loadcnt 0x0
	global_atomic_cmpswap_b64 v[26:27], v7, v[22:25], s[2:3] offset:24 th:TH_ATOMIC_RETURN scope:SCOPE_SYS
	s_wait_loadcnt 0x0
	global_inv scope:SCOPE_SYS
	v_cmp_eq_u64_e32 vcc_lo, v[26:27], v[24:25]
	s_wait_alu 0xfffe
	s_or_b32 s13, vcc_lo, s13
	s_wait_alu 0xfffe
	s_and_not1_b32 exec_lo, exec_lo, s13
	s_cbranch_execnz .LBB73_81
; %bb.82:                               ;   in Loop: Header=BB73_29 Depth=1
	s_or_b32 exec_lo, exec_lo, s13
.LBB73_83:                              ;   in Loop: Header=BB73_29 Depth=1
	s_wait_alu 0xfffe
	s_or_b32 exec_lo, exec_lo, s12
.LBB73_84:                              ;   in Loop: Header=BB73_29 Depth=1
	s_wait_alu 0xfffe
	s_or_b32 exec_lo, exec_lo, s1
	s_clause 0x1
	global_load_b64 v[28:29], v7, s[2:3] offset:40
	global_load_b128 v[22:25], v7, s[2:3]
	v_readfirstlane_b32 s13, v27
	v_readfirstlane_b32 s12, v26
	s_mov_b32 s1, exec_lo
	s_wait_loadcnt 0x1
	s_wait_alu 0xf1ff
	v_and_b32_e32 v29, s13, v29
	v_and_b32_e32 v28, s12, v28
	s_delay_alu instid0(VALU_DEP_2) | instskip(NEXT) | instid1(VALU_DEP_2)
	v_mul_lo_u32 v6, 24, v29
	v_mul_lo_u32 v26, 0, v28
	v_mul_hi_u32 v27, 24, v28
	v_mul_lo_u32 v33, 24, v28
	s_delay_alu instid0(VALU_DEP_3) | instskip(SKIP_1) | instid1(VALU_DEP_2)
	v_add_nc_u32_e32 v6, v6, v26
	s_wait_loadcnt 0x0
	v_add_co_u32 v26, vcc_lo, v22, v33
	s_delay_alu instid0(VALU_DEP_2) | instskip(SKIP_1) | instid1(VALU_DEP_1)
	v_add_nc_u32_e32 v6, v6, v27
	s_wait_alu 0xfffd
	v_add_co_ci_u32_e64 v27, null, v23, v6, vcc_lo
	s_and_saveexec_b32 s14, s0
	s_cbranch_execz .LBB73_86
; %bb.85:                               ;   in Loop: Header=BB73_29 Depth=1
	s_wait_alu 0xfffe
	v_mov_b32_e32 v6, s1
	global_store_b128 v[26:27], v[6:9], off offset:8
.LBB73_86:                              ;   in Loop: Header=BB73_29 Depth=1
	s_wait_alu 0xfffe
	s_or_b32 exec_lo, exec_lo, s14
	v_cmp_lt_u64_e64 vcc_lo, s[6:7], 57
	v_lshlrev_b64_e32 v[28:29], 12, v[28:29]
	v_and_b32_e32 v0, 0xffffff1f, v0
	s_lshl_b32 s1, s10, 2
	s_wait_alu 0xfffe
	s_add_co_i32 s1, s1, 28
	s_wait_alu 0xfffd
	v_cndmask_b32_e32 v6, 0, v32, vcc_lo
	v_add_co_u32 v24, vcc_lo, v24, v28
	s_wait_alu 0xfffd
	v_add_co_ci_u32_e64 v25, null, v25, v29, vcc_lo
	s_delay_alu instid0(VALU_DEP_3) | instskip(NEXT) | instid1(VALU_DEP_3)
	v_or_b32_e32 v0, v0, v6
	v_readfirstlane_b32 s14, v24
	s_delay_alu instid0(VALU_DEP_3) | instskip(SKIP_1) | instid1(VALU_DEP_3)
	v_readfirstlane_b32 s15, v25
	s_wait_alu 0xfffe
	v_and_or_b32 v0, 0x1e0, s1, v0
	s_clause 0x3
	global_store_b128 v30, v[0:3], s[14:15]
	global_store_b128 v30, v[10:13], s[14:15] offset:16
	global_store_b128 v30, v[14:17], s[14:15] offset:32
	;; [unrolled: 1-line block ×3, first 2 shown]
	s_and_saveexec_b32 s1, s0
	s_cbranch_execz .LBB73_94
; %bb.87:                               ;   in Loop: Header=BB73_29 Depth=1
	s_clause 0x1
	global_load_b64 v[14:15], v7, s[2:3] offset:32 scope:SCOPE_SYS
	global_load_b64 v[0:1], v7, s[2:3] offset:40
	s_mov_b32 s14, exec_lo
	v_dual_mov_b32 v12, s12 :: v_dual_mov_b32 v13, s13
	s_wait_loadcnt 0x0
	v_and_b32_e32 v0, s12, v0
	v_and_b32_e32 v1, s13, v1
	s_delay_alu instid0(VALU_DEP_2) | instskip(NEXT) | instid1(VALU_DEP_2)
	v_mul_lo_u32 v2, 0, v0
	v_mul_lo_u32 v1, 24, v1
	v_mul_hi_u32 v3, 24, v0
	v_mul_lo_u32 v0, 24, v0
	s_delay_alu instid0(VALU_DEP_3) | instskip(NEXT) | instid1(VALU_DEP_2)
	v_add_nc_u32_e32 v1, v1, v2
	v_add_co_u32 v10, vcc_lo, v22, v0
	s_delay_alu instid0(VALU_DEP_2) | instskip(SKIP_1) | instid1(VALU_DEP_1)
	v_add_nc_u32_e32 v1, v1, v3
	s_wait_alu 0xfffd
	v_add_co_ci_u32_e64 v11, null, v23, v1, vcc_lo
	global_store_b64 v[10:11], v[14:15], off
	global_wb scope:SCOPE_SYS
	s_wait_storecnt 0x0
	global_atomic_cmpswap_b64 v[2:3], v7, v[12:15], s[2:3] offset:32 th:TH_ATOMIC_RETURN scope:SCOPE_SYS
	s_wait_loadcnt 0x0
	v_cmpx_ne_u64_e64 v[2:3], v[14:15]
	s_cbranch_execz .LBB73_90
; %bb.88:                               ;   in Loop: Header=BB73_29 Depth=1
	s_mov_b32 s15, 0
.LBB73_89:                              ;   Parent Loop BB73_29 Depth=1
                                        ; =>  This Inner Loop Header: Depth=2
	v_dual_mov_b32 v0, s12 :: v_dual_mov_b32 v1, s13
	s_sleep 1
	global_store_b64 v[10:11], v[2:3], off
	global_wb scope:SCOPE_SYS
	s_wait_storecnt 0x0
	global_atomic_cmpswap_b64 v[0:1], v7, v[0:3], s[2:3] offset:32 th:TH_ATOMIC_RETURN scope:SCOPE_SYS
	s_wait_loadcnt 0x0
	v_cmp_eq_u64_e32 vcc_lo, v[0:1], v[2:3]
	v_dual_mov_b32 v3, v1 :: v_dual_mov_b32 v2, v0
	s_wait_alu 0xfffe
	s_or_b32 s15, vcc_lo, s15
	s_wait_alu 0xfffe
	s_and_not1_b32 exec_lo, exec_lo, s15
	s_cbranch_execnz .LBB73_89
.LBB73_90:                              ;   in Loop: Header=BB73_29 Depth=1
	s_wait_alu 0xfffe
	s_or_b32 exec_lo, exec_lo, s14
	global_load_b64 v[0:1], v7, s[2:3] offset:16
	s_mov_b32 s15, exec_lo
	s_mov_b32 s14, exec_lo
	s_wait_alu 0xfffe
	v_mbcnt_lo_u32_b32 v2, s15, 0
	s_delay_alu instid0(VALU_DEP_1)
	v_cmpx_eq_u32_e32 0, v2
	s_cbranch_execz .LBB73_92
; %bb.91:                               ;   in Loop: Header=BB73_29 Depth=1
	s_bcnt1_i32_b32 s15, s15
	s_wait_alu 0xfffe
	v_mov_b32_e32 v6, s15
	global_wb scope:SCOPE_SYS
	s_wait_loadcnt 0x0
	s_wait_storecnt 0x0
	global_atomic_add_u64 v[0:1], v[6:7], off offset:8 scope:SCOPE_SYS
.LBB73_92:                              ;   in Loop: Header=BB73_29 Depth=1
	s_or_b32 exec_lo, exec_lo, s14
	s_wait_loadcnt 0x0
	global_load_b64 v[2:3], v[0:1], off offset:16
	s_wait_loadcnt 0x0
	v_cmp_eq_u64_e32 vcc_lo, 0, v[2:3]
	s_cbranch_vccnz .LBB73_94
; %bb.93:                               ;   in Loop: Header=BB73_29 Depth=1
	global_load_b32 v6, v[0:1], off offset:24
	s_wait_loadcnt 0x0
	v_readfirstlane_b32 s14, v6
	global_wb scope:SCOPE_SYS
	s_wait_storecnt 0x0
	global_store_b64 v[2:3], v[6:7], off scope:SCOPE_SYS
	s_and_b32 m0, s14, 0xffffff
	s_sendmsg sendmsg(MSG_INTERRUPT)
.LBB73_94:                              ;   in Loop: Header=BB73_29 Depth=1
	s_wait_alu 0xfffe
	s_or_b32 exec_lo, exec_lo, s1
	v_add_co_u32 v0, vcc_lo, v24, v30
	s_wait_alu 0xfffd
	v_add_co_ci_u32_e64 v1, null, 0, v25, vcc_lo
	s_branch .LBB73_98
.LBB73_95:                              ;   in Loop: Header=BB73_98 Depth=2
	s_wait_alu 0xfffe
	s_or_b32 exec_lo, exec_lo, s1
	s_delay_alu instid0(VALU_DEP_1)
	v_readfirstlane_b32 s1, v2
	s_cmp_eq_u32 s1, 0
	s_cbranch_scc1 .LBB73_97
; %bb.96:                               ;   in Loop: Header=BB73_98 Depth=2
	s_sleep 1
	s_cbranch_execnz .LBB73_98
	s_branch .LBB73_100
.LBB73_97:                              ;   in Loop: Header=BB73_29 Depth=1
	s_branch .LBB73_100
.LBB73_98:                              ;   Parent Loop BB73_29 Depth=1
                                        ; =>  This Inner Loop Header: Depth=2
	v_mov_b32_e32 v2, 1
	s_and_saveexec_b32 s1, s0
	s_cbranch_execz .LBB73_95
; %bb.99:                               ;   in Loop: Header=BB73_98 Depth=2
	global_load_b32 v2, v[26:27], off offset:20 scope:SCOPE_SYS
	s_wait_loadcnt 0x0
	global_inv scope:SCOPE_SYS
	v_and_b32_e32 v2, 1, v2
	s_branch .LBB73_95
.LBB73_100:                             ;   in Loop: Header=BB73_29 Depth=1
	global_load_b64 v[0:1], v[0:1], off
	s_and_saveexec_b32 s14, s0
	s_cbranch_execz .LBB73_28
; %bb.101:                              ;   in Loop: Header=BB73_29 Depth=1
	s_clause 0x2
	global_load_b64 v[2:3], v7, s[2:3] offset:40
	global_load_b64 v[14:15], v7, s[2:3] offset:24 scope:SCOPE_SYS
	global_load_b64 v[10:11], v7, s[2:3]
	s_wait_loadcnt 0x2
	v_readfirstlane_b32 s16, v2
	v_readfirstlane_b32 s17, v3
	s_add_nc_u64 s[0:1], s[16:17], 1
	s_wait_alu 0xfffe
	s_add_nc_u64 s[12:13], s[0:1], s[12:13]
	s_wait_alu 0xfffe
	s_cmp_eq_u64 s[12:13], 0
	s_cselect_b32 s1, s1, s13
	s_cselect_b32 s0, s0, s12
	s_wait_alu 0xfffe
	v_dual_mov_b32 v13, s1 :: v_dual_mov_b32 v12, s0
	s_and_b64 s[12:13], s[0:1], s[16:17]
	s_wait_alu 0xfffe
	s_mul_u64 s[12:13], s[12:13], 24
	s_wait_loadcnt 0x0
	s_wait_alu 0xfffe
	v_add_co_u32 v2, vcc_lo, v10, s12
	s_wait_alu 0xfffd
	v_add_co_ci_u32_e64 v3, null, s13, v11, vcc_lo
	global_store_b64 v[2:3], v[14:15], off
	global_wb scope:SCOPE_SYS
	s_wait_storecnt 0x0
	global_atomic_cmpswap_b64 v[12:13], v7, v[12:15], s[2:3] offset:24 th:TH_ATOMIC_RETURN scope:SCOPE_SYS
	s_wait_loadcnt 0x0
	v_cmp_ne_u64_e32 vcc_lo, v[12:13], v[14:15]
	s_and_b32 exec_lo, exec_lo, vcc_lo
	s_cbranch_execz .LBB73_28
; %bb.102:                              ;   in Loop: Header=BB73_29 Depth=1
	s_mov_b32 s12, 0
.LBB73_103:                             ;   Parent Loop BB73_29 Depth=1
                                        ; =>  This Inner Loop Header: Depth=2
	v_dual_mov_b32 v10, s0 :: v_dual_mov_b32 v11, s1
	s_sleep 1
	global_store_b64 v[2:3], v[12:13], off
	global_wb scope:SCOPE_SYS
	s_wait_storecnt 0x0
	global_atomic_cmpswap_b64 v[10:11], v7, v[10:13], s[2:3] offset:24 th:TH_ATOMIC_RETURN scope:SCOPE_SYS
	s_wait_loadcnt 0x0
	v_cmp_eq_u64_e32 vcc_lo, v[10:11], v[12:13]
	v_dual_mov_b32 v13, v11 :: v_dual_mov_b32 v12, v10
	s_wait_alu 0xfffe
	s_or_b32 s12, vcc_lo, s12
	s_wait_alu 0xfffe
	s_and_not1_b32 exec_lo, exec_lo, s12
	s_cbranch_execnz .LBB73_103
	s_branch .LBB73_28
.LBB73_104:
                                        ; implicit-def: $vgpr0_vgpr1
	s_cbranch_execnz .LBB73_106
	s_branch .LBB73_133
.LBB73_105:
	s_branch .LBB73_133
.LBB73_106:
	v_readfirstlane_b32 s0, v31
	v_mov_b32_e32 v7, 0
	v_mov_b32_e32 v8, 0
	s_wait_alu 0xf1ff
	s_delay_alu instid0(VALU_DEP_3)
	v_cmp_eq_u32_e64 s0, s0, v31
	s_and_saveexec_b32 s1, s0
	s_cbranch_execz .LBB73_112
; %bb.107:
	s_wait_loadcnt 0x0
	v_mov_b32_e32 v0, 0
	s_mov_b32 s4, exec_lo
	global_load_b64 v[9:10], v0, s[2:3] offset:24 scope:SCOPE_SYS
	s_wait_loadcnt 0x0
	global_inv scope:SCOPE_SYS
	s_clause 0x1
	global_load_b64 v[1:2], v0, s[2:3] offset:40
	global_load_b64 v[6:7], v0, s[2:3]
	s_wait_loadcnt 0x1
	v_and_b32_e32 v2, v2, v10
	v_and_b32_e32 v1, v1, v9
	s_delay_alu instid0(VALU_DEP_2) | instskip(NEXT) | instid1(VALU_DEP_2)
	v_mul_lo_u32 v2, 24, v2
	v_mul_lo_u32 v3, 0, v1
	v_mul_hi_u32 v8, 24, v1
	v_mul_lo_u32 v1, 24, v1
	s_delay_alu instid0(VALU_DEP_3) | instskip(SKIP_1) | instid1(VALU_DEP_2)
	v_add_nc_u32_e32 v2, v2, v3
	s_wait_loadcnt 0x0
	v_add_co_u32 v1, vcc_lo, v6, v1
	s_delay_alu instid0(VALU_DEP_2) | instskip(SKIP_1) | instid1(VALU_DEP_1)
	v_add_nc_u32_e32 v2, v2, v8
	s_wait_alu 0xfffd
	v_add_co_ci_u32_e64 v2, null, v7, v2, vcc_lo
	global_load_b64 v[7:8], v[1:2], off scope:SCOPE_SYS
	s_wait_loadcnt 0x0
	global_atomic_cmpswap_b64 v[7:8], v0, v[7:10], s[2:3] offset:24 th:TH_ATOMIC_RETURN scope:SCOPE_SYS
	s_wait_loadcnt 0x0
	global_inv scope:SCOPE_SYS
	v_cmpx_ne_u64_e64 v[7:8], v[9:10]
	s_cbranch_execz .LBB73_111
; %bb.108:
	s_mov_b32 s5, 0
.LBB73_109:                             ; =>This Inner Loop Header: Depth=1
	s_sleep 1
	s_clause 0x1
	global_load_b64 v[1:2], v0, s[2:3] offset:40
	global_load_b64 v[11:12], v0, s[2:3]
	v_dual_mov_b32 v10, v8 :: v_dual_mov_b32 v9, v7
	s_wait_loadcnt 0x1
	s_delay_alu instid0(VALU_DEP_1) | instskip(SKIP_1) | instid1(VALU_DEP_1)
	v_and_b32_e32 v1, v1, v9
	s_wait_loadcnt 0x0
	v_mad_co_u64_u32 v[6:7], null, v1, 24, v[11:12]
	s_delay_alu instid0(VALU_DEP_1) | instskip(NEXT) | instid1(VALU_DEP_1)
	v_dual_mov_b32 v1, v7 :: v_dual_and_b32 v2, v2, v10
	v_mad_co_u64_u32 v[1:2], null, v2, 24, v[1:2]
	s_delay_alu instid0(VALU_DEP_1)
	v_mov_b32_e32 v7, v1
	global_load_b64 v[7:8], v[6:7], off scope:SCOPE_SYS
	s_wait_loadcnt 0x0
	global_atomic_cmpswap_b64 v[7:8], v0, v[7:10], s[2:3] offset:24 th:TH_ATOMIC_RETURN scope:SCOPE_SYS
	s_wait_loadcnt 0x0
	global_inv scope:SCOPE_SYS
	v_cmp_eq_u64_e32 vcc_lo, v[7:8], v[9:10]
	s_wait_alu 0xfffe
	s_or_b32 s5, vcc_lo, s5
	s_wait_alu 0xfffe
	s_and_not1_b32 exec_lo, exec_lo, s5
	s_cbranch_execnz .LBB73_109
; %bb.110:
	s_or_b32 exec_lo, exec_lo, s5
.LBB73_111:
	s_wait_alu 0xfffe
	s_or_b32 exec_lo, exec_lo, s4
.LBB73_112:
	s_wait_alu 0xfffe
	s_or_b32 exec_lo, exec_lo, s1
	v_readfirstlane_b32 s5, v8
	v_mov_b32_e32 v6, 0
	v_readfirstlane_b32 s4, v7
	s_mov_b32 s1, exec_lo
	global_load_b64 v[9:10], v6, s[2:3] offset:40
	s_wait_loadcnt 0x1
	global_load_b128 v[0:3], v6, s[2:3]
	s_wait_loadcnt 0x1
	s_wait_alu 0xf1ff
	v_and_b32_e32 v11, s5, v10
	v_and_b32_e32 v10, s4, v9
	s_delay_alu instid0(VALU_DEP_2) | instskip(NEXT) | instid1(VALU_DEP_2)
	v_mul_lo_u32 v7, 24, v11
	v_mul_lo_u32 v8, 0, v10
	v_mul_hi_u32 v9, 24, v10
	v_mul_lo_u32 v12, 24, v10
	s_delay_alu instid0(VALU_DEP_3) | instskip(SKIP_1) | instid1(VALU_DEP_2)
	v_add_nc_u32_e32 v7, v7, v8
	s_wait_loadcnt 0x0
	v_add_co_u32 v8, vcc_lo, v0, v12
	s_delay_alu instid0(VALU_DEP_2) | instskip(SKIP_1) | instid1(VALU_DEP_1)
	v_add_nc_u32_e32 v7, v7, v9
	s_wait_alu 0xfffd
	v_add_co_ci_u32_e64 v9, null, v1, v7, vcc_lo
	s_and_saveexec_b32 s6, s0
	s_cbranch_execz .LBB73_114
; %bb.113:
	s_wait_alu 0xfffe
	v_dual_mov_b32 v12, s1 :: v_dual_mov_b32 v13, v6
	v_dual_mov_b32 v14, 2 :: v_dual_mov_b32 v15, 1
	global_store_b128 v[8:9], v[12:15], off offset:8
.LBB73_114:
	s_wait_alu 0xfffe
	s_or_b32 exec_lo, exec_lo, s6
	v_lshlrev_b64_e32 v[10:11], 12, v[10:11]
	s_mov_b32 s12, 0
	v_and_or_b32 v4, 0xffffff1f, v4, 32
	s_wait_alu 0xfffe
	s_mov_b32 s13, s12
	s_mov_b32 s14, s12
	;; [unrolled: 1-line block ×3, first 2 shown]
	v_add_co_u32 v2, vcc_lo, v2, v10
	s_wait_alu 0xfffd
	v_add_co_ci_u32_e64 v3, null, v3, v11, vcc_lo
	v_dual_mov_b32 v7, v6 :: v_dual_mov_b32 v12, s12
	s_delay_alu instid0(VALU_DEP_3) | instskip(SKIP_1) | instid1(VALU_DEP_4)
	v_add_co_u32 v10, vcc_lo, v2, v30
	v_readfirstlane_b32 s6, v2
	v_readfirstlane_b32 s7, v3
	s_wait_alu 0xfffd
	v_add_co_ci_u32_e64 v11, null, 0, v3, vcc_lo
	s_wait_alu 0xfffe
	v_dual_mov_b32 v13, s13 :: v_dual_mov_b32 v14, s14
	v_mov_b32_e32 v15, s15
	s_clause 0x3
	global_store_b128 v30, v[4:7], s[6:7]
	global_store_b128 v30, v[12:15], s[6:7] offset:16
	global_store_b128 v30, v[12:15], s[6:7] offset:32
	;; [unrolled: 1-line block ×3, first 2 shown]
	s_and_saveexec_b32 s1, s0
	s_cbranch_execz .LBB73_122
; %bb.115:
	v_mov_b32_e32 v6, 0
	s_mov_b32 s6, exec_lo
	s_clause 0x1
	global_load_b64 v[14:15], v6, s[2:3] offset:32 scope:SCOPE_SYS
	global_load_b64 v[2:3], v6, s[2:3] offset:40
	v_dual_mov_b32 v13, s5 :: v_dual_mov_b32 v12, s4
	s_wait_loadcnt 0x0
	v_and_b32_e32 v3, s5, v3
	v_and_b32_e32 v2, s4, v2
	s_delay_alu instid0(VALU_DEP_2) | instskip(NEXT) | instid1(VALU_DEP_2)
	v_mul_lo_u32 v3, 24, v3
	v_mul_lo_u32 v4, 0, v2
	v_mul_hi_u32 v5, 24, v2
	v_mul_lo_u32 v2, 24, v2
	s_delay_alu instid0(VALU_DEP_3) | instskip(NEXT) | instid1(VALU_DEP_2)
	v_add_nc_u32_e32 v3, v3, v4
	v_add_co_u32 v4, vcc_lo, v0, v2
	s_delay_alu instid0(VALU_DEP_2) | instskip(SKIP_1) | instid1(VALU_DEP_1)
	v_add_nc_u32_e32 v3, v3, v5
	s_wait_alu 0xfffd
	v_add_co_ci_u32_e64 v5, null, v1, v3, vcc_lo
	global_store_b64 v[4:5], v[14:15], off
	global_wb scope:SCOPE_SYS
	s_wait_storecnt 0x0
	global_atomic_cmpswap_b64 v[2:3], v6, v[12:15], s[2:3] offset:32 th:TH_ATOMIC_RETURN scope:SCOPE_SYS
	s_wait_loadcnt 0x0
	v_cmpx_ne_u64_e64 v[2:3], v[14:15]
	s_cbranch_execz .LBB73_118
; %bb.116:
	s_mov_b32 s7, 0
.LBB73_117:                             ; =>This Inner Loop Header: Depth=1
	v_dual_mov_b32 v0, s4 :: v_dual_mov_b32 v1, s5
	s_sleep 1
	global_store_b64 v[4:5], v[2:3], off
	global_wb scope:SCOPE_SYS
	s_wait_storecnt 0x0
	global_atomic_cmpswap_b64 v[0:1], v6, v[0:3], s[2:3] offset:32 th:TH_ATOMIC_RETURN scope:SCOPE_SYS
	s_wait_loadcnt 0x0
	v_cmp_eq_u64_e32 vcc_lo, v[0:1], v[2:3]
	v_dual_mov_b32 v3, v1 :: v_dual_mov_b32 v2, v0
	s_wait_alu 0xfffe
	s_or_b32 s7, vcc_lo, s7
	s_wait_alu 0xfffe
	s_and_not1_b32 exec_lo, exec_lo, s7
	s_cbranch_execnz .LBB73_117
.LBB73_118:
	s_wait_alu 0xfffe
	s_or_b32 exec_lo, exec_lo, s6
	v_mov_b32_e32 v3, 0
	s_mov_b32 s7, exec_lo
	s_mov_b32 s6, exec_lo
	s_wait_alu 0xfffe
	v_mbcnt_lo_u32_b32 v2, s7, 0
	global_load_b64 v[0:1], v3, s[2:3] offset:16
	v_cmpx_eq_u32_e32 0, v2
	s_cbranch_execz .LBB73_120
; %bb.119:
	s_bcnt1_i32_b32 s7, s7
	s_wait_alu 0xfffe
	v_mov_b32_e32 v2, s7
	global_wb scope:SCOPE_SYS
	s_wait_loadcnt 0x0
	s_wait_storecnt 0x0
	global_atomic_add_u64 v[0:1], v[2:3], off offset:8 scope:SCOPE_SYS
.LBB73_120:
	s_or_b32 exec_lo, exec_lo, s6
	s_wait_loadcnt 0x0
	global_load_b64 v[2:3], v[0:1], off offset:16
	s_wait_loadcnt 0x0
	v_cmp_eq_u64_e32 vcc_lo, 0, v[2:3]
	s_cbranch_vccnz .LBB73_122
; %bb.121:
	global_load_b32 v0, v[0:1], off offset:24
	v_mov_b32_e32 v1, 0
	s_wait_loadcnt 0x0
	v_readfirstlane_b32 s6, v0
	global_wb scope:SCOPE_SYS
	s_wait_storecnt 0x0
	global_store_b64 v[2:3], v[0:1], off scope:SCOPE_SYS
	s_and_b32 m0, s6, 0xffffff
	s_sendmsg sendmsg(MSG_INTERRUPT)
.LBB73_122:
	s_wait_alu 0xfffe
	s_or_b32 exec_lo, exec_lo, s1
	s_branch .LBB73_126
.LBB73_123:                             ;   in Loop: Header=BB73_126 Depth=1
	s_wait_alu 0xfffe
	s_or_b32 exec_lo, exec_lo, s1
	s_delay_alu instid0(VALU_DEP_1)
	v_readfirstlane_b32 s1, v0
	s_cmp_eq_u32 s1, 0
	s_cbranch_scc1 .LBB73_125
; %bb.124:                              ;   in Loop: Header=BB73_126 Depth=1
	s_sleep 1
	s_cbranch_execnz .LBB73_126
	s_branch .LBB73_128
.LBB73_125:
	s_branch .LBB73_128
.LBB73_126:                             ; =>This Inner Loop Header: Depth=1
	v_mov_b32_e32 v0, 1
	s_and_saveexec_b32 s1, s0
	s_cbranch_execz .LBB73_123
; %bb.127:                              ;   in Loop: Header=BB73_126 Depth=1
	global_load_b32 v0, v[8:9], off offset:20 scope:SCOPE_SYS
	s_wait_loadcnt 0x0
	global_inv scope:SCOPE_SYS
	v_and_b32_e32 v0, 1, v0
	s_branch .LBB73_123
.LBB73_128:
	global_load_b64 v[0:1], v[10:11], off
	s_and_saveexec_b32 s6, s0
	s_cbranch_execz .LBB73_132
; %bb.129:
	v_mov_b32_e32 v8, 0
	s_clause 0x2
	global_load_b64 v[2:3], v8, s[2:3] offset:40
	global_load_b64 v[11:12], v8, s[2:3] offset:24 scope:SCOPE_SYS
	global_load_b64 v[4:5], v8, s[2:3]
	s_wait_loadcnt 0x2
	v_readfirstlane_b32 s10, v2
	v_readfirstlane_b32 s11, v3
	s_add_nc_u64 s[0:1], s[10:11], 1
	s_wait_alu 0xfffe
	s_add_nc_u64 s[4:5], s[0:1], s[4:5]
	s_wait_alu 0xfffe
	s_cmp_eq_u64 s[4:5], 0
	s_cselect_b32 s1, s1, s5
	s_cselect_b32 s0, s0, s4
	s_wait_alu 0xfffe
	v_mov_b32_e32 v10, s1
	s_and_b64 s[4:5], s[0:1], s[10:11]
	v_mov_b32_e32 v9, s0
	s_wait_alu 0xfffe
	s_mul_u64 s[4:5], s[4:5], 24
	s_wait_loadcnt 0x0
	s_wait_alu 0xfffe
	v_add_co_u32 v6, vcc_lo, v4, s4
	s_wait_alu 0xfffd
	v_add_co_ci_u32_e64 v7, null, s5, v5, vcc_lo
	global_store_b64 v[6:7], v[11:12], off
	global_wb scope:SCOPE_SYS
	s_wait_storecnt 0x0
	global_atomic_cmpswap_b64 v[4:5], v8, v[9:12], s[2:3] offset:24 th:TH_ATOMIC_RETURN scope:SCOPE_SYS
	s_wait_loadcnt 0x0
	v_cmp_ne_u64_e32 vcc_lo, v[4:5], v[11:12]
	s_and_b32 exec_lo, exec_lo, vcc_lo
	s_cbranch_execz .LBB73_132
; %bb.130:
	s_mov_b32 s4, 0
.LBB73_131:                             ; =>This Inner Loop Header: Depth=1
	v_dual_mov_b32 v2, s0 :: v_dual_mov_b32 v3, s1
	s_sleep 1
	global_store_b64 v[6:7], v[4:5], off
	global_wb scope:SCOPE_SYS
	s_wait_storecnt 0x0
	global_atomic_cmpswap_b64 v[2:3], v8, v[2:5], s[2:3] offset:24 th:TH_ATOMIC_RETURN scope:SCOPE_SYS
	s_wait_loadcnt 0x0
	v_cmp_eq_u64_e32 vcc_lo, v[2:3], v[4:5]
	v_dual_mov_b32 v5, v3 :: v_dual_mov_b32 v4, v2
	s_wait_alu 0xfffe
	s_or_b32 s4, vcc_lo, s4
	s_wait_alu 0xfffe
	s_and_not1_b32 exec_lo, exec_lo, s4
	s_cbranch_execnz .LBB73_131
.LBB73_132:
	s_wait_alu 0xfffe
	s_or_b32 exec_lo, exec_lo, s6
.LBB73_133:
	s_getpc_b64 s[0:1]
	s_wait_alu 0xfffe
	s_sext_i32_i16 s1, s1
	s_add_co_u32 s0, s0, .str.3@rel32@lo+12
	s_wait_alu 0xfffe
	s_add_co_ci_u32 s1, s1, .str.3@rel32@hi+24
	s_mov_b64 s[4:5], 0
	s_wait_alu 0xfffe
	s_cmp_lg_u64 s[0:1], 0
	s_cselect_b32 s6, -1, 0
	s_cmp_eq_u64 s[0:1], 0
	s_cbranch_scc1 .LBB73_137
; %bb.134:
	s_getpc_b64 s[0:1]
	s_wait_alu 0xfffe
	s_sext_i32_i16 s1, s1
	s_add_co_u32 s0, s0, .str.3@rel32@lo+11
	s_wait_alu 0xfffe
	s_add_co_ci_u32 s1, s1, .str.3@rel32@hi+23
.LBB73_135:                             ; =>This Inner Loop Header: Depth=1
	s_load_u8 s4, s[0:1], 0x1
	s_add_nc_u64 s[0:1], s[0:1], 1
	s_wait_kmcnt 0x0
	s_cmp_lg_u32 s4, 0
	s_cbranch_scc1 .LBB73_135
; %bb.136:
	s_getpc_b64 s[4:5]
	s_wait_alu 0xfffe
	s_sext_i32_i16 s5, s5
	s_add_co_u32 s4, s4, .str.3@rel32@lo+12
	s_wait_alu 0xfffe
	s_add_co_ci_u32 s5, s5, .str.3@rel32@hi+24
	s_wait_alu 0xfffe
	s_sub_nc_u64 s[0:1], s[0:1], s[4:5]
	s_wait_alu 0xfffe
	s_add_nc_u64 s[4:5], s[0:1], 1
.LBB73_137:
	s_wait_alu 0xfffe
	s_and_b32 vcc_lo, exec_lo, s6
	s_wait_alu 0xfffe
	s_cbranch_vccz .LBB73_215
; %bb.138:
	s_wait_loadcnt 0x0
	v_dual_mov_b32 v7, 0 :: v_dual_and_b32 v32, 2, v0
	v_dual_mov_b32 v3, v1 :: v_dual_and_b32 v2, -3, v0
	v_dual_mov_b32 v8, 2 :: v_dual_mov_b32 v9, 1
	s_getpc_b64 s[6:7]
	s_wait_alu 0xfffe
	s_sext_i32_i16 s7, s7
	s_add_co_u32 s6, s6, .str.3@rel32@lo+12
	s_wait_alu 0xfffe
	s_add_co_ci_u32 s7, s7, .str.3@rel32@hi+24
	s_branch .LBB73_140
.LBB73_139:                             ;   in Loop: Header=BB73_140 Depth=1
	s_wait_alu 0xfffe
	s_or_b32 exec_lo, exec_lo, s14
	s_sub_nc_u64 s[4:5], s[4:5], s[10:11]
	s_add_nc_u64 s[6:7], s[6:7], s[10:11]
	s_wait_alu 0xfffe
	s_cmp_lg_u64 s[4:5], 0
	s_cbranch_scc0 .LBB73_216
.LBB73_140:                             ; =>This Loop Header: Depth=1
                                        ;     Child Loop BB73_143 Depth 2
                                        ;     Child Loop BB73_150 Depth 2
	;; [unrolled: 1-line block ×11, first 2 shown]
	v_cmp_lt_u64_e64 s0, s[4:5], 56
	v_cmp_gt_u64_e64 s1, s[4:5], 7
	s_and_b32 s0, s0, exec_lo
	s_cselect_b32 s11, s5, 0
	s_cselect_b32 s10, s4, 56
	s_and_b32 vcc_lo, exec_lo, s1
	s_wait_alu 0xfffe
	s_cbranch_vccnz .LBB73_145
; %bb.141:                              ;   in Loop: Header=BB73_140 Depth=1
	v_mov_b32_e32 v4, 0
	v_mov_b32_e32 v5, 0
	s_cmp_eq_u64 s[4:5], 0
	s_cbranch_scc1 .LBB73_144
; %bb.142:                              ;   in Loop: Header=BB73_140 Depth=1
	s_mov_b64 s[0:1], 0
	s_mov_b64 s[12:13], 0
.LBB73_143:                             ;   Parent Loop BB73_140 Depth=1
                                        ; =>  This Inner Loop Header: Depth=2
	s_wait_alu 0xfffe
	s_add_nc_u64 s[14:15], s[6:7], s[12:13]
	s_add_nc_u64 s[12:13], s[12:13], 1
	global_load_u8 v6, v7, s[14:15]
	s_wait_alu 0xfffe
	s_cmp_lg_u32 s10, s12
	s_wait_loadcnt 0x0
	v_and_b32_e32 v6, 0xffff, v6
	s_delay_alu instid0(VALU_DEP_1) | instskip(SKIP_1) | instid1(VALU_DEP_1)
	v_lshlrev_b64_e32 v[10:11], s0, v[6:7]
	s_add_nc_u64 s[0:1], s[0:1], 8
	v_or_b32_e32 v4, v10, v4
	s_delay_alu instid0(VALU_DEP_2)
	v_or_b32_e32 v5, v11, v5
	s_cbranch_scc1 .LBB73_143
.LBB73_144:                             ;   in Loop: Header=BB73_140 Depth=1
	s_mov_b64 s[12:13], s[6:7]
	s_mov_b32 s16, 0
	s_cbranch_execz .LBB73_146
	s_branch .LBB73_147
.LBB73_145:                             ;   in Loop: Header=BB73_140 Depth=1
	s_add_nc_u64 s[12:13], s[6:7], 8
	s_mov_b32 s16, 0
.LBB73_146:                             ;   in Loop: Header=BB73_140 Depth=1
	global_load_b64 v[4:5], v7, s[6:7]
	s_add_co_i32 s16, s10, -8
.LBB73_147:                             ;   in Loop: Header=BB73_140 Depth=1
	s_wait_alu 0xfffe
	s_cmp_gt_u32 s16, 7
	s_cbranch_scc1 .LBB73_152
; %bb.148:                              ;   in Loop: Header=BB73_140 Depth=1
	v_mov_b32_e32 v10, 0
	v_mov_b32_e32 v11, 0
	s_cmp_eq_u32 s16, 0
	s_cbranch_scc1 .LBB73_151
; %bb.149:                              ;   in Loop: Header=BB73_140 Depth=1
	s_mov_b64 s[0:1], 0
	s_mov_b64 s[14:15], 0
.LBB73_150:                             ;   Parent Loop BB73_140 Depth=1
                                        ; =>  This Inner Loop Header: Depth=2
	s_wait_alu 0xfffe
	s_add_nc_u64 s[18:19], s[12:13], s[14:15]
	s_add_nc_u64 s[14:15], s[14:15], 1
	global_load_u8 v6, v7, s[18:19]
	s_wait_alu 0xfffe
	s_cmp_lg_u32 s16, s14
	s_wait_loadcnt 0x0
	v_and_b32_e32 v6, 0xffff, v6
	s_delay_alu instid0(VALU_DEP_1) | instskip(SKIP_1) | instid1(VALU_DEP_1)
	v_lshlrev_b64_e32 v[12:13], s0, v[6:7]
	s_add_nc_u64 s[0:1], s[0:1], 8
	v_or_b32_e32 v10, v12, v10
	s_delay_alu instid0(VALU_DEP_2)
	v_or_b32_e32 v11, v13, v11
	s_cbranch_scc1 .LBB73_150
.LBB73_151:                             ;   in Loop: Header=BB73_140 Depth=1
	s_mov_b64 s[0:1], s[12:13]
	s_mov_b32 s17, 0
	s_cbranch_execz .LBB73_153
	s_branch .LBB73_154
.LBB73_152:                             ;   in Loop: Header=BB73_140 Depth=1
	s_add_nc_u64 s[0:1], s[12:13], 8
                                        ; implicit-def: $vgpr10_vgpr11
	s_mov_b32 s17, 0
.LBB73_153:                             ;   in Loop: Header=BB73_140 Depth=1
	global_load_b64 v[10:11], v7, s[12:13]
	s_add_co_i32 s17, s16, -8
.LBB73_154:                             ;   in Loop: Header=BB73_140 Depth=1
	s_wait_alu 0xfffe
	s_cmp_gt_u32 s17, 7
	s_cbranch_scc1 .LBB73_159
; %bb.155:                              ;   in Loop: Header=BB73_140 Depth=1
	v_mov_b32_e32 v12, 0
	v_mov_b32_e32 v13, 0
	s_cmp_eq_u32 s17, 0
	s_cbranch_scc1 .LBB73_158
; %bb.156:                              ;   in Loop: Header=BB73_140 Depth=1
	s_mov_b64 s[12:13], 0
	s_mov_b64 s[14:15], 0
.LBB73_157:                             ;   Parent Loop BB73_140 Depth=1
                                        ; =>  This Inner Loop Header: Depth=2
	s_wait_alu 0xfffe
	s_add_nc_u64 s[18:19], s[0:1], s[14:15]
	s_add_nc_u64 s[14:15], s[14:15], 1
	global_load_u8 v6, v7, s[18:19]
	s_wait_alu 0xfffe
	s_cmp_lg_u32 s17, s14
	s_wait_loadcnt 0x0
	v_and_b32_e32 v6, 0xffff, v6
	s_delay_alu instid0(VALU_DEP_1) | instskip(SKIP_1) | instid1(VALU_DEP_1)
	v_lshlrev_b64_e32 v[14:15], s12, v[6:7]
	s_add_nc_u64 s[12:13], s[12:13], 8
	v_or_b32_e32 v12, v14, v12
	s_delay_alu instid0(VALU_DEP_2)
	v_or_b32_e32 v13, v15, v13
	s_cbranch_scc1 .LBB73_157
.LBB73_158:                             ;   in Loop: Header=BB73_140 Depth=1
	s_mov_b64 s[12:13], s[0:1]
	s_mov_b32 s16, 0
	s_cbranch_execz .LBB73_160
	s_branch .LBB73_161
.LBB73_159:                             ;   in Loop: Header=BB73_140 Depth=1
	s_add_nc_u64 s[12:13], s[0:1], 8
	s_mov_b32 s16, 0
.LBB73_160:                             ;   in Loop: Header=BB73_140 Depth=1
	global_load_b64 v[12:13], v7, s[0:1]
	s_add_co_i32 s16, s17, -8
.LBB73_161:                             ;   in Loop: Header=BB73_140 Depth=1
	s_wait_alu 0xfffe
	s_cmp_gt_u32 s16, 7
	s_cbranch_scc1 .LBB73_166
; %bb.162:                              ;   in Loop: Header=BB73_140 Depth=1
	v_mov_b32_e32 v14, 0
	v_mov_b32_e32 v15, 0
	s_cmp_eq_u32 s16, 0
	s_cbranch_scc1 .LBB73_165
; %bb.163:                              ;   in Loop: Header=BB73_140 Depth=1
	s_mov_b64 s[0:1], 0
	s_mov_b64 s[14:15], 0
.LBB73_164:                             ;   Parent Loop BB73_140 Depth=1
                                        ; =>  This Inner Loop Header: Depth=2
	s_wait_alu 0xfffe
	s_add_nc_u64 s[18:19], s[12:13], s[14:15]
	s_add_nc_u64 s[14:15], s[14:15], 1
	global_load_u8 v6, v7, s[18:19]
	s_wait_alu 0xfffe
	s_cmp_lg_u32 s16, s14
	s_wait_loadcnt 0x0
	v_and_b32_e32 v6, 0xffff, v6
	s_delay_alu instid0(VALU_DEP_1) | instskip(SKIP_1) | instid1(VALU_DEP_1)
	v_lshlrev_b64_e32 v[16:17], s0, v[6:7]
	s_add_nc_u64 s[0:1], s[0:1], 8
	v_or_b32_e32 v14, v16, v14
	s_delay_alu instid0(VALU_DEP_2)
	v_or_b32_e32 v15, v17, v15
	s_cbranch_scc1 .LBB73_164
.LBB73_165:                             ;   in Loop: Header=BB73_140 Depth=1
	s_mov_b64 s[0:1], s[12:13]
	s_mov_b32 s17, 0
	s_cbranch_execz .LBB73_167
	s_branch .LBB73_168
.LBB73_166:                             ;   in Loop: Header=BB73_140 Depth=1
	s_add_nc_u64 s[0:1], s[12:13], 8
                                        ; implicit-def: $vgpr14_vgpr15
	s_mov_b32 s17, 0
.LBB73_167:                             ;   in Loop: Header=BB73_140 Depth=1
	global_load_b64 v[14:15], v7, s[12:13]
	s_add_co_i32 s17, s16, -8
.LBB73_168:                             ;   in Loop: Header=BB73_140 Depth=1
	s_wait_alu 0xfffe
	s_cmp_gt_u32 s17, 7
	s_cbranch_scc1 .LBB73_173
; %bb.169:                              ;   in Loop: Header=BB73_140 Depth=1
	v_mov_b32_e32 v16, 0
	v_mov_b32_e32 v17, 0
	s_cmp_eq_u32 s17, 0
	s_cbranch_scc1 .LBB73_172
; %bb.170:                              ;   in Loop: Header=BB73_140 Depth=1
	s_mov_b64 s[12:13], 0
	s_mov_b64 s[14:15], 0
.LBB73_171:                             ;   Parent Loop BB73_140 Depth=1
                                        ; =>  This Inner Loop Header: Depth=2
	s_wait_alu 0xfffe
	s_add_nc_u64 s[18:19], s[0:1], s[14:15]
	s_add_nc_u64 s[14:15], s[14:15], 1
	global_load_u8 v6, v7, s[18:19]
	s_wait_alu 0xfffe
	s_cmp_lg_u32 s17, s14
	s_wait_loadcnt 0x0
	v_and_b32_e32 v6, 0xffff, v6
	s_delay_alu instid0(VALU_DEP_1) | instskip(SKIP_1) | instid1(VALU_DEP_1)
	v_lshlrev_b64_e32 v[18:19], s12, v[6:7]
	s_add_nc_u64 s[12:13], s[12:13], 8
	v_or_b32_e32 v16, v18, v16
	s_delay_alu instid0(VALU_DEP_2)
	v_or_b32_e32 v17, v19, v17
	s_cbranch_scc1 .LBB73_171
.LBB73_172:                             ;   in Loop: Header=BB73_140 Depth=1
	s_mov_b64 s[12:13], s[0:1]
	s_mov_b32 s16, 0
	s_cbranch_execz .LBB73_174
	s_branch .LBB73_175
.LBB73_173:                             ;   in Loop: Header=BB73_140 Depth=1
	s_add_nc_u64 s[12:13], s[0:1], 8
	s_mov_b32 s16, 0
.LBB73_174:                             ;   in Loop: Header=BB73_140 Depth=1
	global_load_b64 v[16:17], v7, s[0:1]
	s_add_co_i32 s16, s17, -8
.LBB73_175:                             ;   in Loop: Header=BB73_140 Depth=1
	s_wait_alu 0xfffe
	s_cmp_gt_u32 s16, 7
	s_cbranch_scc1 .LBB73_180
; %bb.176:                              ;   in Loop: Header=BB73_140 Depth=1
	v_mov_b32_e32 v18, 0
	v_mov_b32_e32 v19, 0
	s_cmp_eq_u32 s16, 0
	s_cbranch_scc1 .LBB73_179
; %bb.177:                              ;   in Loop: Header=BB73_140 Depth=1
	s_mov_b64 s[0:1], 0
	s_mov_b64 s[14:15], 0
.LBB73_178:                             ;   Parent Loop BB73_140 Depth=1
                                        ; =>  This Inner Loop Header: Depth=2
	s_wait_alu 0xfffe
	s_add_nc_u64 s[18:19], s[12:13], s[14:15]
	s_add_nc_u64 s[14:15], s[14:15], 1
	global_load_u8 v6, v7, s[18:19]
	s_wait_alu 0xfffe
	s_cmp_lg_u32 s16, s14
	s_wait_loadcnt 0x0
	v_and_b32_e32 v6, 0xffff, v6
	s_delay_alu instid0(VALU_DEP_1) | instskip(SKIP_1) | instid1(VALU_DEP_1)
	v_lshlrev_b64_e32 v[20:21], s0, v[6:7]
	s_add_nc_u64 s[0:1], s[0:1], 8
	v_or_b32_e32 v18, v20, v18
	s_delay_alu instid0(VALU_DEP_2)
	v_or_b32_e32 v19, v21, v19
	s_cbranch_scc1 .LBB73_178
.LBB73_179:                             ;   in Loop: Header=BB73_140 Depth=1
	s_mov_b64 s[0:1], s[12:13]
	s_mov_b32 s17, 0
	s_cbranch_execz .LBB73_181
	s_branch .LBB73_182
.LBB73_180:                             ;   in Loop: Header=BB73_140 Depth=1
	s_add_nc_u64 s[0:1], s[12:13], 8
                                        ; implicit-def: $vgpr18_vgpr19
	s_mov_b32 s17, 0
.LBB73_181:                             ;   in Loop: Header=BB73_140 Depth=1
	global_load_b64 v[18:19], v7, s[12:13]
	s_add_co_i32 s17, s16, -8
.LBB73_182:                             ;   in Loop: Header=BB73_140 Depth=1
	s_wait_alu 0xfffe
	s_cmp_gt_u32 s17, 7
	s_cbranch_scc1 .LBB73_187
; %bb.183:                              ;   in Loop: Header=BB73_140 Depth=1
	v_mov_b32_e32 v20, 0
	v_mov_b32_e32 v21, 0
	s_cmp_eq_u32 s17, 0
	s_cbranch_scc1 .LBB73_186
; %bb.184:                              ;   in Loop: Header=BB73_140 Depth=1
	s_mov_b64 s[12:13], 0
	s_mov_b64 s[14:15], s[0:1]
.LBB73_185:                             ;   Parent Loop BB73_140 Depth=1
                                        ; =>  This Inner Loop Header: Depth=2
	global_load_u8 v6, v7, s[14:15]
	s_add_co_i32 s17, s17, -1
	s_wait_alu 0xfffe
	s_add_nc_u64 s[14:15], s[14:15], 1
	s_cmp_lg_u32 s17, 0
	s_wait_loadcnt 0x0
	v_and_b32_e32 v6, 0xffff, v6
	s_delay_alu instid0(VALU_DEP_1) | instskip(SKIP_1) | instid1(VALU_DEP_1)
	v_lshlrev_b64_e32 v[22:23], s12, v[6:7]
	s_add_nc_u64 s[12:13], s[12:13], 8
	v_or_b32_e32 v20, v22, v20
	s_delay_alu instid0(VALU_DEP_2)
	v_or_b32_e32 v21, v23, v21
	s_cbranch_scc1 .LBB73_185
.LBB73_186:                             ;   in Loop: Header=BB73_140 Depth=1
	s_cbranch_execz .LBB73_188
	s_branch .LBB73_189
.LBB73_187:                             ;   in Loop: Header=BB73_140 Depth=1
.LBB73_188:                             ;   in Loop: Header=BB73_140 Depth=1
	global_load_b64 v[20:21], v7, s[0:1]
.LBB73_189:                             ;   in Loop: Header=BB73_140 Depth=1
	v_readfirstlane_b32 s0, v31
	v_mov_b32_e32 v26, 0
	v_mov_b32_e32 v27, 0
	s_wait_alu 0xf1ff
	s_delay_alu instid0(VALU_DEP_3)
	v_cmp_eq_u32_e64 s0, s0, v31
	s_and_saveexec_b32 s1, s0
	s_cbranch_execz .LBB73_195
; %bb.190:                              ;   in Loop: Header=BB73_140 Depth=1
	global_load_b64 v[24:25], v7, s[2:3] offset:24 scope:SCOPE_SYS
	s_wait_loadcnt 0x0
	global_inv scope:SCOPE_SYS
	s_clause 0x1
	global_load_b64 v[22:23], v7, s[2:3] offset:40
	global_load_b64 v[26:27], v7, s[2:3]
	s_mov_b32 s12, exec_lo
	s_wait_loadcnt 0x1
	v_and_b32_e32 v6, v23, v25
	v_and_b32_e32 v22, v22, v24
	s_delay_alu instid0(VALU_DEP_2) | instskip(NEXT) | instid1(VALU_DEP_2)
	v_mul_lo_u32 v6, 24, v6
	v_mul_lo_u32 v23, 0, v22
	v_mul_hi_u32 v28, 24, v22
	v_mul_lo_u32 v22, 24, v22
	s_delay_alu instid0(VALU_DEP_3) | instskip(SKIP_1) | instid1(VALU_DEP_2)
	v_add_nc_u32_e32 v6, v6, v23
	s_wait_loadcnt 0x0
	v_add_co_u32 v22, vcc_lo, v26, v22
	s_delay_alu instid0(VALU_DEP_2) | instskip(SKIP_1) | instid1(VALU_DEP_1)
	v_add_nc_u32_e32 v6, v6, v28
	s_wait_alu 0xfffd
	v_add_co_ci_u32_e64 v23, null, v27, v6, vcc_lo
	global_load_b64 v[22:23], v[22:23], off scope:SCOPE_SYS
	s_wait_loadcnt 0x0
	global_atomic_cmpswap_b64 v[26:27], v7, v[22:25], s[2:3] offset:24 th:TH_ATOMIC_RETURN scope:SCOPE_SYS
	s_wait_loadcnt 0x0
	global_inv scope:SCOPE_SYS
	v_cmpx_ne_u64_e64 v[26:27], v[24:25]
	s_cbranch_execz .LBB73_194
; %bb.191:                              ;   in Loop: Header=BB73_140 Depth=1
	s_mov_b32 s13, 0
.LBB73_192:                             ;   Parent Loop BB73_140 Depth=1
                                        ; =>  This Inner Loop Header: Depth=2
	s_sleep 1
	s_clause 0x1
	global_load_b64 v[22:23], v7, s[2:3] offset:40
	global_load_b64 v[28:29], v7, s[2:3]
	v_dual_mov_b32 v24, v26 :: v_dual_mov_b32 v25, v27
	s_wait_loadcnt 0x1
	s_delay_alu instid0(VALU_DEP_1) | instskip(NEXT) | instid1(VALU_DEP_2)
	v_and_b32_e32 v6, v22, v24
	v_and_b32_e32 v22, v23, v25
	s_wait_loadcnt 0x0
	s_delay_alu instid0(VALU_DEP_2) | instskip(NEXT) | instid1(VALU_DEP_1)
	v_mad_co_u64_u32 v[26:27], null, v6, 24, v[28:29]
	v_mov_b32_e32 v6, v27
	s_delay_alu instid0(VALU_DEP_1) | instskip(NEXT) | instid1(VALU_DEP_1)
	v_mad_co_u64_u32 v[22:23], null, v22, 24, v[6:7]
	v_mov_b32_e32 v27, v22
	global_load_b64 v[22:23], v[26:27], off scope:SCOPE_SYS
	s_wait_loadcnt 0x0
	global_atomic_cmpswap_b64 v[26:27], v7, v[22:25], s[2:3] offset:24 th:TH_ATOMIC_RETURN scope:SCOPE_SYS
	s_wait_loadcnt 0x0
	global_inv scope:SCOPE_SYS
	v_cmp_eq_u64_e32 vcc_lo, v[26:27], v[24:25]
	s_wait_alu 0xfffe
	s_or_b32 s13, vcc_lo, s13
	s_wait_alu 0xfffe
	s_and_not1_b32 exec_lo, exec_lo, s13
	s_cbranch_execnz .LBB73_192
; %bb.193:                              ;   in Loop: Header=BB73_140 Depth=1
	s_or_b32 exec_lo, exec_lo, s13
.LBB73_194:                             ;   in Loop: Header=BB73_140 Depth=1
	s_wait_alu 0xfffe
	s_or_b32 exec_lo, exec_lo, s12
.LBB73_195:                             ;   in Loop: Header=BB73_140 Depth=1
	s_wait_alu 0xfffe
	s_or_b32 exec_lo, exec_lo, s1
	s_clause 0x1
	global_load_b64 v[28:29], v7, s[2:3] offset:40
	global_load_b128 v[22:25], v7, s[2:3]
	v_readfirstlane_b32 s13, v27
	v_readfirstlane_b32 s12, v26
	s_mov_b32 s1, exec_lo
	s_wait_loadcnt 0x1
	s_wait_alu 0xf1ff
	v_and_b32_e32 v29, s13, v29
	v_and_b32_e32 v28, s12, v28
	s_delay_alu instid0(VALU_DEP_2) | instskip(NEXT) | instid1(VALU_DEP_2)
	v_mul_lo_u32 v6, 24, v29
	v_mul_lo_u32 v26, 0, v28
	v_mul_hi_u32 v27, 24, v28
	v_mul_lo_u32 v33, 24, v28
	s_delay_alu instid0(VALU_DEP_3) | instskip(SKIP_1) | instid1(VALU_DEP_2)
	v_add_nc_u32_e32 v6, v6, v26
	s_wait_loadcnt 0x0
	v_add_co_u32 v26, vcc_lo, v22, v33
	s_delay_alu instid0(VALU_DEP_2) | instskip(SKIP_1) | instid1(VALU_DEP_1)
	v_add_nc_u32_e32 v6, v6, v27
	s_wait_alu 0xfffd
	v_add_co_ci_u32_e64 v27, null, v23, v6, vcc_lo
	s_and_saveexec_b32 s14, s0
	s_cbranch_execz .LBB73_197
; %bb.196:                              ;   in Loop: Header=BB73_140 Depth=1
	s_wait_alu 0xfffe
	v_mov_b32_e32 v6, s1
	global_store_b128 v[26:27], v[6:9], off offset:8
.LBB73_197:                             ;   in Loop: Header=BB73_140 Depth=1
	s_wait_alu 0xfffe
	s_or_b32 exec_lo, exec_lo, s14
	v_cmp_lt_u64_e64 vcc_lo, s[4:5], 57
	v_lshlrev_b64_e32 v[28:29], 12, v[28:29]
	v_and_b32_e32 v2, 0xffffff1f, v2
	s_lshl_b32 s1, s10, 2
	s_wait_alu 0xfffe
	s_add_co_i32 s1, s1, 28
	s_wait_alu 0xfffd
	v_cndmask_b32_e32 v6, 0, v32, vcc_lo
	v_add_co_u32 v24, vcc_lo, v24, v28
	s_wait_alu 0xfffd
	v_add_co_ci_u32_e64 v25, null, v25, v29, vcc_lo
	s_delay_alu instid0(VALU_DEP_3) | instskip(NEXT) | instid1(VALU_DEP_3)
	v_or_b32_e32 v2, v2, v6
	v_readfirstlane_b32 s14, v24
	s_delay_alu instid0(VALU_DEP_3) | instskip(SKIP_1) | instid1(VALU_DEP_3)
	v_readfirstlane_b32 s15, v25
	s_wait_alu 0xfffe
	v_and_or_b32 v2, 0x1e0, s1, v2
	s_clause 0x3
	global_store_b128 v30, v[2:5], s[14:15]
	global_store_b128 v30, v[10:13], s[14:15] offset:16
	global_store_b128 v30, v[14:17], s[14:15] offset:32
	;; [unrolled: 1-line block ×3, first 2 shown]
	s_and_saveexec_b32 s1, s0
	s_cbranch_execz .LBB73_205
; %bb.198:                              ;   in Loop: Header=BB73_140 Depth=1
	s_clause 0x1
	global_load_b64 v[14:15], v7, s[2:3] offset:32 scope:SCOPE_SYS
	global_load_b64 v[2:3], v7, s[2:3] offset:40
	s_mov_b32 s14, exec_lo
	v_dual_mov_b32 v12, s12 :: v_dual_mov_b32 v13, s13
	s_wait_loadcnt 0x0
	v_and_b32_e32 v2, s12, v2
	v_and_b32_e32 v3, s13, v3
	s_delay_alu instid0(VALU_DEP_2) | instskip(NEXT) | instid1(VALU_DEP_2)
	v_mul_lo_u32 v4, 0, v2
	v_mul_lo_u32 v3, 24, v3
	v_mul_hi_u32 v5, 24, v2
	v_mul_lo_u32 v2, 24, v2
	s_delay_alu instid0(VALU_DEP_3) | instskip(NEXT) | instid1(VALU_DEP_2)
	v_add_nc_u32_e32 v3, v3, v4
	v_add_co_u32 v10, vcc_lo, v22, v2
	s_delay_alu instid0(VALU_DEP_2) | instskip(SKIP_1) | instid1(VALU_DEP_1)
	v_add_nc_u32_e32 v3, v3, v5
	s_wait_alu 0xfffd
	v_add_co_ci_u32_e64 v11, null, v23, v3, vcc_lo
	global_store_b64 v[10:11], v[14:15], off
	global_wb scope:SCOPE_SYS
	s_wait_storecnt 0x0
	global_atomic_cmpswap_b64 v[4:5], v7, v[12:15], s[2:3] offset:32 th:TH_ATOMIC_RETURN scope:SCOPE_SYS
	s_wait_loadcnt 0x0
	v_cmpx_ne_u64_e64 v[4:5], v[14:15]
	s_cbranch_execz .LBB73_201
; %bb.199:                              ;   in Loop: Header=BB73_140 Depth=1
	s_mov_b32 s15, 0
.LBB73_200:                             ;   Parent Loop BB73_140 Depth=1
                                        ; =>  This Inner Loop Header: Depth=2
	v_dual_mov_b32 v2, s12 :: v_dual_mov_b32 v3, s13
	s_sleep 1
	global_store_b64 v[10:11], v[4:5], off
	global_wb scope:SCOPE_SYS
	s_wait_storecnt 0x0
	global_atomic_cmpswap_b64 v[2:3], v7, v[2:5], s[2:3] offset:32 th:TH_ATOMIC_RETURN scope:SCOPE_SYS
	s_wait_loadcnt 0x0
	v_cmp_eq_u64_e32 vcc_lo, v[2:3], v[4:5]
	v_dual_mov_b32 v5, v3 :: v_dual_mov_b32 v4, v2
	s_wait_alu 0xfffe
	s_or_b32 s15, vcc_lo, s15
	s_wait_alu 0xfffe
	s_and_not1_b32 exec_lo, exec_lo, s15
	s_cbranch_execnz .LBB73_200
.LBB73_201:                             ;   in Loop: Header=BB73_140 Depth=1
	s_wait_alu 0xfffe
	s_or_b32 exec_lo, exec_lo, s14
	global_load_b64 v[2:3], v7, s[2:3] offset:16
	s_mov_b32 s15, exec_lo
	s_mov_b32 s14, exec_lo
	s_wait_alu 0xfffe
	v_mbcnt_lo_u32_b32 v4, s15, 0
	s_delay_alu instid0(VALU_DEP_1)
	v_cmpx_eq_u32_e32 0, v4
	s_cbranch_execz .LBB73_203
; %bb.202:                              ;   in Loop: Header=BB73_140 Depth=1
	s_bcnt1_i32_b32 s15, s15
	s_wait_alu 0xfffe
	v_mov_b32_e32 v6, s15
	global_wb scope:SCOPE_SYS
	s_wait_loadcnt 0x0
	s_wait_storecnt 0x0
	global_atomic_add_u64 v[2:3], v[6:7], off offset:8 scope:SCOPE_SYS
.LBB73_203:                             ;   in Loop: Header=BB73_140 Depth=1
	s_or_b32 exec_lo, exec_lo, s14
	s_wait_loadcnt 0x0
	global_load_b64 v[4:5], v[2:3], off offset:16
	s_wait_loadcnt 0x0
	v_cmp_eq_u64_e32 vcc_lo, 0, v[4:5]
	s_cbranch_vccnz .LBB73_205
; %bb.204:                              ;   in Loop: Header=BB73_140 Depth=1
	global_load_b32 v6, v[2:3], off offset:24
	s_wait_loadcnt 0x0
	v_readfirstlane_b32 s14, v6
	global_wb scope:SCOPE_SYS
	s_wait_storecnt 0x0
	global_store_b64 v[4:5], v[6:7], off scope:SCOPE_SYS
	s_and_b32 m0, s14, 0xffffff
	s_sendmsg sendmsg(MSG_INTERRUPT)
.LBB73_205:                             ;   in Loop: Header=BB73_140 Depth=1
	s_wait_alu 0xfffe
	s_or_b32 exec_lo, exec_lo, s1
	v_add_co_u32 v2, vcc_lo, v24, v30
	s_wait_alu 0xfffd
	v_add_co_ci_u32_e64 v3, null, 0, v25, vcc_lo
	s_branch .LBB73_209
.LBB73_206:                             ;   in Loop: Header=BB73_209 Depth=2
	s_wait_alu 0xfffe
	s_or_b32 exec_lo, exec_lo, s1
	s_delay_alu instid0(VALU_DEP_1)
	v_readfirstlane_b32 s1, v4
	s_cmp_eq_u32 s1, 0
	s_cbranch_scc1 .LBB73_208
; %bb.207:                              ;   in Loop: Header=BB73_209 Depth=2
	s_sleep 1
	s_cbranch_execnz .LBB73_209
	s_branch .LBB73_211
.LBB73_208:                             ;   in Loop: Header=BB73_140 Depth=1
	s_branch .LBB73_211
.LBB73_209:                             ;   Parent Loop BB73_140 Depth=1
                                        ; =>  This Inner Loop Header: Depth=2
	v_mov_b32_e32 v4, 1
	s_and_saveexec_b32 s1, s0
	s_cbranch_execz .LBB73_206
; %bb.210:                              ;   in Loop: Header=BB73_209 Depth=2
	global_load_b32 v4, v[26:27], off offset:20 scope:SCOPE_SYS
	s_wait_loadcnt 0x0
	global_inv scope:SCOPE_SYS
	v_and_b32_e32 v4, 1, v4
	s_branch .LBB73_206
.LBB73_211:                             ;   in Loop: Header=BB73_140 Depth=1
	global_load_b64 v[2:3], v[2:3], off
	s_and_saveexec_b32 s14, s0
	s_cbranch_execz .LBB73_139
; %bb.212:                              ;   in Loop: Header=BB73_140 Depth=1
	s_clause 0x2
	global_load_b64 v[4:5], v7, s[2:3] offset:40
	global_load_b64 v[14:15], v7, s[2:3] offset:24 scope:SCOPE_SYS
	global_load_b64 v[10:11], v7, s[2:3]
	s_wait_loadcnt 0x2
	v_readfirstlane_b32 s16, v4
	v_readfirstlane_b32 s17, v5
	s_add_nc_u64 s[0:1], s[16:17], 1
	s_wait_alu 0xfffe
	s_add_nc_u64 s[12:13], s[0:1], s[12:13]
	s_wait_alu 0xfffe
	s_cmp_eq_u64 s[12:13], 0
	s_cselect_b32 s1, s1, s13
	s_cselect_b32 s0, s0, s12
	s_wait_alu 0xfffe
	v_dual_mov_b32 v13, s1 :: v_dual_mov_b32 v12, s0
	s_and_b64 s[12:13], s[0:1], s[16:17]
	s_wait_alu 0xfffe
	s_mul_u64 s[12:13], s[12:13], 24
	s_wait_loadcnt 0x0
	s_wait_alu 0xfffe
	v_add_co_u32 v4, vcc_lo, v10, s12
	s_wait_alu 0xfffd
	v_add_co_ci_u32_e64 v5, null, s13, v11, vcc_lo
	global_store_b64 v[4:5], v[14:15], off
	global_wb scope:SCOPE_SYS
	s_wait_storecnt 0x0
	global_atomic_cmpswap_b64 v[12:13], v7, v[12:15], s[2:3] offset:24 th:TH_ATOMIC_RETURN scope:SCOPE_SYS
	s_wait_loadcnt 0x0
	v_cmp_ne_u64_e32 vcc_lo, v[12:13], v[14:15]
	s_and_b32 exec_lo, exec_lo, vcc_lo
	s_cbranch_execz .LBB73_139
; %bb.213:                              ;   in Loop: Header=BB73_140 Depth=1
	s_mov_b32 s12, 0
.LBB73_214:                             ;   Parent Loop BB73_140 Depth=1
                                        ; =>  This Inner Loop Header: Depth=2
	v_dual_mov_b32 v10, s0 :: v_dual_mov_b32 v11, s1
	s_sleep 1
	global_store_b64 v[4:5], v[12:13], off
	global_wb scope:SCOPE_SYS
	s_wait_storecnt 0x0
	global_atomic_cmpswap_b64 v[10:11], v7, v[10:13], s[2:3] offset:24 th:TH_ATOMIC_RETURN scope:SCOPE_SYS
	s_wait_loadcnt 0x0
	v_cmp_eq_u64_e32 vcc_lo, v[10:11], v[12:13]
	v_dual_mov_b32 v13, v11 :: v_dual_mov_b32 v12, v10
	s_wait_alu 0xfffe
	s_or_b32 s12, vcc_lo, s12
	s_wait_alu 0xfffe
	s_and_not1_b32 exec_lo, exec_lo, s12
	s_cbranch_execnz .LBB73_214
	s_branch .LBB73_139
.LBB73_215:
                                        ; implicit-def: $vgpr2_vgpr3
	s_cbranch_execnz .LBB73_217
	s_branch .LBB73_244
.LBB73_216:
	s_branch .LBB73_244
.LBB73_217:
	v_readfirstlane_b32 s0, v31
	v_mov_b32_e32 v8, 0
	v_mov_b32_e32 v9, 0
	s_wait_alu 0xf1ff
	s_delay_alu instid0(VALU_DEP_3)
	v_cmp_eq_u32_e64 s0, s0, v31
	s_and_saveexec_b32 s1, s0
	s_cbranch_execz .LBB73_223
; %bb.218:
	s_wait_loadcnt 0x0
	v_mov_b32_e32 v2, 0
	s_mov_b32 s4, exec_lo
	global_load_b64 v[5:6], v2, s[2:3] offset:24 scope:SCOPE_SYS
	s_wait_loadcnt 0x0
	global_inv scope:SCOPE_SYS
	s_clause 0x1
	global_load_b64 v[3:4], v2, s[2:3] offset:40
	global_load_b64 v[7:8], v2, s[2:3]
	s_wait_loadcnt 0x1
	v_and_b32_e32 v4, v4, v6
	v_and_b32_e32 v3, v3, v5
	s_delay_alu instid0(VALU_DEP_2) | instskip(NEXT) | instid1(VALU_DEP_2)
	v_mul_lo_u32 v4, 24, v4
	v_mul_lo_u32 v9, 0, v3
	v_mul_hi_u32 v10, 24, v3
	v_mul_lo_u32 v3, 24, v3
	s_delay_alu instid0(VALU_DEP_3) | instskip(SKIP_1) | instid1(VALU_DEP_2)
	v_add_nc_u32_e32 v4, v4, v9
	s_wait_loadcnt 0x0
	v_add_co_u32 v3, vcc_lo, v7, v3
	s_delay_alu instid0(VALU_DEP_2) | instskip(SKIP_1) | instid1(VALU_DEP_1)
	v_add_nc_u32_e32 v4, v4, v10
	s_wait_alu 0xfffd
	v_add_co_ci_u32_e64 v4, null, v8, v4, vcc_lo
	global_load_b64 v[3:4], v[3:4], off scope:SCOPE_SYS
	s_wait_loadcnt 0x0
	global_atomic_cmpswap_b64 v[8:9], v2, v[3:6], s[2:3] offset:24 th:TH_ATOMIC_RETURN scope:SCOPE_SYS
	s_wait_loadcnt 0x0
	global_inv scope:SCOPE_SYS
	v_cmpx_ne_u64_e64 v[8:9], v[5:6]
	s_cbranch_execz .LBB73_222
; %bb.219:
	s_mov_b32 s5, 0
.LBB73_220:                             ; =>This Inner Loop Header: Depth=1
	s_sleep 1
	s_clause 0x1
	global_load_b64 v[3:4], v2, s[2:3] offset:40
	global_load_b64 v[10:11], v2, s[2:3]
	v_dual_mov_b32 v5, v8 :: v_dual_mov_b32 v6, v9
	s_wait_loadcnt 0x1
	s_delay_alu instid0(VALU_DEP_1) | instskip(NEXT) | instid1(VALU_DEP_2)
	v_and_b32_e32 v3, v3, v5
	v_and_b32_e32 v4, v4, v6
	s_wait_loadcnt 0x0
	s_delay_alu instid0(VALU_DEP_2) | instskip(NEXT) | instid1(VALU_DEP_1)
	v_mad_co_u64_u32 v[7:8], null, v3, 24, v[10:11]
	v_mov_b32_e32 v3, v8
	s_delay_alu instid0(VALU_DEP_1) | instskip(NEXT) | instid1(VALU_DEP_1)
	v_mad_co_u64_u32 v[3:4], null, v4, 24, v[3:4]
	v_mov_b32_e32 v8, v3
	global_load_b64 v[3:4], v[7:8], off scope:SCOPE_SYS
	s_wait_loadcnt 0x0
	global_atomic_cmpswap_b64 v[8:9], v2, v[3:6], s[2:3] offset:24 th:TH_ATOMIC_RETURN scope:SCOPE_SYS
	s_wait_loadcnt 0x0
	global_inv scope:SCOPE_SYS
	v_cmp_eq_u64_e32 vcc_lo, v[8:9], v[5:6]
	s_wait_alu 0xfffe
	s_or_b32 s5, vcc_lo, s5
	s_wait_alu 0xfffe
	s_and_not1_b32 exec_lo, exec_lo, s5
	s_cbranch_execnz .LBB73_220
; %bb.221:
	s_or_b32 exec_lo, exec_lo, s5
.LBB73_222:
	s_wait_alu 0xfffe
	s_or_b32 exec_lo, exec_lo, s4
.LBB73_223:
	s_wait_alu 0xfffe
	s_or_b32 exec_lo, exec_lo, s1
	v_readfirstlane_b32 s5, v9
	s_wait_loadcnt 0x0
	v_mov_b32_e32 v2, 0
	v_readfirstlane_b32 s4, v8
	s_mov_b32 s1, exec_lo
	s_clause 0x1
	global_load_b64 v[10:11], v2, s[2:3] offset:40
	global_load_b128 v[4:7], v2, s[2:3]
	s_wait_loadcnt 0x1
	s_wait_alu 0xf1ff
	v_and_b32_e32 v11, s5, v11
	v_and_b32_e32 v10, s4, v10
	s_delay_alu instid0(VALU_DEP_2) | instskip(NEXT) | instid1(VALU_DEP_2)
	v_mul_lo_u32 v3, 24, v11
	v_mul_lo_u32 v8, 0, v10
	v_mul_hi_u32 v9, 24, v10
	v_mul_lo_u32 v12, 24, v10
	s_delay_alu instid0(VALU_DEP_3) | instskip(SKIP_1) | instid1(VALU_DEP_2)
	v_add_nc_u32_e32 v3, v3, v8
	s_wait_loadcnt 0x0
	v_add_co_u32 v8, vcc_lo, v4, v12
	s_delay_alu instid0(VALU_DEP_2) | instskip(SKIP_1) | instid1(VALU_DEP_1)
	v_add_nc_u32_e32 v3, v3, v9
	s_wait_alu 0xfffd
	v_add_co_ci_u32_e64 v9, null, v5, v3, vcc_lo
	s_and_saveexec_b32 s6, s0
	s_cbranch_execz .LBB73_225
; %bb.224:
	s_wait_alu 0xfffe
	v_dual_mov_b32 v12, s1 :: v_dual_mov_b32 v13, v2
	v_dual_mov_b32 v14, 2 :: v_dual_mov_b32 v15, 1
	global_store_b128 v[8:9], v[12:15], off offset:8
.LBB73_225:
	s_wait_alu 0xfffe
	s_or_b32 exec_lo, exec_lo, s6
	v_lshlrev_b64_e32 v[10:11], 12, v[10:11]
	s_mov_b32 s12, 0
	v_and_or_b32 v0, 0xffffff1f, v0, 32
	s_wait_alu 0xfffe
	s_mov_b32 s13, s12
	s_mov_b32 s14, s12
	;; [unrolled: 1-line block ×3, first 2 shown]
	v_add_co_u32 v6, vcc_lo, v6, v10
	s_wait_alu 0xfffd
	v_add_co_ci_u32_e64 v7, null, v7, v11, vcc_lo
	v_dual_mov_b32 v3, v2 :: v_dual_mov_b32 v10, s12
	s_delay_alu instid0(VALU_DEP_3) | instskip(SKIP_1) | instid1(VALU_DEP_4)
	v_readfirstlane_b32 s6, v6
	v_add_co_u32 v6, vcc_lo, v6, v30
	v_readfirstlane_b32 s7, v7
	s_wait_alu 0xfffd
	v_add_co_ci_u32_e64 v7, null, 0, v7, vcc_lo
	s_wait_alu 0xfffe
	v_dual_mov_b32 v11, s13 :: v_dual_mov_b32 v12, s14
	v_mov_b32_e32 v13, s15
	s_clause 0x3
	global_store_b128 v30, v[0:3], s[6:7]
	global_store_b128 v30, v[10:13], s[6:7] offset:16
	global_store_b128 v30, v[10:13], s[6:7] offset:32
	;; [unrolled: 1-line block ×3, first 2 shown]
	s_and_saveexec_b32 s1, s0
	s_cbranch_execz .LBB73_233
; %bb.226:
	v_mov_b32_e32 v10, 0
	s_mov_b32 s6, exec_lo
	s_clause 0x1
	global_load_b64 v[13:14], v10, s[2:3] offset:32 scope:SCOPE_SYS
	global_load_b64 v[0:1], v10, s[2:3] offset:40
	v_dual_mov_b32 v11, s4 :: v_dual_mov_b32 v12, s5
	s_wait_loadcnt 0x0
	v_and_b32_e32 v1, s5, v1
	v_and_b32_e32 v0, s4, v0
	s_delay_alu instid0(VALU_DEP_2) | instskip(NEXT) | instid1(VALU_DEP_2)
	v_mul_lo_u32 v1, 24, v1
	v_mul_lo_u32 v2, 0, v0
	v_mul_hi_u32 v3, 24, v0
	v_mul_lo_u32 v0, 24, v0
	s_delay_alu instid0(VALU_DEP_3) | instskip(NEXT) | instid1(VALU_DEP_2)
	v_add_nc_u32_e32 v1, v1, v2
	v_add_co_u32 v4, vcc_lo, v4, v0
	s_delay_alu instid0(VALU_DEP_2) | instskip(SKIP_1) | instid1(VALU_DEP_1)
	v_add_nc_u32_e32 v1, v1, v3
	s_wait_alu 0xfffd
	v_add_co_ci_u32_e64 v5, null, v5, v1, vcc_lo
	global_store_b64 v[4:5], v[13:14], off
	global_wb scope:SCOPE_SYS
	s_wait_storecnt 0x0
	global_atomic_cmpswap_b64 v[2:3], v10, v[11:14], s[2:3] offset:32 th:TH_ATOMIC_RETURN scope:SCOPE_SYS
	s_wait_loadcnt 0x0
	v_cmpx_ne_u64_e64 v[2:3], v[13:14]
	s_cbranch_execz .LBB73_229
; %bb.227:
	s_mov_b32 s7, 0
.LBB73_228:                             ; =>This Inner Loop Header: Depth=1
	v_dual_mov_b32 v0, s4 :: v_dual_mov_b32 v1, s5
	s_sleep 1
	global_store_b64 v[4:5], v[2:3], off
	global_wb scope:SCOPE_SYS
	s_wait_storecnt 0x0
	global_atomic_cmpswap_b64 v[0:1], v10, v[0:3], s[2:3] offset:32 th:TH_ATOMIC_RETURN scope:SCOPE_SYS
	s_wait_loadcnt 0x0
	v_cmp_eq_u64_e32 vcc_lo, v[0:1], v[2:3]
	v_dual_mov_b32 v3, v1 :: v_dual_mov_b32 v2, v0
	s_wait_alu 0xfffe
	s_or_b32 s7, vcc_lo, s7
	s_wait_alu 0xfffe
	s_and_not1_b32 exec_lo, exec_lo, s7
	s_cbranch_execnz .LBB73_228
.LBB73_229:
	s_wait_alu 0xfffe
	s_or_b32 exec_lo, exec_lo, s6
	v_mov_b32_e32 v3, 0
	s_mov_b32 s7, exec_lo
	s_mov_b32 s6, exec_lo
	s_wait_alu 0xfffe
	v_mbcnt_lo_u32_b32 v2, s7, 0
	global_load_b64 v[0:1], v3, s[2:3] offset:16
	v_cmpx_eq_u32_e32 0, v2
	s_cbranch_execz .LBB73_231
; %bb.230:
	s_bcnt1_i32_b32 s7, s7
	s_wait_alu 0xfffe
	v_mov_b32_e32 v2, s7
	global_wb scope:SCOPE_SYS
	s_wait_loadcnt 0x0
	s_wait_storecnt 0x0
	global_atomic_add_u64 v[0:1], v[2:3], off offset:8 scope:SCOPE_SYS
.LBB73_231:
	s_or_b32 exec_lo, exec_lo, s6
	s_wait_loadcnt 0x0
	global_load_b64 v[2:3], v[0:1], off offset:16
	s_wait_loadcnt 0x0
	v_cmp_eq_u64_e32 vcc_lo, 0, v[2:3]
	s_cbranch_vccnz .LBB73_233
; %bb.232:
	global_load_b32 v0, v[0:1], off offset:24
	v_mov_b32_e32 v1, 0
	s_wait_loadcnt 0x0
	v_readfirstlane_b32 s6, v0
	global_wb scope:SCOPE_SYS
	s_wait_storecnt 0x0
	global_store_b64 v[2:3], v[0:1], off scope:SCOPE_SYS
	s_and_b32 m0, s6, 0xffffff
	s_sendmsg sendmsg(MSG_INTERRUPT)
.LBB73_233:
	s_wait_alu 0xfffe
	s_or_b32 exec_lo, exec_lo, s1
	s_branch .LBB73_237
.LBB73_234:                             ;   in Loop: Header=BB73_237 Depth=1
	s_wait_alu 0xfffe
	s_or_b32 exec_lo, exec_lo, s1
	s_delay_alu instid0(VALU_DEP_1)
	v_readfirstlane_b32 s1, v0
	s_cmp_eq_u32 s1, 0
	s_cbranch_scc1 .LBB73_236
; %bb.235:                              ;   in Loop: Header=BB73_237 Depth=1
	s_sleep 1
	s_cbranch_execnz .LBB73_237
	s_branch .LBB73_239
.LBB73_236:
	s_branch .LBB73_239
.LBB73_237:                             ; =>This Inner Loop Header: Depth=1
	v_mov_b32_e32 v0, 1
	s_and_saveexec_b32 s1, s0
	s_cbranch_execz .LBB73_234
; %bb.238:                              ;   in Loop: Header=BB73_237 Depth=1
	global_load_b32 v0, v[8:9], off offset:20 scope:SCOPE_SYS
	s_wait_loadcnt 0x0
	global_inv scope:SCOPE_SYS
	v_and_b32_e32 v0, 1, v0
	s_branch .LBB73_234
.LBB73_239:
	global_load_b64 v[2:3], v[6:7], off
	s_and_saveexec_b32 s6, s0
	s_cbranch_execz .LBB73_243
; %bb.240:
	v_mov_b32_e32 v8, 0
	s_clause 0x2
	global_load_b64 v[0:1], v8, s[2:3] offset:40
	global_load_b64 v[11:12], v8, s[2:3] offset:24 scope:SCOPE_SYS
	global_load_b64 v[4:5], v8, s[2:3]
	s_wait_loadcnt 0x2
	v_readfirstlane_b32 s10, v0
	v_readfirstlane_b32 s11, v1
	s_add_nc_u64 s[0:1], s[10:11], 1
	s_wait_alu 0xfffe
	s_add_nc_u64 s[4:5], s[0:1], s[4:5]
	s_wait_alu 0xfffe
	s_cmp_eq_u64 s[4:5], 0
	s_cselect_b32 s1, s1, s5
	s_cselect_b32 s0, s0, s4
	s_wait_alu 0xfffe
	v_mov_b32_e32 v10, s1
	s_and_b64 s[4:5], s[0:1], s[10:11]
	v_mov_b32_e32 v9, s0
	s_wait_alu 0xfffe
	s_mul_u64 s[4:5], s[4:5], 24
	s_wait_loadcnt 0x0
	s_wait_alu 0xfffe
	v_add_co_u32 v0, vcc_lo, v4, s4
	s_wait_alu 0xfffd
	v_add_co_ci_u32_e64 v1, null, s5, v5, vcc_lo
	global_store_b64 v[0:1], v[11:12], off
	global_wb scope:SCOPE_SYS
	s_wait_storecnt 0x0
	global_atomic_cmpswap_b64 v[6:7], v8, v[9:12], s[2:3] offset:24 th:TH_ATOMIC_RETURN scope:SCOPE_SYS
	s_wait_loadcnt 0x0
	v_cmp_ne_u64_e32 vcc_lo, v[6:7], v[11:12]
	s_and_b32 exec_lo, exec_lo, vcc_lo
	s_cbranch_execz .LBB73_243
; %bb.241:
	s_mov_b32 s4, 0
.LBB73_242:                             ; =>This Inner Loop Header: Depth=1
	v_dual_mov_b32 v4, s0 :: v_dual_mov_b32 v5, s1
	s_sleep 1
	global_store_b64 v[0:1], v[6:7], off
	global_wb scope:SCOPE_SYS
	s_wait_storecnt 0x0
	global_atomic_cmpswap_b64 v[4:5], v8, v[4:7], s[2:3] offset:24 th:TH_ATOMIC_RETURN scope:SCOPE_SYS
	s_wait_loadcnt 0x0
	v_cmp_eq_u64_e32 vcc_lo, v[4:5], v[6:7]
	v_dual_mov_b32 v7, v5 :: v_dual_mov_b32 v6, v4
	s_wait_alu 0xfffe
	s_or_b32 s4, vcc_lo, s4
	s_wait_alu 0xfffe
	s_and_not1_b32 exec_lo, exec_lo, s4
	s_cbranch_execnz .LBB73_242
.LBB73_243:
	s_wait_alu 0xfffe
	s_or_b32 exec_lo, exec_lo, s6
.LBB73_244:
	v_readfirstlane_b32 s0, v31
	s_wait_loadcnt 0x0
	v_mov_b32_e32 v0, 0
	v_mov_b32_e32 v1, 0
	s_wait_alu 0xf1ff
	v_cmp_eq_u32_e64 s0, s0, v31
	s_and_saveexec_b32 s1, s0
	s_cbranch_execz .LBB73_250
; %bb.245:
	v_mov_b32_e32 v4, 0
	s_mov_b32 s4, exec_lo
	global_load_b64 v[7:8], v4, s[2:3] offset:24 scope:SCOPE_SYS
	s_wait_loadcnt 0x0
	global_inv scope:SCOPE_SYS
	s_clause 0x1
	global_load_b64 v[0:1], v4, s[2:3] offset:40
	global_load_b64 v[5:6], v4, s[2:3]
	s_wait_loadcnt 0x1
	v_and_b32_e32 v1, v1, v8
	v_and_b32_e32 v0, v0, v7
	s_delay_alu instid0(VALU_DEP_2) | instskip(NEXT) | instid1(VALU_DEP_2)
	v_mul_lo_u32 v1, 24, v1
	v_mul_lo_u32 v9, 0, v0
	v_mul_hi_u32 v10, 24, v0
	v_mul_lo_u32 v0, 24, v0
	s_delay_alu instid0(VALU_DEP_3) | instskip(SKIP_1) | instid1(VALU_DEP_2)
	v_add_nc_u32_e32 v1, v1, v9
	s_wait_loadcnt 0x0
	v_add_co_u32 v0, vcc_lo, v5, v0
	s_delay_alu instid0(VALU_DEP_2) | instskip(SKIP_1) | instid1(VALU_DEP_1)
	v_add_nc_u32_e32 v1, v1, v10
	s_wait_alu 0xfffd
	v_add_co_ci_u32_e64 v1, null, v6, v1, vcc_lo
	global_load_b64 v[5:6], v[0:1], off scope:SCOPE_SYS
	s_wait_loadcnt 0x0
	global_atomic_cmpswap_b64 v[0:1], v4, v[5:8], s[2:3] offset:24 th:TH_ATOMIC_RETURN scope:SCOPE_SYS
	s_wait_loadcnt 0x0
	global_inv scope:SCOPE_SYS
	v_cmpx_ne_u64_e64 v[0:1], v[7:8]
	s_cbranch_execz .LBB73_249
; %bb.246:
	s_mov_b32 s5, 0
.LBB73_247:                             ; =>This Inner Loop Header: Depth=1
	s_sleep 1
	s_clause 0x1
	global_load_b64 v[5:6], v4, s[2:3] offset:40
	global_load_b64 v[9:10], v4, s[2:3]
	v_dual_mov_b32 v8, v1 :: v_dual_mov_b32 v7, v0
	s_wait_loadcnt 0x1
	s_delay_alu instid0(VALU_DEP_1) | instskip(NEXT) | instid1(VALU_DEP_2)
	v_and_b32_e32 v0, v5, v7
	v_and_b32_e32 v5, v6, v8
	s_wait_loadcnt 0x0
	s_delay_alu instid0(VALU_DEP_2) | instskip(NEXT) | instid1(VALU_DEP_1)
	v_mad_co_u64_u32 v[0:1], null, v0, 24, v[9:10]
	v_mad_co_u64_u32 v[5:6], null, v5, 24, v[1:2]
	s_delay_alu instid0(VALU_DEP_1)
	v_mov_b32_e32 v1, v5
	global_load_b64 v[5:6], v[0:1], off scope:SCOPE_SYS
	s_wait_loadcnt 0x0
	global_atomic_cmpswap_b64 v[0:1], v4, v[5:8], s[2:3] offset:24 th:TH_ATOMIC_RETURN scope:SCOPE_SYS
	s_wait_loadcnt 0x0
	global_inv scope:SCOPE_SYS
	v_cmp_eq_u64_e32 vcc_lo, v[0:1], v[7:8]
	s_wait_alu 0xfffe
	s_or_b32 s5, vcc_lo, s5
	s_wait_alu 0xfffe
	s_and_not1_b32 exec_lo, exec_lo, s5
	s_cbranch_execnz .LBB73_247
; %bb.248:
	s_or_b32 exec_lo, exec_lo, s5
.LBB73_249:
	s_wait_alu 0xfffe
	s_or_b32 exec_lo, exec_lo, s4
.LBB73_250:
	s_wait_alu 0xfffe
	s_or_b32 exec_lo, exec_lo, s1
	v_readfirstlane_b32 s4, v0
	v_mov_b32_e32 v5, 0
	v_readfirstlane_b32 s5, v1
	s_mov_b32 s1, exec_lo
	s_clause 0x1
	global_load_b64 v[10:11], v5, s[2:3] offset:40
	global_load_b128 v[6:9], v5, s[2:3]
	s_wait_loadcnt 0x1
	s_wait_alu 0xf1ff
	v_and_b32_e32 v1, s5, v11
	v_and_b32_e32 v0, s4, v10
	s_delay_alu instid0(VALU_DEP_2) | instskip(NEXT) | instid1(VALU_DEP_2)
	v_mul_lo_u32 v4, 24, v1
	v_mul_lo_u32 v10, 0, v0
	v_mul_hi_u32 v11, 24, v0
	v_mul_lo_u32 v12, 24, v0
	s_delay_alu instid0(VALU_DEP_3) | instskip(SKIP_1) | instid1(VALU_DEP_2)
	v_add_nc_u32_e32 v4, v4, v10
	s_wait_loadcnt 0x0
	v_add_co_u32 v10, vcc_lo, v6, v12
	s_delay_alu instid0(VALU_DEP_2) | instskip(SKIP_1) | instid1(VALU_DEP_1)
	v_add_nc_u32_e32 v4, v4, v11
	s_wait_alu 0xfffd
	v_add_co_ci_u32_e64 v11, null, v7, v4, vcc_lo
	s_and_saveexec_b32 s6, s0
	s_cbranch_execz .LBB73_252
; %bb.251:
	s_wait_alu 0xfffe
	v_dual_mov_b32 v4, s1 :: v_dual_mov_b32 v15, 1
	v_dual_mov_b32 v14, 2 :: v_dual_mov_b32 v13, v5
	s_delay_alu instid0(VALU_DEP_2)
	v_mov_b32_e32 v12, v4
	global_store_b128 v[10:11], v[12:15], off offset:8
.LBB73_252:
	s_wait_alu 0xfffe
	s_or_b32 exec_lo, exec_lo, s6
	v_lshlrev_b64_e32 v[0:1], 12, v[0:1]
	s_mov_b32 s12, 0
	v_and_or_b32 v2, 0xffffff1f, v2, 32
	s_wait_alu 0xfffe
	s_mov_b32 s13, s12
	s_mov_b32 s14, s12
	;; [unrolled: 1-line block ×3, first 2 shown]
	v_add_co_u32 v0, vcc_lo, v8, v0
	s_wait_alu 0xfffd
	v_add_co_ci_u32_e64 v1, null, v9, v1, vcc_lo
	v_mov_b32_e32 v4, 0x347
	s_delay_alu instid0(VALU_DEP_3) | instskip(SKIP_1) | instid1(VALU_DEP_4)
	v_add_co_u32 v8, vcc_lo, v0, v30
	v_readfirstlane_b32 s6, v0
	v_readfirstlane_b32 s7, v1
	s_wait_alu 0xfffe
	v_dual_mov_b32 v12, s12 :: v_dual_mov_b32 v15, s15
	s_wait_alu 0xfffd
	v_add_co_ci_u32_e64 v9, null, 0, v1, vcc_lo
	v_dual_mov_b32 v13, s13 :: v_dual_mov_b32 v14, s14
	s_clause 0x3
	global_store_b128 v30, v[2:5], s[6:7]
	global_store_b128 v30, v[12:15], s[6:7] offset:16
	global_store_b128 v30, v[12:15], s[6:7] offset:32
	;; [unrolled: 1-line block ×3, first 2 shown]
	s_and_saveexec_b32 s1, s0
	s_cbranch_execz .LBB73_260
; %bb.253:
	v_mov_b32_e32 v12, 0
	s_mov_b32 s6, exec_lo
	s_clause 0x1
	global_load_b64 v[15:16], v12, s[2:3] offset:32 scope:SCOPE_SYS
	global_load_b64 v[0:1], v12, s[2:3] offset:40
	v_dual_mov_b32 v13, s4 :: v_dual_mov_b32 v14, s5
	s_wait_loadcnt 0x0
	v_and_b32_e32 v1, s5, v1
	v_and_b32_e32 v0, s4, v0
	s_delay_alu instid0(VALU_DEP_2) | instskip(NEXT) | instid1(VALU_DEP_2)
	v_mul_lo_u32 v1, 24, v1
	v_mul_lo_u32 v2, 0, v0
	v_mul_hi_u32 v3, 24, v0
	v_mul_lo_u32 v0, 24, v0
	s_delay_alu instid0(VALU_DEP_3) | instskip(NEXT) | instid1(VALU_DEP_2)
	v_add_nc_u32_e32 v1, v1, v2
	v_add_co_u32 v4, vcc_lo, v6, v0
	s_delay_alu instid0(VALU_DEP_2) | instskip(SKIP_1) | instid1(VALU_DEP_1)
	v_add_nc_u32_e32 v1, v1, v3
	s_wait_alu 0xfffd
	v_add_co_ci_u32_e64 v5, null, v7, v1, vcc_lo
	global_store_b64 v[4:5], v[15:16], off
	global_wb scope:SCOPE_SYS
	s_wait_storecnt 0x0
	global_atomic_cmpswap_b64 v[2:3], v12, v[13:16], s[2:3] offset:32 th:TH_ATOMIC_RETURN scope:SCOPE_SYS
	s_wait_loadcnt 0x0
	v_cmpx_ne_u64_e64 v[2:3], v[15:16]
	s_cbranch_execz .LBB73_256
; %bb.254:
	s_mov_b32 s7, 0
.LBB73_255:                             ; =>This Inner Loop Header: Depth=1
	v_dual_mov_b32 v0, s4 :: v_dual_mov_b32 v1, s5
	s_sleep 1
	global_store_b64 v[4:5], v[2:3], off
	global_wb scope:SCOPE_SYS
	s_wait_storecnt 0x0
	global_atomic_cmpswap_b64 v[0:1], v12, v[0:3], s[2:3] offset:32 th:TH_ATOMIC_RETURN scope:SCOPE_SYS
	s_wait_loadcnt 0x0
	v_cmp_eq_u64_e32 vcc_lo, v[0:1], v[2:3]
	v_dual_mov_b32 v3, v1 :: v_dual_mov_b32 v2, v0
	s_wait_alu 0xfffe
	s_or_b32 s7, vcc_lo, s7
	s_wait_alu 0xfffe
	s_and_not1_b32 exec_lo, exec_lo, s7
	s_cbranch_execnz .LBB73_255
.LBB73_256:
	s_wait_alu 0xfffe
	s_or_b32 exec_lo, exec_lo, s6
	v_mov_b32_e32 v3, 0
	s_mov_b32 s7, exec_lo
	s_mov_b32 s6, exec_lo
	s_wait_alu 0xfffe
	v_mbcnt_lo_u32_b32 v2, s7, 0
	global_load_b64 v[0:1], v3, s[2:3] offset:16
	v_cmpx_eq_u32_e32 0, v2
	s_cbranch_execz .LBB73_258
; %bb.257:
	s_bcnt1_i32_b32 s7, s7
	s_wait_alu 0xfffe
	v_mov_b32_e32 v2, s7
	global_wb scope:SCOPE_SYS
	s_wait_loadcnt 0x0
	s_wait_storecnt 0x0
	global_atomic_add_u64 v[0:1], v[2:3], off offset:8 scope:SCOPE_SYS
.LBB73_258:
	s_or_b32 exec_lo, exec_lo, s6
	s_wait_loadcnt 0x0
	global_load_b64 v[2:3], v[0:1], off offset:16
	s_wait_loadcnt 0x0
	v_cmp_eq_u64_e32 vcc_lo, 0, v[2:3]
	s_cbranch_vccnz .LBB73_260
; %bb.259:
	global_load_b32 v0, v[0:1], off offset:24
	v_mov_b32_e32 v1, 0
	s_wait_loadcnt 0x0
	v_readfirstlane_b32 s6, v0
	global_wb scope:SCOPE_SYS
	s_wait_storecnt 0x0
	global_store_b64 v[2:3], v[0:1], off scope:SCOPE_SYS
	s_and_b32 m0, s6, 0xffffff
	s_sendmsg sendmsg(MSG_INTERRUPT)
.LBB73_260:
	s_wait_alu 0xfffe
	s_or_b32 exec_lo, exec_lo, s1
	s_branch .LBB73_264
.LBB73_261:                             ;   in Loop: Header=BB73_264 Depth=1
	s_wait_alu 0xfffe
	s_or_b32 exec_lo, exec_lo, s1
	s_delay_alu instid0(VALU_DEP_1)
	v_readfirstlane_b32 s1, v0
	s_cmp_eq_u32 s1, 0
	s_cbranch_scc1 .LBB73_263
; %bb.262:                              ;   in Loop: Header=BB73_264 Depth=1
	s_sleep 1
	s_cbranch_execnz .LBB73_264
	s_branch .LBB73_266
.LBB73_263:
	s_branch .LBB73_266
.LBB73_264:                             ; =>This Inner Loop Header: Depth=1
	v_mov_b32_e32 v0, 1
	s_and_saveexec_b32 s1, s0
	s_cbranch_execz .LBB73_261
; %bb.265:                              ;   in Loop: Header=BB73_264 Depth=1
	global_load_b32 v0, v[10:11], off offset:20 scope:SCOPE_SYS
	s_wait_loadcnt 0x0
	global_inv scope:SCOPE_SYS
	v_and_b32_e32 v0, 1, v0
	s_branch .LBB73_261
.LBB73_266:
	global_load_b64 v[0:1], v[8:9], off
	s_and_saveexec_b32 s6, s0
	s_cbranch_execz .LBB73_270
; %bb.267:
	v_mov_b32_e32 v8, 0
	s_clause 0x2
	global_load_b64 v[2:3], v8, s[2:3] offset:40
	global_load_b64 v[11:12], v8, s[2:3] offset:24 scope:SCOPE_SYS
	global_load_b64 v[4:5], v8, s[2:3]
	s_wait_loadcnt 0x2
	v_readfirstlane_b32 s10, v2
	v_readfirstlane_b32 s11, v3
	s_add_nc_u64 s[0:1], s[10:11], 1
	s_wait_alu 0xfffe
	s_add_nc_u64 s[4:5], s[0:1], s[4:5]
	s_wait_alu 0xfffe
	s_cmp_eq_u64 s[4:5], 0
	s_cselect_b32 s1, s1, s5
	s_cselect_b32 s0, s0, s4
	s_wait_alu 0xfffe
	v_mov_b32_e32 v10, s1
	s_and_b64 s[4:5], s[0:1], s[10:11]
	v_mov_b32_e32 v9, s0
	s_wait_alu 0xfffe
	s_mul_u64 s[4:5], s[4:5], 24
	s_wait_loadcnt 0x0
	s_wait_alu 0xfffe
	v_add_co_u32 v6, vcc_lo, v4, s4
	s_wait_alu 0xfffd
	v_add_co_ci_u32_e64 v7, null, s5, v5, vcc_lo
	global_store_b64 v[6:7], v[11:12], off
	global_wb scope:SCOPE_SYS
	s_wait_storecnt 0x0
	global_atomic_cmpswap_b64 v[4:5], v8, v[9:12], s[2:3] offset:24 th:TH_ATOMIC_RETURN scope:SCOPE_SYS
	s_wait_loadcnt 0x0
	v_cmp_ne_u64_e32 vcc_lo, v[4:5], v[11:12]
	s_and_b32 exec_lo, exec_lo, vcc_lo
	s_cbranch_execz .LBB73_270
; %bb.268:
	s_mov_b32 s4, 0
.LBB73_269:                             ; =>This Inner Loop Header: Depth=1
	v_dual_mov_b32 v2, s0 :: v_dual_mov_b32 v3, s1
	s_sleep 1
	global_store_b64 v[6:7], v[4:5], off
	global_wb scope:SCOPE_SYS
	s_wait_storecnt 0x0
	global_atomic_cmpswap_b64 v[2:3], v8, v[2:5], s[2:3] offset:24 th:TH_ATOMIC_RETURN scope:SCOPE_SYS
	s_wait_loadcnt 0x0
	v_cmp_eq_u64_e32 vcc_lo, v[2:3], v[4:5]
	v_dual_mov_b32 v5, v3 :: v_dual_mov_b32 v4, v2
	s_wait_alu 0xfffe
	s_or_b32 s4, vcc_lo, s4
	s_wait_alu 0xfffe
	s_and_not1_b32 exec_lo, exec_lo, s4
	s_cbranch_execnz .LBB73_269
.LBB73_270:
	s_wait_alu 0xfffe
	s_or_b32 exec_lo, exec_lo, s6
	s_getpc_b64 s[0:1]
	s_wait_alu 0xfffe
	s_sext_i32_i16 s1, s1
	s_add_co_u32 s0, s0, __FUNCTION__._ZL15flash_attn_tileILi64ELi64ELi8ELi8ELb1EEvPKcS1_S1_S1_S1_PKiPfP15HIP_vector_typeIfLj2EEffffjfiS5_IjLj3EEiiiiiiiiiiiliiliiiiil@rel32@lo+12
	s_wait_alu 0xfffe
	s_add_co_ci_u32 s1, s1, __FUNCTION__._ZL15flash_attn_tileILi64ELi64ELi8ELi8ELb1EEvPKcS1_S1_S1_S1_PKiPfP15HIP_vector_typeIfLj2EEffffjfiS5_IjLj3EEiiiiiiiiiiiliiliiiiil@rel32@hi+24
	s_wait_alu 0xfffe
	v_dual_mov_b32 v2, s0 :: v_dual_mov_b32 v3, s1
	s_cmp_lg_u64 s[0:1], 0
	s_mov_b64 s[14:15], s[8:9]
	s_cselect_b32 s4, 16, 0
	s_wait_alu 0xfffe
	v_dual_mov_b32 v5, 0 :: v_dual_mov_b32 v4, s4
	s_getpc_b64 s[2:3]
	s_wait_alu 0xfffe
	s_sext_i32_i16 s3, s3
	s_add_co_u32 s2, s2, __ockl_printf_append_string_n@rel32@lo+12
	s_wait_alu 0xfffe
	s_add_co_ci_u32 s3, s3, __ockl_printf_append_string_n@rel32@hi+24
	s_wait_alu 0xfffe
	s_swappc_b64 s[30:31], s[2:3]
	v_dual_mov_b32 v2, 0x514 :: v_dual_mov_b32 v3, 0
	v_mov_b32_e32 v4, 1
	s_getpc_b64 s[0:1]
	s_wait_alu 0xfffe
	s_sext_i32_i16 s1, s1
	s_add_co_u32 s0, s0, __ockl_printf_append_args@rel32@lo+12
	s_wait_alu 0xfffe
	s_add_co_ci_u32 s1, s1, __ockl_printf_append_args@rel32@hi+24
	s_mov_b64 s[8:9], s[14:15]
	s_wait_alu 0xfffe
	s_swappc_b64 s[30:31], s[0:1]
	s_trap 2
.Lfunc_end73:
	.size	_ZL14no_device_codePKciS0_iS0_, .Lfunc_end73-_ZL14no_device_codePKciS0_iS0_
                                        ; -- End function
	.set .L_ZL14no_device_codePKciS0_iS0_.num_vgpr, max(40, .L__ockl_printf_append_string_n.num_vgpr, .L__ockl_printf_append_args.num_vgpr)
	.set .L_ZL14no_device_codePKciS0_iS0_.num_agpr, max(0, .L__ockl_printf_append_string_n.num_agpr, .L__ockl_printf_append_args.num_agpr)
	.set .L_ZL14no_device_codePKciS0_iS0_.numbered_sgpr, max(34, .L__ockl_printf_append_string_n.numbered_sgpr, .L__ockl_printf_append_args.numbered_sgpr)
	.set .L_ZL14no_device_codePKciS0_iS0_.num_named_barrier, max(0, .L__ockl_printf_append_string_n.num_named_barrier, .L__ockl_printf_append_args.num_named_barrier)
	.set .L_ZL14no_device_codePKciS0_iS0_.private_seg_size, 16+max(.L__ockl_printf_append_string_n.private_seg_size, .L__ockl_printf_append_args.private_seg_size)
	.set .L_ZL14no_device_codePKciS0_iS0_.uses_vcc, or(1, .L__ockl_printf_append_string_n.uses_vcc, .L__ockl_printf_append_args.uses_vcc)
	.set .L_ZL14no_device_codePKciS0_iS0_.uses_flat_scratch, or(0, .L__ockl_printf_append_string_n.uses_flat_scratch, .L__ockl_printf_append_args.uses_flat_scratch)
	.set .L_ZL14no_device_codePKciS0_iS0_.has_dyn_sized_stack, or(0, .L__ockl_printf_append_string_n.has_dyn_sized_stack, .L__ockl_printf_append_args.has_dyn_sized_stack)
	.set .L_ZL14no_device_codePKciS0_iS0_.has_recursion, or(0, .L__ockl_printf_append_string_n.has_recursion, .L__ockl_printf_append_args.has_recursion)
	.set .L_ZL14no_device_codePKciS0_iS0_.has_indirect_call, or(0, .L__ockl_printf_append_string_n.has_indirect_call, .L__ockl_printf_append_args.has_indirect_call)
	.section	.AMDGPU.csdata,"",@progbits
; Function info:
; codeLenInByte = 12692
; TotalNumSgprs: 36
; NumVgprs: 40
; ScratchSize: 16
; MemoryBound: 0
	.section	.text._ZL15flash_attn_tileILi64ELi64ELi8ELi8ELb1EEvPKcS1_S1_S1_S1_PKiPfP15HIP_vector_typeIfLj2EEffffjfiS5_IjLj3EEiiiiiiiiiiiliiliiiiil,"axG",@progbits,_ZL15flash_attn_tileILi64ELi64ELi8ELi8ELb1EEvPKcS1_S1_S1_S1_PKiPfP15HIP_vector_typeIfLj2EEffffjfiS5_IjLj3EEiiiiiiiiiiiliiliiiiil,comdat
	.globl	_ZL15flash_attn_tileILi64ELi64ELi8ELi8ELb1EEvPKcS1_S1_S1_S1_PKiPfP15HIP_vector_typeIfLj2EEffffjfiS5_IjLj3EEiiiiiiiiiiiliiliiiiil ; -- Begin function _ZL15flash_attn_tileILi64ELi64ELi8ELi8ELb1EEvPKcS1_S1_S1_S1_PKiPfP15HIP_vector_typeIfLj2EEffffjfiS5_IjLj3EEiiiiiiiiiiiliiliiiiil
	.p2align	8
	.type	_ZL15flash_attn_tileILi64ELi64ELi8ELi8ELb1EEvPKcS1_S1_S1_S1_PKiPfP15HIP_vector_typeIfLj2EEffffjfiS5_IjLj3EEiiiiiiiiiiiliiliiiiil,@function
_ZL15flash_attn_tileILi64ELi64ELi8ELi8ELb1EEvPKcS1_S1_S1_S1_PKiPfP15HIP_vector_typeIfLj2EEffffjfiS5_IjLj3EEiiiiiiiiiiiliiliiiiil: ; @_ZL15flash_attn_tileILi64ELi64ELi8ELi8ELb1EEvPKcS1_S1_S1_S1_PKiPfP15HIP_vector_typeIfLj2EEffffjfiS5_IjLj3EEiiiiiiiiiiiliiliiiiil
; %bb.0:
	s_getpc_b64 s[2:3]
	s_sext_i32_i16 s3, s3
	s_add_co_u32 s2, s2, _ZL14no_device_codePKciS0_iS0_@rel32@lo+8
	s_add_co_ci_u32 s3, s3, _ZL14no_device_codePKciS0_iS0_@rel32@hi+16
	s_add_nc_u64 s[8:9], s[0:1], 0xd0
	s_mov_b32 s32, 0
	s_swappc_b64 s[30:31], s[2:3]
	.section	.rodata,"a",@progbits
	.p2align	6, 0x0
	.amdhsa_kernel _ZL15flash_attn_tileILi64ELi64ELi8ELi8ELb1EEvPKcS1_S1_S1_S1_PKiPfP15HIP_vector_typeIfLj2EEffffjfiS5_IjLj3EEiiiiiiiiiiiliiliiiiil
		.amdhsa_group_segment_fixed_size 0
		.amdhsa_private_segment_fixed_size 16
		.amdhsa_kernarg_size 464
		.amdhsa_user_sgpr_count 2
		.amdhsa_user_sgpr_dispatch_ptr 0
		.amdhsa_user_sgpr_queue_ptr 0
		.amdhsa_user_sgpr_kernarg_segment_ptr 1
		.amdhsa_user_sgpr_dispatch_id 0
		.amdhsa_user_sgpr_private_segment_size 0
		.amdhsa_wavefront_size32 1
		.amdhsa_uses_dynamic_stack 0
		.amdhsa_enable_private_segment 1
		.amdhsa_system_sgpr_workgroup_id_x 1
		.amdhsa_system_sgpr_workgroup_id_y 0
		.amdhsa_system_sgpr_workgroup_id_z 0
		.amdhsa_system_sgpr_workgroup_info 0
		.amdhsa_system_vgpr_workitem_id 0
		.amdhsa_next_free_vgpr 40
		.amdhsa_next_free_sgpr 34
		.amdhsa_reserve_vcc 1
		.amdhsa_float_round_mode_32 0
		.amdhsa_float_round_mode_16_64 0
		.amdhsa_float_denorm_mode_32 3
		.amdhsa_float_denorm_mode_16_64 3
		.amdhsa_fp16_overflow 0
		.amdhsa_workgroup_processor_mode 1
		.amdhsa_memory_ordered 1
		.amdhsa_forward_progress 1
		.amdhsa_inst_pref_size 1
		.amdhsa_round_robin_scheduling 0
		.amdhsa_exception_fp_ieee_invalid_op 0
		.amdhsa_exception_fp_denorm_src 0
		.amdhsa_exception_fp_ieee_div_zero 0
		.amdhsa_exception_fp_ieee_overflow 0
		.amdhsa_exception_fp_ieee_underflow 0
		.amdhsa_exception_fp_ieee_inexact 0
		.amdhsa_exception_int_div_zero 0
	.end_amdhsa_kernel
	.section	.text._ZL15flash_attn_tileILi64ELi64ELi8ELi8ELb1EEvPKcS1_S1_S1_S1_PKiPfP15HIP_vector_typeIfLj2EEffffjfiS5_IjLj3EEiiiiiiiiiiiliiliiiiil,"axG",@progbits,_ZL15flash_attn_tileILi64ELi64ELi8ELi8ELb1EEvPKcS1_S1_S1_S1_PKiPfP15HIP_vector_typeIfLj2EEffffjfiS5_IjLj3EEiiiiiiiiiiiliiliiiiil,comdat
.Lfunc_end74:
	.size	_ZL15flash_attn_tileILi64ELi64ELi8ELi8ELb1EEvPKcS1_S1_S1_S1_PKiPfP15HIP_vector_typeIfLj2EEffffjfiS5_IjLj3EEiiiiiiiiiiiliiliiiiil, .Lfunc_end74-_ZL15flash_attn_tileILi64ELi64ELi8ELi8ELb1EEvPKcS1_S1_S1_S1_PKiPfP15HIP_vector_typeIfLj2EEffffjfiS5_IjLj3EEiiiiiiiiiiiliiliiiiil
                                        ; -- End function
	.set _ZL15flash_attn_tileILi64ELi64ELi8ELi8ELb1EEvPKcS1_S1_S1_S1_PKiPfP15HIP_vector_typeIfLj2EEffffjfiS5_IjLj3EEiiiiiiiiiiiliiliiiiil.num_vgpr, max(0, .L_ZL14no_device_codePKciS0_iS0_.num_vgpr)
	.set _ZL15flash_attn_tileILi64ELi64ELi8ELi8ELb1EEvPKcS1_S1_S1_S1_PKiPfP15HIP_vector_typeIfLj2EEffffjfiS5_IjLj3EEiiiiiiiiiiiliiliiiiil.num_agpr, max(0, .L_ZL14no_device_codePKciS0_iS0_.num_agpr)
	.set _ZL15flash_attn_tileILi64ELi64ELi8ELi8ELb1EEvPKcS1_S1_S1_S1_PKiPfP15HIP_vector_typeIfLj2EEffffjfiS5_IjLj3EEiiiiiiiiiiiliiliiiiil.numbered_sgpr, max(33, .L_ZL14no_device_codePKciS0_iS0_.numbered_sgpr)
	.set _ZL15flash_attn_tileILi64ELi64ELi8ELi8ELb1EEvPKcS1_S1_S1_S1_PKiPfP15HIP_vector_typeIfLj2EEffffjfiS5_IjLj3EEiiiiiiiiiiiliiliiiiil.num_named_barrier, max(0, .L_ZL14no_device_codePKciS0_iS0_.num_named_barrier)
	.set _ZL15flash_attn_tileILi64ELi64ELi8ELi8ELb1EEvPKcS1_S1_S1_S1_PKiPfP15HIP_vector_typeIfLj2EEffffjfiS5_IjLj3EEiiiiiiiiiiiliiliiiiil.private_seg_size, 0+max(.L_ZL14no_device_codePKciS0_iS0_.private_seg_size)
	.set _ZL15flash_attn_tileILi64ELi64ELi8ELi8ELb1EEvPKcS1_S1_S1_S1_PKiPfP15HIP_vector_typeIfLj2EEffffjfiS5_IjLj3EEiiiiiiiiiiiliiliiiiil.uses_vcc, or(1, .L_ZL14no_device_codePKciS0_iS0_.uses_vcc)
	.set _ZL15flash_attn_tileILi64ELi64ELi8ELi8ELb1EEvPKcS1_S1_S1_S1_PKiPfP15HIP_vector_typeIfLj2EEffffjfiS5_IjLj3EEiiiiiiiiiiiliiliiiiil.uses_flat_scratch, or(0, .L_ZL14no_device_codePKciS0_iS0_.uses_flat_scratch)
	.set _ZL15flash_attn_tileILi64ELi64ELi8ELi8ELb1EEvPKcS1_S1_S1_S1_PKiPfP15HIP_vector_typeIfLj2EEffffjfiS5_IjLj3EEiiiiiiiiiiiliiliiiiil.has_dyn_sized_stack, or(0, .L_ZL14no_device_codePKciS0_iS0_.has_dyn_sized_stack)
	.set _ZL15flash_attn_tileILi64ELi64ELi8ELi8ELb1EEvPKcS1_S1_S1_S1_PKiPfP15HIP_vector_typeIfLj2EEffffjfiS5_IjLj3EEiiiiiiiiiiiliiliiiiil.has_recursion, or(0, .L_ZL14no_device_codePKciS0_iS0_.has_recursion)
	.set _ZL15flash_attn_tileILi64ELi64ELi8ELi8ELb1EEvPKcS1_S1_S1_S1_PKiPfP15HIP_vector_typeIfLj2EEffffjfiS5_IjLj3EEiiiiiiiiiiiliiliiiiil.has_indirect_call, or(0, .L_ZL14no_device_codePKciS0_iS0_.has_indirect_call)
	.section	.AMDGPU.csdata,"",@progbits
; Kernel info:
; codeLenInByte = 40
; TotalNumSgprs: 36
; NumVgprs: 40
; ScratchSize: 16
; MemoryBound: 0
; FloatMode: 240
; IeeeMode: 1
; LDSByteSize: 0 bytes/workgroup (compile time only)
; SGPRBlocks: 0
; VGPRBlocks: 4
; NumSGPRsForWavesPerEU: 36
; NumVGPRsForWavesPerEU: 40
; Occupancy: 16
; WaveLimiterHint : 1
; COMPUTE_PGM_RSRC2:SCRATCH_EN: 1
; COMPUTE_PGM_RSRC2:USER_SGPR: 2
; COMPUTE_PGM_RSRC2:TRAP_HANDLER: 0
; COMPUTE_PGM_RSRC2:TGID_X_EN: 1
; COMPUTE_PGM_RSRC2:TGID_Y_EN: 0
; COMPUTE_PGM_RSRC2:TGID_Z_EN: 0
; COMPUTE_PGM_RSRC2:TIDIG_COMP_CNT: 0
	.section	.text._ZL15flash_attn_tileILi64ELi64ELi4ELi8ELb1EEvPKcS1_S1_S1_S1_PKiPfP15HIP_vector_typeIfLj2EEffffjfiS5_IjLj3EEiiiiiiiiiiiliiliiiiil,"axG",@progbits,_ZL15flash_attn_tileILi64ELi64ELi4ELi8ELb1EEvPKcS1_S1_S1_S1_PKiPfP15HIP_vector_typeIfLj2EEffffjfiS5_IjLj3EEiiiiiiiiiiiliiliiiiil,comdat
	.globl	_ZL15flash_attn_tileILi64ELi64ELi4ELi8ELb1EEvPKcS1_S1_S1_S1_PKiPfP15HIP_vector_typeIfLj2EEffffjfiS5_IjLj3EEiiiiiiiiiiiliiliiiiil ; -- Begin function _ZL15flash_attn_tileILi64ELi64ELi4ELi8ELb1EEvPKcS1_S1_S1_S1_PKiPfP15HIP_vector_typeIfLj2EEffffjfiS5_IjLj3EEiiiiiiiiiiiliiliiiiil
	.p2align	8
	.type	_ZL15flash_attn_tileILi64ELi64ELi4ELi8ELb1EEvPKcS1_S1_S1_S1_PKiPfP15HIP_vector_typeIfLj2EEffffjfiS5_IjLj3EEiiiiiiiiiiiliiliiiiil,@function
_ZL15flash_attn_tileILi64ELi64ELi4ELi8ELb1EEvPKcS1_S1_S1_S1_PKiPfP15HIP_vector_typeIfLj2EEffffjfiS5_IjLj3EEiiiiiiiiiiiliiliiiiil: ; @_ZL15flash_attn_tileILi64ELi64ELi4ELi8ELb1EEvPKcS1_S1_S1_S1_PKiPfP15HIP_vector_typeIfLj2EEffffjfiS5_IjLj3EEiiiiiiiiiiiliiliiiiil
; %bb.0:
	s_getpc_b64 s[2:3]
	s_sext_i32_i16 s3, s3
	s_add_co_u32 s2, s2, _ZL14no_device_codePKciS0_iS0_@rel32@lo+8
	s_add_co_ci_u32 s3, s3, _ZL14no_device_codePKciS0_iS0_@rel32@hi+16
	s_add_nc_u64 s[8:9], s[0:1], 0xd0
	s_mov_b32 s32, 0
	s_swappc_b64 s[30:31], s[2:3]
	.section	.rodata,"a",@progbits
	.p2align	6, 0x0
	.amdhsa_kernel _ZL15flash_attn_tileILi64ELi64ELi4ELi8ELb1EEvPKcS1_S1_S1_S1_PKiPfP15HIP_vector_typeIfLj2EEffffjfiS5_IjLj3EEiiiiiiiiiiiliiliiiiil
		.amdhsa_group_segment_fixed_size 0
		.amdhsa_private_segment_fixed_size 16
		.amdhsa_kernarg_size 464
		.amdhsa_user_sgpr_count 2
		.amdhsa_user_sgpr_dispatch_ptr 0
		.amdhsa_user_sgpr_queue_ptr 0
		.amdhsa_user_sgpr_kernarg_segment_ptr 1
		.amdhsa_user_sgpr_dispatch_id 0
		.amdhsa_user_sgpr_private_segment_size 0
		.amdhsa_wavefront_size32 1
		.amdhsa_uses_dynamic_stack 0
		.amdhsa_enable_private_segment 1
		.amdhsa_system_sgpr_workgroup_id_x 1
		.amdhsa_system_sgpr_workgroup_id_y 0
		.amdhsa_system_sgpr_workgroup_id_z 0
		.amdhsa_system_sgpr_workgroup_info 0
		.amdhsa_system_vgpr_workitem_id 0
		.amdhsa_next_free_vgpr 40
		.amdhsa_next_free_sgpr 34
		.amdhsa_reserve_vcc 1
		.amdhsa_float_round_mode_32 0
		.amdhsa_float_round_mode_16_64 0
		.amdhsa_float_denorm_mode_32 3
		.amdhsa_float_denorm_mode_16_64 3
		.amdhsa_fp16_overflow 0
		.amdhsa_workgroup_processor_mode 1
		.amdhsa_memory_ordered 1
		.amdhsa_forward_progress 1
		.amdhsa_inst_pref_size 1
		.amdhsa_round_robin_scheduling 0
		.amdhsa_exception_fp_ieee_invalid_op 0
		.amdhsa_exception_fp_denorm_src 0
		.amdhsa_exception_fp_ieee_div_zero 0
		.amdhsa_exception_fp_ieee_overflow 0
		.amdhsa_exception_fp_ieee_underflow 0
		.amdhsa_exception_fp_ieee_inexact 0
		.amdhsa_exception_int_div_zero 0
	.end_amdhsa_kernel
	.section	.text._ZL15flash_attn_tileILi64ELi64ELi4ELi8ELb1EEvPKcS1_S1_S1_S1_PKiPfP15HIP_vector_typeIfLj2EEffffjfiS5_IjLj3EEiiiiiiiiiiiliiliiiiil,"axG",@progbits,_ZL15flash_attn_tileILi64ELi64ELi4ELi8ELb1EEvPKcS1_S1_S1_S1_PKiPfP15HIP_vector_typeIfLj2EEffffjfiS5_IjLj3EEiiiiiiiiiiiliiliiiiil,comdat
.Lfunc_end75:
	.size	_ZL15flash_attn_tileILi64ELi64ELi4ELi8ELb1EEvPKcS1_S1_S1_S1_PKiPfP15HIP_vector_typeIfLj2EEffffjfiS5_IjLj3EEiiiiiiiiiiiliiliiiiil, .Lfunc_end75-_ZL15flash_attn_tileILi64ELi64ELi4ELi8ELb1EEvPKcS1_S1_S1_S1_PKiPfP15HIP_vector_typeIfLj2EEffffjfiS5_IjLj3EEiiiiiiiiiiiliiliiiiil
                                        ; -- End function
	.set _ZL15flash_attn_tileILi64ELi64ELi4ELi8ELb1EEvPKcS1_S1_S1_S1_PKiPfP15HIP_vector_typeIfLj2EEffffjfiS5_IjLj3EEiiiiiiiiiiiliiliiiiil.num_vgpr, max(0, .L_ZL14no_device_codePKciS0_iS0_.num_vgpr)
	.set _ZL15flash_attn_tileILi64ELi64ELi4ELi8ELb1EEvPKcS1_S1_S1_S1_PKiPfP15HIP_vector_typeIfLj2EEffffjfiS5_IjLj3EEiiiiiiiiiiiliiliiiiil.num_agpr, max(0, .L_ZL14no_device_codePKciS0_iS0_.num_agpr)
	.set _ZL15flash_attn_tileILi64ELi64ELi4ELi8ELb1EEvPKcS1_S1_S1_S1_PKiPfP15HIP_vector_typeIfLj2EEffffjfiS5_IjLj3EEiiiiiiiiiiiliiliiiiil.numbered_sgpr, max(33, .L_ZL14no_device_codePKciS0_iS0_.numbered_sgpr)
	.set _ZL15flash_attn_tileILi64ELi64ELi4ELi8ELb1EEvPKcS1_S1_S1_S1_PKiPfP15HIP_vector_typeIfLj2EEffffjfiS5_IjLj3EEiiiiiiiiiiiliiliiiiil.num_named_barrier, max(0, .L_ZL14no_device_codePKciS0_iS0_.num_named_barrier)
	.set _ZL15flash_attn_tileILi64ELi64ELi4ELi8ELb1EEvPKcS1_S1_S1_S1_PKiPfP15HIP_vector_typeIfLj2EEffffjfiS5_IjLj3EEiiiiiiiiiiiliiliiiiil.private_seg_size, 0+max(.L_ZL14no_device_codePKciS0_iS0_.private_seg_size)
	.set _ZL15flash_attn_tileILi64ELi64ELi4ELi8ELb1EEvPKcS1_S1_S1_S1_PKiPfP15HIP_vector_typeIfLj2EEffffjfiS5_IjLj3EEiiiiiiiiiiiliiliiiiil.uses_vcc, or(1, .L_ZL14no_device_codePKciS0_iS0_.uses_vcc)
	.set _ZL15flash_attn_tileILi64ELi64ELi4ELi8ELb1EEvPKcS1_S1_S1_S1_PKiPfP15HIP_vector_typeIfLj2EEffffjfiS5_IjLj3EEiiiiiiiiiiiliiliiiiil.uses_flat_scratch, or(0, .L_ZL14no_device_codePKciS0_iS0_.uses_flat_scratch)
	.set _ZL15flash_attn_tileILi64ELi64ELi4ELi8ELb1EEvPKcS1_S1_S1_S1_PKiPfP15HIP_vector_typeIfLj2EEffffjfiS5_IjLj3EEiiiiiiiiiiiliiliiiiil.has_dyn_sized_stack, or(0, .L_ZL14no_device_codePKciS0_iS0_.has_dyn_sized_stack)
	.set _ZL15flash_attn_tileILi64ELi64ELi4ELi8ELb1EEvPKcS1_S1_S1_S1_PKiPfP15HIP_vector_typeIfLj2EEffffjfiS5_IjLj3EEiiiiiiiiiiiliiliiiiil.has_recursion, or(0, .L_ZL14no_device_codePKciS0_iS0_.has_recursion)
	.set _ZL15flash_attn_tileILi64ELi64ELi4ELi8ELb1EEvPKcS1_S1_S1_S1_PKiPfP15HIP_vector_typeIfLj2EEffffjfiS5_IjLj3EEiiiiiiiiiiiliiliiiiil.has_indirect_call, or(0, .L_ZL14no_device_codePKciS0_iS0_.has_indirect_call)
	.section	.AMDGPU.csdata,"",@progbits
; Kernel info:
; codeLenInByte = 40
; TotalNumSgprs: 36
; NumVgprs: 40
; ScratchSize: 16
; MemoryBound: 0
; FloatMode: 240
; IeeeMode: 1
; LDSByteSize: 0 bytes/workgroup (compile time only)
; SGPRBlocks: 0
; VGPRBlocks: 4
; NumSGPRsForWavesPerEU: 36
; NumVGPRsForWavesPerEU: 40
; Occupancy: 16
; WaveLimiterHint : 1
; COMPUTE_PGM_RSRC2:SCRATCH_EN: 1
; COMPUTE_PGM_RSRC2:USER_SGPR: 2
; COMPUTE_PGM_RSRC2:TRAP_HANDLER: 0
; COMPUTE_PGM_RSRC2:TGID_X_EN: 1
; COMPUTE_PGM_RSRC2:TGID_Y_EN: 0
; COMPUTE_PGM_RSRC2:TGID_Z_EN: 0
; COMPUTE_PGM_RSRC2:TIDIG_COMP_CNT: 0
	.section	.text._ZL15flash_attn_tileILi64ELi64ELi2ELi8ELb1EEvPKcS1_S1_S1_S1_PKiPfP15HIP_vector_typeIfLj2EEffffjfiS5_IjLj3EEiiiiiiiiiiiliiliiiiil,"axG",@progbits,_ZL15flash_attn_tileILi64ELi64ELi2ELi8ELb1EEvPKcS1_S1_S1_S1_PKiPfP15HIP_vector_typeIfLj2EEffffjfiS5_IjLj3EEiiiiiiiiiiiliiliiiiil,comdat
	.globl	_ZL15flash_attn_tileILi64ELi64ELi2ELi8ELb1EEvPKcS1_S1_S1_S1_PKiPfP15HIP_vector_typeIfLj2EEffffjfiS5_IjLj3EEiiiiiiiiiiiliiliiiiil ; -- Begin function _ZL15flash_attn_tileILi64ELi64ELi2ELi8ELb1EEvPKcS1_S1_S1_S1_PKiPfP15HIP_vector_typeIfLj2EEffffjfiS5_IjLj3EEiiiiiiiiiiiliiliiiiil
	.p2align	8
	.type	_ZL15flash_attn_tileILi64ELi64ELi2ELi8ELb1EEvPKcS1_S1_S1_S1_PKiPfP15HIP_vector_typeIfLj2EEffffjfiS5_IjLj3EEiiiiiiiiiiiliiliiiiil,@function
_ZL15flash_attn_tileILi64ELi64ELi2ELi8ELb1EEvPKcS1_S1_S1_S1_PKiPfP15HIP_vector_typeIfLj2EEffffjfiS5_IjLj3EEiiiiiiiiiiiliiliiiiil: ; @_ZL15flash_attn_tileILi64ELi64ELi2ELi8ELb1EEvPKcS1_S1_S1_S1_PKiPfP15HIP_vector_typeIfLj2EEffffjfiS5_IjLj3EEiiiiiiiiiiiliiliiiiil
; %bb.0:
	s_getpc_b64 s[2:3]
	s_sext_i32_i16 s3, s3
	s_add_co_u32 s2, s2, _ZL14no_device_codePKciS0_iS0_@rel32@lo+8
	s_add_co_ci_u32 s3, s3, _ZL14no_device_codePKciS0_iS0_@rel32@hi+16
	s_add_nc_u64 s[8:9], s[0:1], 0xd0
	s_mov_b32 s32, 0
	s_swappc_b64 s[30:31], s[2:3]
	.section	.rodata,"a",@progbits
	.p2align	6, 0x0
	.amdhsa_kernel _ZL15flash_attn_tileILi64ELi64ELi2ELi8ELb1EEvPKcS1_S1_S1_S1_PKiPfP15HIP_vector_typeIfLj2EEffffjfiS5_IjLj3EEiiiiiiiiiiiliiliiiiil
		.amdhsa_group_segment_fixed_size 0
		.amdhsa_private_segment_fixed_size 16
		.amdhsa_kernarg_size 464
		.amdhsa_user_sgpr_count 2
		.amdhsa_user_sgpr_dispatch_ptr 0
		.amdhsa_user_sgpr_queue_ptr 0
		.amdhsa_user_sgpr_kernarg_segment_ptr 1
		.amdhsa_user_sgpr_dispatch_id 0
		.amdhsa_user_sgpr_private_segment_size 0
		.amdhsa_wavefront_size32 1
		.amdhsa_uses_dynamic_stack 0
		.amdhsa_enable_private_segment 1
		.amdhsa_system_sgpr_workgroup_id_x 1
		.amdhsa_system_sgpr_workgroup_id_y 0
		.amdhsa_system_sgpr_workgroup_id_z 0
		.amdhsa_system_sgpr_workgroup_info 0
		.amdhsa_system_vgpr_workitem_id 0
		.amdhsa_next_free_vgpr 40
		.amdhsa_next_free_sgpr 34
		.amdhsa_reserve_vcc 1
		.amdhsa_float_round_mode_32 0
		.amdhsa_float_round_mode_16_64 0
		.amdhsa_float_denorm_mode_32 3
		.amdhsa_float_denorm_mode_16_64 3
		.amdhsa_fp16_overflow 0
		.amdhsa_workgroup_processor_mode 1
		.amdhsa_memory_ordered 1
		.amdhsa_forward_progress 1
		.amdhsa_inst_pref_size 1
		.amdhsa_round_robin_scheduling 0
		.amdhsa_exception_fp_ieee_invalid_op 0
		.amdhsa_exception_fp_denorm_src 0
		.amdhsa_exception_fp_ieee_div_zero 0
		.amdhsa_exception_fp_ieee_overflow 0
		.amdhsa_exception_fp_ieee_underflow 0
		.amdhsa_exception_fp_ieee_inexact 0
		.amdhsa_exception_int_div_zero 0
	.end_amdhsa_kernel
	.section	.text._ZL15flash_attn_tileILi64ELi64ELi2ELi8ELb1EEvPKcS1_S1_S1_S1_PKiPfP15HIP_vector_typeIfLj2EEffffjfiS5_IjLj3EEiiiiiiiiiiiliiliiiiil,"axG",@progbits,_ZL15flash_attn_tileILi64ELi64ELi2ELi8ELb1EEvPKcS1_S1_S1_S1_PKiPfP15HIP_vector_typeIfLj2EEffffjfiS5_IjLj3EEiiiiiiiiiiiliiliiiiil,comdat
.Lfunc_end76:
	.size	_ZL15flash_attn_tileILi64ELi64ELi2ELi8ELb1EEvPKcS1_S1_S1_S1_PKiPfP15HIP_vector_typeIfLj2EEffffjfiS5_IjLj3EEiiiiiiiiiiiliiliiiiil, .Lfunc_end76-_ZL15flash_attn_tileILi64ELi64ELi2ELi8ELb1EEvPKcS1_S1_S1_S1_PKiPfP15HIP_vector_typeIfLj2EEffffjfiS5_IjLj3EEiiiiiiiiiiiliiliiiiil
                                        ; -- End function
	.set _ZL15flash_attn_tileILi64ELi64ELi2ELi8ELb1EEvPKcS1_S1_S1_S1_PKiPfP15HIP_vector_typeIfLj2EEffffjfiS5_IjLj3EEiiiiiiiiiiiliiliiiiil.num_vgpr, max(0, .L_ZL14no_device_codePKciS0_iS0_.num_vgpr)
	.set _ZL15flash_attn_tileILi64ELi64ELi2ELi8ELb1EEvPKcS1_S1_S1_S1_PKiPfP15HIP_vector_typeIfLj2EEffffjfiS5_IjLj3EEiiiiiiiiiiiliiliiiiil.num_agpr, max(0, .L_ZL14no_device_codePKciS0_iS0_.num_agpr)
	.set _ZL15flash_attn_tileILi64ELi64ELi2ELi8ELb1EEvPKcS1_S1_S1_S1_PKiPfP15HIP_vector_typeIfLj2EEffffjfiS5_IjLj3EEiiiiiiiiiiiliiliiiiil.numbered_sgpr, max(33, .L_ZL14no_device_codePKciS0_iS0_.numbered_sgpr)
	.set _ZL15flash_attn_tileILi64ELi64ELi2ELi8ELb1EEvPKcS1_S1_S1_S1_PKiPfP15HIP_vector_typeIfLj2EEffffjfiS5_IjLj3EEiiiiiiiiiiiliiliiiiil.num_named_barrier, max(0, .L_ZL14no_device_codePKciS0_iS0_.num_named_barrier)
	.set _ZL15flash_attn_tileILi64ELi64ELi2ELi8ELb1EEvPKcS1_S1_S1_S1_PKiPfP15HIP_vector_typeIfLj2EEffffjfiS5_IjLj3EEiiiiiiiiiiiliiliiiiil.private_seg_size, 0+max(.L_ZL14no_device_codePKciS0_iS0_.private_seg_size)
	.set _ZL15flash_attn_tileILi64ELi64ELi2ELi8ELb1EEvPKcS1_S1_S1_S1_PKiPfP15HIP_vector_typeIfLj2EEffffjfiS5_IjLj3EEiiiiiiiiiiiliiliiiiil.uses_vcc, or(1, .L_ZL14no_device_codePKciS0_iS0_.uses_vcc)
	.set _ZL15flash_attn_tileILi64ELi64ELi2ELi8ELb1EEvPKcS1_S1_S1_S1_PKiPfP15HIP_vector_typeIfLj2EEffffjfiS5_IjLj3EEiiiiiiiiiiiliiliiiiil.uses_flat_scratch, or(0, .L_ZL14no_device_codePKciS0_iS0_.uses_flat_scratch)
	.set _ZL15flash_attn_tileILi64ELi64ELi2ELi8ELb1EEvPKcS1_S1_S1_S1_PKiPfP15HIP_vector_typeIfLj2EEffffjfiS5_IjLj3EEiiiiiiiiiiiliiliiiiil.has_dyn_sized_stack, or(0, .L_ZL14no_device_codePKciS0_iS0_.has_dyn_sized_stack)
	.set _ZL15flash_attn_tileILi64ELi64ELi2ELi8ELb1EEvPKcS1_S1_S1_S1_PKiPfP15HIP_vector_typeIfLj2EEffffjfiS5_IjLj3EEiiiiiiiiiiiliiliiiiil.has_recursion, or(0, .L_ZL14no_device_codePKciS0_iS0_.has_recursion)
	.set _ZL15flash_attn_tileILi64ELi64ELi2ELi8ELb1EEvPKcS1_S1_S1_S1_PKiPfP15HIP_vector_typeIfLj2EEffffjfiS5_IjLj3EEiiiiiiiiiiiliiliiiiil.has_indirect_call, or(0, .L_ZL14no_device_codePKciS0_iS0_.has_indirect_call)
	.section	.AMDGPU.csdata,"",@progbits
; Kernel info:
; codeLenInByte = 40
; TotalNumSgprs: 36
; NumVgprs: 40
; ScratchSize: 16
; MemoryBound: 0
; FloatMode: 240
; IeeeMode: 1
; LDSByteSize: 0 bytes/workgroup (compile time only)
; SGPRBlocks: 0
; VGPRBlocks: 4
; NumSGPRsForWavesPerEU: 36
; NumVGPRsForWavesPerEU: 40
; Occupancy: 16
; WaveLimiterHint : 1
; COMPUTE_PGM_RSRC2:SCRATCH_EN: 1
; COMPUTE_PGM_RSRC2:USER_SGPR: 2
; COMPUTE_PGM_RSRC2:TRAP_HANDLER: 0
; COMPUTE_PGM_RSRC2:TGID_X_EN: 1
; COMPUTE_PGM_RSRC2:TGID_Y_EN: 0
; COMPUTE_PGM_RSRC2:TGID_Z_EN: 0
; COMPUTE_PGM_RSRC2:TIDIG_COMP_CNT: 0
	.section	.text._ZL15flash_attn_tileILi64ELi64ELi1ELi8ELb1EEvPKcS1_S1_S1_S1_PKiPfP15HIP_vector_typeIfLj2EEffffjfiS5_IjLj3EEiiiiiiiiiiiliiliiiiil,"axG",@progbits,_ZL15flash_attn_tileILi64ELi64ELi1ELi8ELb1EEvPKcS1_S1_S1_S1_PKiPfP15HIP_vector_typeIfLj2EEffffjfiS5_IjLj3EEiiiiiiiiiiiliiliiiiil,comdat
	.globl	_ZL15flash_attn_tileILi64ELi64ELi1ELi8ELb1EEvPKcS1_S1_S1_S1_PKiPfP15HIP_vector_typeIfLj2EEffffjfiS5_IjLj3EEiiiiiiiiiiiliiliiiiil ; -- Begin function _ZL15flash_attn_tileILi64ELi64ELi1ELi8ELb1EEvPKcS1_S1_S1_S1_PKiPfP15HIP_vector_typeIfLj2EEffffjfiS5_IjLj3EEiiiiiiiiiiiliiliiiiil
	.p2align	8
	.type	_ZL15flash_attn_tileILi64ELi64ELi1ELi8ELb1EEvPKcS1_S1_S1_S1_PKiPfP15HIP_vector_typeIfLj2EEffffjfiS5_IjLj3EEiiiiiiiiiiiliiliiiiil,@function
_ZL15flash_attn_tileILi64ELi64ELi1ELi8ELb1EEvPKcS1_S1_S1_S1_PKiPfP15HIP_vector_typeIfLj2EEffffjfiS5_IjLj3EEiiiiiiiiiiiliiliiiiil: ; @_ZL15flash_attn_tileILi64ELi64ELi1ELi8ELb1EEvPKcS1_S1_S1_S1_PKiPfP15HIP_vector_typeIfLj2EEffffjfiS5_IjLj3EEiiiiiiiiiiiliiliiiiil
; %bb.0:
	s_getpc_b64 s[2:3]
	s_sext_i32_i16 s3, s3
	s_add_co_u32 s2, s2, _ZL14no_device_codePKciS0_iS0_@rel32@lo+8
	s_add_co_ci_u32 s3, s3, _ZL14no_device_codePKciS0_iS0_@rel32@hi+16
	s_add_nc_u64 s[8:9], s[0:1], 0xd0
	s_mov_b32 s32, 0
	s_swappc_b64 s[30:31], s[2:3]
	.section	.rodata,"a",@progbits
	.p2align	6, 0x0
	.amdhsa_kernel _ZL15flash_attn_tileILi64ELi64ELi1ELi8ELb1EEvPKcS1_S1_S1_S1_PKiPfP15HIP_vector_typeIfLj2EEffffjfiS5_IjLj3EEiiiiiiiiiiiliiliiiiil
		.amdhsa_group_segment_fixed_size 0
		.amdhsa_private_segment_fixed_size 16
		.amdhsa_kernarg_size 464
		.amdhsa_user_sgpr_count 2
		.amdhsa_user_sgpr_dispatch_ptr 0
		.amdhsa_user_sgpr_queue_ptr 0
		.amdhsa_user_sgpr_kernarg_segment_ptr 1
		.amdhsa_user_sgpr_dispatch_id 0
		.amdhsa_user_sgpr_private_segment_size 0
		.amdhsa_wavefront_size32 1
		.amdhsa_uses_dynamic_stack 0
		.amdhsa_enable_private_segment 1
		.amdhsa_system_sgpr_workgroup_id_x 1
		.amdhsa_system_sgpr_workgroup_id_y 0
		.amdhsa_system_sgpr_workgroup_id_z 0
		.amdhsa_system_sgpr_workgroup_info 0
		.amdhsa_system_vgpr_workitem_id 0
		.amdhsa_next_free_vgpr 40
		.amdhsa_next_free_sgpr 34
		.amdhsa_reserve_vcc 1
		.amdhsa_float_round_mode_32 0
		.amdhsa_float_round_mode_16_64 0
		.amdhsa_float_denorm_mode_32 3
		.amdhsa_float_denorm_mode_16_64 3
		.amdhsa_fp16_overflow 0
		.amdhsa_workgroup_processor_mode 1
		.amdhsa_memory_ordered 1
		.amdhsa_forward_progress 1
		.amdhsa_inst_pref_size 1
		.amdhsa_round_robin_scheduling 0
		.amdhsa_exception_fp_ieee_invalid_op 0
		.amdhsa_exception_fp_denorm_src 0
		.amdhsa_exception_fp_ieee_div_zero 0
		.amdhsa_exception_fp_ieee_overflow 0
		.amdhsa_exception_fp_ieee_underflow 0
		.amdhsa_exception_fp_ieee_inexact 0
		.amdhsa_exception_int_div_zero 0
	.end_amdhsa_kernel
	.section	.text._ZL15flash_attn_tileILi64ELi64ELi1ELi8ELb1EEvPKcS1_S1_S1_S1_PKiPfP15HIP_vector_typeIfLj2EEffffjfiS5_IjLj3EEiiiiiiiiiiiliiliiiiil,"axG",@progbits,_ZL15flash_attn_tileILi64ELi64ELi1ELi8ELb1EEvPKcS1_S1_S1_S1_PKiPfP15HIP_vector_typeIfLj2EEffffjfiS5_IjLj3EEiiiiiiiiiiiliiliiiiil,comdat
.Lfunc_end77:
	.size	_ZL15flash_attn_tileILi64ELi64ELi1ELi8ELb1EEvPKcS1_S1_S1_S1_PKiPfP15HIP_vector_typeIfLj2EEffffjfiS5_IjLj3EEiiiiiiiiiiiliiliiiiil, .Lfunc_end77-_ZL15flash_attn_tileILi64ELi64ELi1ELi8ELb1EEvPKcS1_S1_S1_S1_PKiPfP15HIP_vector_typeIfLj2EEffffjfiS5_IjLj3EEiiiiiiiiiiiliiliiiiil
                                        ; -- End function
	.set _ZL15flash_attn_tileILi64ELi64ELi1ELi8ELb1EEvPKcS1_S1_S1_S1_PKiPfP15HIP_vector_typeIfLj2EEffffjfiS5_IjLj3EEiiiiiiiiiiiliiliiiiil.num_vgpr, max(0, .L_ZL14no_device_codePKciS0_iS0_.num_vgpr)
	.set _ZL15flash_attn_tileILi64ELi64ELi1ELi8ELb1EEvPKcS1_S1_S1_S1_PKiPfP15HIP_vector_typeIfLj2EEffffjfiS5_IjLj3EEiiiiiiiiiiiliiliiiiil.num_agpr, max(0, .L_ZL14no_device_codePKciS0_iS0_.num_agpr)
	.set _ZL15flash_attn_tileILi64ELi64ELi1ELi8ELb1EEvPKcS1_S1_S1_S1_PKiPfP15HIP_vector_typeIfLj2EEffffjfiS5_IjLj3EEiiiiiiiiiiiliiliiiiil.numbered_sgpr, max(33, .L_ZL14no_device_codePKciS0_iS0_.numbered_sgpr)
	.set _ZL15flash_attn_tileILi64ELi64ELi1ELi8ELb1EEvPKcS1_S1_S1_S1_PKiPfP15HIP_vector_typeIfLj2EEffffjfiS5_IjLj3EEiiiiiiiiiiiliiliiiiil.num_named_barrier, max(0, .L_ZL14no_device_codePKciS0_iS0_.num_named_barrier)
	.set _ZL15flash_attn_tileILi64ELi64ELi1ELi8ELb1EEvPKcS1_S1_S1_S1_PKiPfP15HIP_vector_typeIfLj2EEffffjfiS5_IjLj3EEiiiiiiiiiiiliiliiiiil.private_seg_size, 0+max(.L_ZL14no_device_codePKciS0_iS0_.private_seg_size)
	.set _ZL15flash_attn_tileILi64ELi64ELi1ELi8ELb1EEvPKcS1_S1_S1_S1_PKiPfP15HIP_vector_typeIfLj2EEffffjfiS5_IjLj3EEiiiiiiiiiiiliiliiiiil.uses_vcc, or(1, .L_ZL14no_device_codePKciS0_iS0_.uses_vcc)
	.set _ZL15flash_attn_tileILi64ELi64ELi1ELi8ELb1EEvPKcS1_S1_S1_S1_PKiPfP15HIP_vector_typeIfLj2EEffffjfiS5_IjLj3EEiiiiiiiiiiiliiliiiiil.uses_flat_scratch, or(0, .L_ZL14no_device_codePKciS0_iS0_.uses_flat_scratch)
	.set _ZL15flash_attn_tileILi64ELi64ELi1ELi8ELb1EEvPKcS1_S1_S1_S1_PKiPfP15HIP_vector_typeIfLj2EEffffjfiS5_IjLj3EEiiiiiiiiiiiliiliiiiil.has_dyn_sized_stack, or(0, .L_ZL14no_device_codePKciS0_iS0_.has_dyn_sized_stack)
	.set _ZL15flash_attn_tileILi64ELi64ELi1ELi8ELb1EEvPKcS1_S1_S1_S1_PKiPfP15HIP_vector_typeIfLj2EEffffjfiS5_IjLj3EEiiiiiiiiiiiliiliiiiil.has_recursion, or(0, .L_ZL14no_device_codePKciS0_iS0_.has_recursion)
	.set _ZL15flash_attn_tileILi64ELi64ELi1ELi8ELb1EEvPKcS1_S1_S1_S1_PKiPfP15HIP_vector_typeIfLj2EEffffjfiS5_IjLj3EEiiiiiiiiiiiliiliiiiil.has_indirect_call, or(0, .L_ZL14no_device_codePKciS0_iS0_.has_indirect_call)
	.section	.AMDGPU.csdata,"",@progbits
; Kernel info:
; codeLenInByte = 40
; TotalNumSgprs: 36
; NumVgprs: 40
; ScratchSize: 16
; MemoryBound: 0
; FloatMode: 240
; IeeeMode: 1
; LDSByteSize: 0 bytes/workgroup (compile time only)
; SGPRBlocks: 0
; VGPRBlocks: 4
; NumSGPRsForWavesPerEU: 36
; NumVGPRsForWavesPerEU: 40
; Occupancy: 16
; WaveLimiterHint : 1
; COMPUTE_PGM_RSRC2:SCRATCH_EN: 1
; COMPUTE_PGM_RSRC2:USER_SGPR: 2
; COMPUTE_PGM_RSRC2:TRAP_HANDLER: 0
; COMPUTE_PGM_RSRC2:TGID_X_EN: 1
; COMPUTE_PGM_RSRC2:TGID_Y_EN: 0
; COMPUTE_PGM_RSRC2:TGID_Z_EN: 0
; COMPUTE_PGM_RSRC2:TIDIG_COMP_CNT: 0
	.section	.text._ZL15flash_attn_tileILi64ELi64ELi16ELi4ELb1EEvPKcS1_S1_S1_S1_PKiPfP15HIP_vector_typeIfLj2EEffffjfiS5_IjLj3EEiiiiiiiiiiiliiliiiiil,"axG",@progbits,_ZL15flash_attn_tileILi64ELi64ELi16ELi4ELb1EEvPKcS1_S1_S1_S1_PKiPfP15HIP_vector_typeIfLj2EEffffjfiS5_IjLj3EEiiiiiiiiiiiliiliiiiil,comdat
	.globl	_ZL15flash_attn_tileILi64ELi64ELi16ELi4ELb1EEvPKcS1_S1_S1_S1_PKiPfP15HIP_vector_typeIfLj2EEffffjfiS5_IjLj3EEiiiiiiiiiiiliiliiiiil ; -- Begin function _ZL15flash_attn_tileILi64ELi64ELi16ELi4ELb1EEvPKcS1_S1_S1_S1_PKiPfP15HIP_vector_typeIfLj2EEffffjfiS5_IjLj3EEiiiiiiiiiiiliiliiiiil
	.p2align	8
	.type	_ZL15flash_attn_tileILi64ELi64ELi16ELi4ELb1EEvPKcS1_S1_S1_S1_PKiPfP15HIP_vector_typeIfLj2EEffffjfiS5_IjLj3EEiiiiiiiiiiiliiliiiiil,@function
_ZL15flash_attn_tileILi64ELi64ELi16ELi4ELb1EEvPKcS1_S1_S1_S1_PKiPfP15HIP_vector_typeIfLj2EEffffjfiS5_IjLj3EEiiiiiiiiiiiliiliiiiil: ; @_ZL15flash_attn_tileILi64ELi64ELi16ELi4ELb1EEvPKcS1_S1_S1_S1_PKiPfP15HIP_vector_typeIfLj2EEffffjfiS5_IjLj3EEiiiiiiiiiiiliiliiiiil
; %bb.0:
	s_getpc_b64 s[2:3]
	s_sext_i32_i16 s3, s3
	s_add_co_u32 s2, s2, _ZL14no_device_codePKciS0_iS0_@rel32@lo+8
	s_add_co_ci_u32 s3, s3, _ZL14no_device_codePKciS0_iS0_@rel32@hi+16
	s_add_nc_u64 s[8:9], s[0:1], 0xd0
	s_mov_b32 s32, 0
	s_swappc_b64 s[30:31], s[2:3]
	.section	.rodata,"a",@progbits
	.p2align	6, 0x0
	.amdhsa_kernel _ZL15flash_attn_tileILi64ELi64ELi16ELi4ELb1EEvPKcS1_S1_S1_S1_PKiPfP15HIP_vector_typeIfLj2EEffffjfiS5_IjLj3EEiiiiiiiiiiiliiliiiiil
		.amdhsa_group_segment_fixed_size 0
		.amdhsa_private_segment_fixed_size 16
		.amdhsa_kernarg_size 464
		.amdhsa_user_sgpr_count 2
		.amdhsa_user_sgpr_dispatch_ptr 0
		.amdhsa_user_sgpr_queue_ptr 0
		.amdhsa_user_sgpr_kernarg_segment_ptr 1
		.amdhsa_user_sgpr_dispatch_id 0
		.amdhsa_user_sgpr_private_segment_size 0
		.amdhsa_wavefront_size32 1
		.amdhsa_uses_dynamic_stack 0
		.amdhsa_enable_private_segment 1
		.amdhsa_system_sgpr_workgroup_id_x 1
		.amdhsa_system_sgpr_workgroup_id_y 0
		.amdhsa_system_sgpr_workgroup_id_z 0
		.amdhsa_system_sgpr_workgroup_info 0
		.amdhsa_system_vgpr_workitem_id 0
		.amdhsa_next_free_vgpr 40
		.amdhsa_next_free_sgpr 34
		.amdhsa_reserve_vcc 1
		.amdhsa_float_round_mode_32 0
		.amdhsa_float_round_mode_16_64 0
		.amdhsa_float_denorm_mode_32 3
		.amdhsa_float_denorm_mode_16_64 3
		.amdhsa_fp16_overflow 0
		.amdhsa_workgroup_processor_mode 1
		.amdhsa_memory_ordered 1
		.amdhsa_forward_progress 1
		.amdhsa_inst_pref_size 1
		.amdhsa_round_robin_scheduling 0
		.amdhsa_exception_fp_ieee_invalid_op 0
		.amdhsa_exception_fp_denorm_src 0
		.amdhsa_exception_fp_ieee_div_zero 0
		.amdhsa_exception_fp_ieee_overflow 0
		.amdhsa_exception_fp_ieee_underflow 0
		.amdhsa_exception_fp_ieee_inexact 0
		.amdhsa_exception_int_div_zero 0
	.end_amdhsa_kernel
	.section	.text._ZL15flash_attn_tileILi64ELi64ELi16ELi4ELb1EEvPKcS1_S1_S1_S1_PKiPfP15HIP_vector_typeIfLj2EEffffjfiS5_IjLj3EEiiiiiiiiiiiliiliiiiil,"axG",@progbits,_ZL15flash_attn_tileILi64ELi64ELi16ELi4ELb1EEvPKcS1_S1_S1_S1_PKiPfP15HIP_vector_typeIfLj2EEffffjfiS5_IjLj3EEiiiiiiiiiiiliiliiiiil,comdat
.Lfunc_end78:
	.size	_ZL15flash_attn_tileILi64ELi64ELi16ELi4ELb1EEvPKcS1_S1_S1_S1_PKiPfP15HIP_vector_typeIfLj2EEffffjfiS5_IjLj3EEiiiiiiiiiiiliiliiiiil, .Lfunc_end78-_ZL15flash_attn_tileILi64ELi64ELi16ELi4ELb1EEvPKcS1_S1_S1_S1_PKiPfP15HIP_vector_typeIfLj2EEffffjfiS5_IjLj3EEiiiiiiiiiiiliiliiiiil
                                        ; -- End function
	.set _ZL15flash_attn_tileILi64ELi64ELi16ELi4ELb1EEvPKcS1_S1_S1_S1_PKiPfP15HIP_vector_typeIfLj2EEffffjfiS5_IjLj3EEiiiiiiiiiiiliiliiiiil.num_vgpr, max(0, .L_ZL14no_device_codePKciS0_iS0_.num_vgpr)
	.set _ZL15flash_attn_tileILi64ELi64ELi16ELi4ELb1EEvPKcS1_S1_S1_S1_PKiPfP15HIP_vector_typeIfLj2EEffffjfiS5_IjLj3EEiiiiiiiiiiiliiliiiiil.num_agpr, max(0, .L_ZL14no_device_codePKciS0_iS0_.num_agpr)
	.set _ZL15flash_attn_tileILi64ELi64ELi16ELi4ELb1EEvPKcS1_S1_S1_S1_PKiPfP15HIP_vector_typeIfLj2EEffffjfiS5_IjLj3EEiiiiiiiiiiiliiliiiiil.numbered_sgpr, max(33, .L_ZL14no_device_codePKciS0_iS0_.numbered_sgpr)
	.set _ZL15flash_attn_tileILi64ELi64ELi16ELi4ELb1EEvPKcS1_S1_S1_S1_PKiPfP15HIP_vector_typeIfLj2EEffffjfiS5_IjLj3EEiiiiiiiiiiiliiliiiiil.num_named_barrier, max(0, .L_ZL14no_device_codePKciS0_iS0_.num_named_barrier)
	.set _ZL15flash_attn_tileILi64ELi64ELi16ELi4ELb1EEvPKcS1_S1_S1_S1_PKiPfP15HIP_vector_typeIfLj2EEffffjfiS5_IjLj3EEiiiiiiiiiiiliiliiiiil.private_seg_size, 0+max(.L_ZL14no_device_codePKciS0_iS0_.private_seg_size)
	.set _ZL15flash_attn_tileILi64ELi64ELi16ELi4ELb1EEvPKcS1_S1_S1_S1_PKiPfP15HIP_vector_typeIfLj2EEffffjfiS5_IjLj3EEiiiiiiiiiiiliiliiiiil.uses_vcc, or(1, .L_ZL14no_device_codePKciS0_iS0_.uses_vcc)
	.set _ZL15flash_attn_tileILi64ELi64ELi16ELi4ELb1EEvPKcS1_S1_S1_S1_PKiPfP15HIP_vector_typeIfLj2EEffffjfiS5_IjLj3EEiiiiiiiiiiiliiliiiiil.uses_flat_scratch, or(0, .L_ZL14no_device_codePKciS0_iS0_.uses_flat_scratch)
	.set _ZL15flash_attn_tileILi64ELi64ELi16ELi4ELb1EEvPKcS1_S1_S1_S1_PKiPfP15HIP_vector_typeIfLj2EEffffjfiS5_IjLj3EEiiiiiiiiiiiliiliiiiil.has_dyn_sized_stack, or(0, .L_ZL14no_device_codePKciS0_iS0_.has_dyn_sized_stack)
	.set _ZL15flash_attn_tileILi64ELi64ELi16ELi4ELb1EEvPKcS1_S1_S1_S1_PKiPfP15HIP_vector_typeIfLj2EEffffjfiS5_IjLj3EEiiiiiiiiiiiliiliiiiil.has_recursion, or(0, .L_ZL14no_device_codePKciS0_iS0_.has_recursion)
	.set _ZL15flash_attn_tileILi64ELi64ELi16ELi4ELb1EEvPKcS1_S1_S1_S1_PKiPfP15HIP_vector_typeIfLj2EEffffjfiS5_IjLj3EEiiiiiiiiiiiliiliiiiil.has_indirect_call, or(0, .L_ZL14no_device_codePKciS0_iS0_.has_indirect_call)
	.section	.AMDGPU.csdata,"",@progbits
; Kernel info:
; codeLenInByte = 40
; TotalNumSgprs: 36
; NumVgprs: 40
; ScratchSize: 16
; MemoryBound: 0
; FloatMode: 240
; IeeeMode: 1
; LDSByteSize: 0 bytes/workgroup (compile time only)
; SGPRBlocks: 0
; VGPRBlocks: 4
; NumSGPRsForWavesPerEU: 36
; NumVGPRsForWavesPerEU: 40
; Occupancy: 16
; WaveLimiterHint : 1
; COMPUTE_PGM_RSRC2:SCRATCH_EN: 1
; COMPUTE_PGM_RSRC2:USER_SGPR: 2
; COMPUTE_PGM_RSRC2:TRAP_HANDLER: 0
; COMPUTE_PGM_RSRC2:TGID_X_EN: 1
; COMPUTE_PGM_RSRC2:TGID_Y_EN: 0
; COMPUTE_PGM_RSRC2:TGID_Z_EN: 0
; COMPUTE_PGM_RSRC2:TIDIG_COMP_CNT: 0
	.section	.text._ZL15flash_attn_tileILi64ELi64ELi8ELi4ELb1EEvPKcS1_S1_S1_S1_PKiPfP15HIP_vector_typeIfLj2EEffffjfiS5_IjLj3EEiiiiiiiiiiiliiliiiiil,"axG",@progbits,_ZL15flash_attn_tileILi64ELi64ELi8ELi4ELb1EEvPKcS1_S1_S1_S1_PKiPfP15HIP_vector_typeIfLj2EEffffjfiS5_IjLj3EEiiiiiiiiiiiliiliiiiil,comdat
	.globl	_ZL15flash_attn_tileILi64ELi64ELi8ELi4ELb1EEvPKcS1_S1_S1_S1_PKiPfP15HIP_vector_typeIfLj2EEffffjfiS5_IjLj3EEiiiiiiiiiiiliiliiiiil ; -- Begin function _ZL15flash_attn_tileILi64ELi64ELi8ELi4ELb1EEvPKcS1_S1_S1_S1_PKiPfP15HIP_vector_typeIfLj2EEffffjfiS5_IjLj3EEiiiiiiiiiiiliiliiiiil
	.p2align	8
	.type	_ZL15flash_attn_tileILi64ELi64ELi8ELi4ELb1EEvPKcS1_S1_S1_S1_PKiPfP15HIP_vector_typeIfLj2EEffffjfiS5_IjLj3EEiiiiiiiiiiiliiliiiiil,@function
_ZL15flash_attn_tileILi64ELi64ELi8ELi4ELb1EEvPKcS1_S1_S1_S1_PKiPfP15HIP_vector_typeIfLj2EEffffjfiS5_IjLj3EEiiiiiiiiiiiliiliiiiil: ; @_ZL15flash_attn_tileILi64ELi64ELi8ELi4ELb1EEvPKcS1_S1_S1_S1_PKiPfP15HIP_vector_typeIfLj2EEffffjfiS5_IjLj3EEiiiiiiiiiiiliiliiiiil
; %bb.0:
	s_getpc_b64 s[2:3]
	s_sext_i32_i16 s3, s3
	s_add_co_u32 s2, s2, _ZL14no_device_codePKciS0_iS0_@rel32@lo+8
	s_add_co_ci_u32 s3, s3, _ZL14no_device_codePKciS0_iS0_@rel32@hi+16
	s_add_nc_u64 s[8:9], s[0:1], 0xd0
	s_mov_b32 s32, 0
	s_swappc_b64 s[30:31], s[2:3]
	.section	.rodata,"a",@progbits
	.p2align	6, 0x0
	.amdhsa_kernel _ZL15flash_attn_tileILi64ELi64ELi8ELi4ELb1EEvPKcS1_S1_S1_S1_PKiPfP15HIP_vector_typeIfLj2EEffffjfiS5_IjLj3EEiiiiiiiiiiiliiliiiiil
		.amdhsa_group_segment_fixed_size 0
		.amdhsa_private_segment_fixed_size 16
		.amdhsa_kernarg_size 464
		.amdhsa_user_sgpr_count 2
		.amdhsa_user_sgpr_dispatch_ptr 0
		.amdhsa_user_sgpr_queue_ptr 0
		.amdhsa_user_sgpr_kernarg_segment_ptr 1
		.amdhsa_user_sgpr_dispatch_id 0
		.amdhsa_user_sgpr_private_segment_size 0
		.amdhsa_wavefront_size32 1
		.amdhsa_uses_dynamic_stack 0
		.amdhsa_enable_private_segment 1
		.amdhsa_system_sgpr_workgroup_id_x 1
		.amdhsa_system_sgpr_workgroup_id_y 0
		.amdhsa_system_sgpr_workgroup_id_z 0
		.amdhsa_system_sgpr_workgroup_info 0
		.amdhsa_system_vgpr_workitem_id 0
		.amdhsa_next_free_vgpr 40
		.amdhsa_next_free_sgpr 34
		.amdhsa_reserve_vcc 1
		.amdhsa_float_round_mode_32 0
		.amdhsa_float_round_mode_16_64 0
		.amdhsa_float_denorm_mode_32 3
		.amdhsa_float_denorm_mode_16_64 3
		.amdhsa_fp16_overflow 0
		.amdhsa_workgroup_processor_mode 1
		.amdhsa_memory_ordered 1
		.amdhsa_forward_progress 1
		.amdhsa_inst_pref_size 1
		.amdhsa_round_robin_scheduling 0
		.amdhsa_exception_fp_ieee_invalid_op 0
		.amdhsa_exception_fp_denorm_src 0
		.amdhsa_exception_fp_ieee_div_zero 0
		.amdhsa_exception_fp_ieee_overflow 0
		.amdhsa_exception_fp_ieee_underflow 0
		.amdhsa_exception_fp_ieee_inexact 0
		.amdhsa_exception_int_div_zero 0
	.end_amdhsa_kernel
	.section	.text._ZL15flash_attn_tileILi64ELi64ELi8ELi4ELb1EEvPKcS1_S1_S1_S1_PKiPfP15HIP_vector_typeIfLj2EEffffjfiS5_IjLj3EEiiiiiiiiiiiliiliiiiil,"axG",@progbits,_ZL15flash_attn_tileILi64ELi64ELi8ELi4ELb1EEvPKcS1_S1_S1_S1_PKiPfP15HIP_vector_typeIfLj2EEffffjfiS5_IjLj3EEiiiiiiiiiiiliiliiiiil,comdat
.Lfunc_end79:
	.size	_ZL15flash_attn_tileILi64ELi64ELi8ELi4ELb1EEvPKcS1_S1_S1_S1_PKiPfP15HIP_vector_typeIfLj2EEffffjfiS5_IjLj3EEiiiiiiiiiiiliiliiiiil, .Lfunc_end79-_ZL15flash_attn_tileILi64ELi64ELi8ELi4ELb1EEvPKcS1_S1_S1_S1_PKiPfP15HIP_vector_typeIfLj2EEffffjfiS5_IjLj3EEiiiiiiiiiiiliiliiiiil
                                        ; -- End function
	.set _ZL15flash_attn_tileILi64ELi64ELi8ELi4ELb1EEvPKcS1_S1_S1_S1_PKiPfP15HIP_vector_typeIfLj2EEffffjfiS5_IjLj3EEiiiiiiiiiiiliiliiiiil.num_vgpr, max(0, .L_ZL14no_device_codePKciS0_iS0_.num_vgpr)
	.set _ZL15flash_attn_tileILi64ELi64ELi8ELi4ELb1EEvPKcS1_S1_S1_S1_PKiPfP15HIP_vector_typeIfLj2EEffffjfiS5_IjLj3EEiiiiiiiiiiiliiliiiiil.num_agpr, max(0, .L_ZL14no_device_codePKciS0_iS0_.num_agpr)
	.set _ZL15flash_attn_tileILi64ELi64ELi8ELi4ELb1EEvPKcS1_S1_S1_S1_PKiPfP15HIP_vector_typeIfLj2EEffffjfiS5_IjLj3EEiiiiiiiiiiiliiliiiiil.numbered_sgpr, max(33, .L_ZL14no_device_codePKciS0_iS0_.numbered_sgpr)
	.set _ZL15flash_attn_tileILi64ELi64ELi8ELi4ELb1EEvPKcS1_S1_S1_S1_PKiPfP15HIP_vector_typeIfLj2EEffffjfiS5_IjLj3EEiiiiiiiiiiiliiliiiiil.num_named_barrier, max(0, .L_ZL14no_device_codePKciS0_iS0_.num_named_barrier)
	.set _ZL15flash_attn_tileILi64ELi64ELi8ELi4ELb1EEvPKcS1_S1_S1_S1_PKiPfP15HIP_vector_typeIfLj2EEffffjfiS5_IjLj3EEiiiiiiiiiiiliiliiiiil.private_seg_size, 0+max(.L_ZL14no_device_codePKciS0_iS0_.private_seg_size)
	.set _ZL15flash_attn_tileILi64ELi64ELi8ELi4ELb1EEvPKcS1_S1_S1_S1_PKiPfP15HIP_vector_typeIfLj2EEffffjfiS5_IjLj3EEiiiiiiiiiiiliiliiiiil.uses_vcc, or(1, .L_ZL14no_device_codePKciS0_iS0_.uses_vcc)
	.set _ZL15flash_attn_tileILi64ELi64ELi8ELi4ELb1EEvPKcS1_S1_S1_S1_PKiPfP15HIP_vector_typeIfLj2EEffffjfiS5_IjLj3EEiiiiiiiiiiiliiliiiiil.uses_flat_scratch, or(0, .L_ZL14no_device_codePKciS0_iS0_.uses_flat_scratch)
	.set _ZL15flash_attn_tileILi64ELi64ELi8ELi4ELb1EEvPKcS1_S1_S1_S1_PKiPfP15HIP_vector_typeIfLj2EEffffjfiS5_IjLj3EEiiiiiiiiiiiliiliiiiil.has_dyn_sized_stack, or(0, .L_ZL14no_device_codePKciS0_iS0_.has_dyn_sized_stack)
	.set _ZL15flash_attn_tileILi64ELi64ELi8ELi4ELb1EEvPKcS1_S1_S1_S1_PKiPfP15HIP_vector_typeIfLj2EEffffjfiS5_IjLj3EEiiiiiiiiiiiliiliiiiil.has_recursion, or(0, .L_ZL14no_device_codePKciS0_iS0_.has_recursion)
	.set _ZL15flash_attn_tileILi64ELi64ELi8ELi4ELb1EEvPKcS1_S1_S1_S1_PKiPfP15HIP_vector_typeIfLj2EEffffjfiS5_IjLj3EEiiiiiiiiiiiliiliiiiil.has_indirect_call, or(0, .L_ZL14no_device_codePKciS0_iS0_.has_indirect_call)
	.section	.AMDGPU.csdata,"",@progbits
; Kernel info:
; codeLenInByte = 40
; TotalNumSgprs: 36
; NumVgprs: 40
; ScratchSize: 16
; MemoryBound: 0
; FloatMode: 240
; IeeeMode: 1
; LDSByteSize: 0 bytes/workgroup (compile time only)
; SGPRBlocks: 0
; VGPRBlocks: 4
; NumSGPRsForWavesPerEU: 36
; NumVGPRsForWavesPerEU: 40
; Occupancy: 16
; WaveLimiterHint : 1
; COMPUTE_PGM_RSRC2:SCRATCH_EN: 1
; COMPUTE_PGM_RSRC2:USER_SGPR: 2
; COMPUTE_PGM_RSRC2:TRAP_HANDLER: 0
; COMPUTE_PGM_RSRC2:TGID_X_EN: 1
; COMPUTE_PGM_RSRC2:TGID_Y_EN: 0
; COMPUTE_PGM_RSRC2:TGID_Z_EN: 0
; COMPUTE_PGM_RSRC2:TIDIG_COMP_CNT: 0
	.section	.text._ZL15flash_attn_tileILi64ELi64ELi4ELi4ELb1EEvPKcS1_S1_S1_S1_PKiPfP15HIP_vector_typeIfLj2EEffffjfiS5_IjLj3EEiiiiiiiiiiiliiliiiiil,"axG",@progbits,_ZL15flash_attn_tileILi64ELi64ELi4ELi4ELb1EEvPKcS1_S1_S1_S1_PKiPfP15HIP_vector_typeIfLj2EEffffjfiS5_IjLj3EEiiiiiiiiiiiliiliiiiil,comdat
	.globl	_ZL15flash_attn_tileILi64ELi64ELi4ELi4ELb1EEvPKcS1_S1_S1_S1_PKiPfP15HIP_vector_typeIfLj2EEffffjfiS5_IjLj3EEiiiiiiiiiiiliiliiiiil ; -- Begin function _ZL15flash_attn_tileILi64ELi64ELi4ELi4ELb1EEvPKcS1_S1_S1_S1_PKiPfP15HIP_vector_typeIfLj2EEffffjfiS5_IjLj3EEiiiiiiiiiiiliiliiiiil
	.p2align	8
	.type	_ZL15flash_attn_tileILi64ELi64ELi4ELi4ELb1EEvPKcS1_S1_S1_S1_PKiPfP15HIP_vector_typeIfLj2EEffffjfiS5_IjLj3EEiiiiiiiiiiiliiliiiiil,@function
_ZL15flash_attn_tileILi64ELi64ELi4ELi4ELb1EEvPKcS1_S1_S1_S1_PKiPfP15HIP_vector_typeIfLj2EEffffjfiS5_IjLj3EEiiiiiiiiiiiliiliiiiil: ; @_ZL15flash_attn_tileILi64ELi64ELi4ELi4ELb1EEvPKcS1_S1_S1_S1_PKiPfP15HIP_vector_typeIfLj2EEffffjfiS5_IjLj3EEiiiiiiiiiiiliiliiiiil
; %bb.0:
	s_getpc_b64 s[2:3]
	s_sext_i32_i16 s3, s3
	s_add_co_u32 s2, s2, _ZL14no_device_codePKciS0_iS0_@rel32@lo+8
	s_add_co_ci_u32 s3, s3, _ZL14no_device_codePKciS0_iS0_@rel32@hi+16
	s_add_nc_u64 s[8:9], s[0:1], 0xd0
	s_mov_b32 s32, 0
	s_swappc_b64 s[30:31], s[2:3]
	.section	.rodata,"a",@progbits
	.p2align	6, 0x0
	.amdhsa_kernel _ZL15flash_attn_tileILi64ELi64ELi4ELi4ELb1EEvPKcS1_S1_S1_S1_PKiPfP15HIP_vector_typeIfLj2EEffffjfiS5_IjLj3EEiiiiiiiiiiiliiliiiiil
		.amdhsa_group_segment_fixed_size 0
		.amdhsa_private_segment_fixed_size 16
		.amdhsa_kernarg_size 464
		.amdhsa_user_sgpr_count 2
		.amdhsa_user_sgpr_dispatch_ptr 0
		.amdhsa_user_sgpr_queue_ptr 0
		.amdhsa_user_sgpr_kernarg_segment_ptr 1
		.amdhsa_user_sgpr_dispatch_id 0
		.amdhsa_user_sgpr_private_segment_size 0
		.amdhsa_wavefront_size32 1
		.amdhsa_uses_dynamic_stack 0
		.amdhsa_enable_private_segment 1
		.amdhsa_system_sgpr_workgroup_id_x 1
		.amdhsa_system_sgpr_workgroup_id_y 0
		.amdhsa_system_sgpr_workgroup_id_z 0
		.amdhsa_system_sgpr_workgroup_info 0
		.amdhsa_system_vgpr_workitem_id 0
		.amdhsa_next_free_vgpr 40
		.amdhsa_next_free_sgpr 34
		.amdhsa_reserve_vcc 1
		.amdhsa_float_round_mode_32 0
		.amdhsa_float_round_mode_16_64 0
		.amdhsa_float_denorm_mode_32 3
		.amdhsa_float_denorm_mode_16_64 3
		.amdhsa_fp16_overflow 0
		.amdhsa_workgroup_processor_mode 1
		.amdhsa_memory_ordered 1
		.amdhsa_forward_progress 1
		.amdhsa_inst_pref_size 1
		.amdhsa_round_robin_scheduling 0
		.amdhsa_exception_fp_ieee_invalid_op 0
		.amdhsa_exception_fp_denorm_src 0
		.amdhsa_exception_fp_ieee_div_zero 0
		.amdhsa_exception_fp_ieee_overflow 0
		.amdhsa_exception_fp_ieee_underflow 0
		.amdhsa_exception_fp_ieee_inexact 0
		.amdhsa_exception_int_div_zero 0
	.end_amdhsa_kernel
	.section	.text._ZL15flash_attn_tileILi64ELi64ELi4ELi4ELb1EEvPKcS1_S1_S1_S1_PKiPfP15HIP_vector_typeIfLj2EEffffjfiS5_IjLj3EEiiiiiiiiiiiliiliiiiil,"axG",@progbits,_ZL15flash_attn_tileILi64ELi64ELi4ELi4ELb1EEvPKcS1_S1_S1_S1_PKiPfP15HIP_vector_typeIfLj2EEffffjfiS5_IjLj3EEiiiiiiiiiiiliiliiiiil,comdat
.Lfunc_end80:
	.size	_ZL15flash_attn_tileILi64ELi64ELi4ELi4ELb1EEvPKcS1_S1_S1_S1_PKiPfP15HIP_vector_typeIfLj2EEffffjfiS5_IjLj3EEiiiiiiiiiiiliiliiiiil, .Lfunc_end80-_ZL15flash_attn_tileILi64ELi64ELi4ELi4ELb1EEvPKcS1_S1_S1_S1_PKiPfP15HIP_vector_typeIfLj2EEffffjfiS5_IjLj3EEiiiiiiiiiiiliiliiiiil
                                        ; -- End function
	.set _ZL15flash_attn_tileILi64ELi64ELi4ELi4ELb1EEvPKcS1_S1_S1_S1_PKiPfP15HIP_vector_typeIfLj2EEffffjfiS5_IjLj3EEiiiiiiiiiiiliiliiiiil.num_vgpr, max(0, .L_ZL14no_device_codePKciS0_iS0_.num_vgpr)
	.set _ZL15flash_attn_tileILi64ELi64ELi4ELi4ELb1EEvPKcS1_S1_S1_S1_PKiPfP15HIP_vector_typeIfLj2EEffffjfiS5_IjLj3EEiiiiiiiiiiiliiliiiiil.num_agpr, max(0, .L_ZL14no_device_codePKciS0_iS0_.num_agpr)
	.set _ZL15flash_attn_tileILi64ELi64ELi4ELi4ELb1EEvPKcS1_S1_S1_S1_PKiPfP15HIP_vector_typeIfLj2EEffffjfiS5_IjLj3EEiiiiiiiiiiiliiliiiiil.numbered_sgpr, max(33, .L_ZL14no_device_codePKciS0_iS0_.numbered_sgpr)
	.set _ZL15flash_attn_tileILi64ELi64ELi4ELi4ELb1EEvPKcS1_S1_S1_S1_PKiPfP15HIP_vector_typeIfLj2EEffffjfiS5_IjLj3EEiiiiiiiiiiiliiliiiiil.num_named_barrier, max(0, .L_ZL14no_device_codePKciS0_iS0_.num_named_barrier)
	.set _ZL15flash_attn_tileILi64ELi64ELi4ELi4ELb1EEvPKcS1_S1_S1_S1_PKiPfP15HIP_vector_typeIfLj2EEffffjfiS5_IjLj3EEiiiiiiiiiiiliiliiiiil.private_seg_size, 0+max(.L_ZL14no_device_codePKciS0_iS0_.private_seg_size)
	.set _ZL15flash_attn_tileILi64ELi64ELi4ELi4ELb1EEvPKcS1_S1_S1_S1_PKiPfP15HIP_vector_typeIfLj2EEffffjfiS5_IjLj3EEiiiiiiiiiiiliiliiiiil.uses_vcc, or(1, .L_ZL14no_device_codePKciS0_iS0_.uses_vcc)
	.set _ZL15flash_attn_tileILi64ELi64ELi4ELi4ELb1EEvPKcS1_S1_S1_S1_PKiPfP15HIP_vector_typeIfLj2EEffffjfiS5_IjLj3EEiiiiiiiiiiiliiliiiiil.uses_flat_scratch, or(0, .L_ZL14no_device_codePKciS0_iS0_.uses_flat_scratch)
	.set _ZL15flash_attn_tileILi64ELi64ELi4ELi4ELb1EEvPKcS1_S1_S1_S1_PKiPfP15HIP_vector_typeIfLj2EEffffjfiS5_IjLj3EEiiiiiiiiiiiliiliiiiil.has_dyn_sized_stack, or(0, .L_ZL14no_device_codePKciS0_iS0_.has_dyn_sized_stack)
	.set _ZL15flash_attn_tileILi64ELi64ELi4ELi4ELb1EEvPKcS1_S1_S1_S1_PKiPfP15HIP_vector_typeIfLj2EEffffjfiS5_IjLj3EEiiiiiiiiiiiliiliiiiil.has_recursion, or(0, .L_ZL14no_device_codePKciS0_iS0_.has_recursion)
	.set _ZL15flash_attn_tileILi64ELi64ELi4ELi4ELb1EEvPKcS1_S1_S1_S1_PKiPfP15HIP_vector_typeIfLj2EEffffjfiS5_IjLj3EEiiiiiiiiiiiliiliiiiil.has_indirect_call, or(0, .L_ZL14no_device_codePKciS0_iS0_.has_indirect_call)
	.section	.AMDGPU.csdata,"",@progbits
; Kernel info:
; codeLenInByte = 40
; TotalNumSgprs: 36
; NumVgprs: 40
; ScratchSize: 16
; MemoryBound: 0
; FloatMode: 240
; IeeeMode: 1
; LDSByteSize: 0 bytes/workgroup (compile time only)
; SGPRBlocks: 0
; VGPRBlocks: 4
; NumSGPRsForWavesPerEU: 36
; NumVGPRsForWavesPerEU: 40
; Occupancy: 16
; WaveLimiterHint : 1
; COMPUTE_PGM_RSRC2:SCRATCH_EN: 1
; COMPUTE_PGM_RSRC2:USER_SGPR: 2
; COMPUTE_PGM_RSRC2:TRAP_HANDLER: 0
; COMPUTE_PGM_RSRC2:TGID_X_EN: 1
; COMPUTE_PGM_RSRC2:TGID_Y_EN: 0
; COMPUTE_PGM_RSRC2:TGID_Z_EN: 0
; COMPUTE_PGM_RSRC2:TIDIG_COMP_CNT: 0
	.section	.text._ZL15flash_attn_tileILi64ELi64ELi2ELi4ELb1EEvPKcS1_S1_S1_S1_PKiPfP15HIP_vector_typeIfLj2EEffffjfiS5_IjLj3EEiiiiiiiiiiiliiliiiiil,"axG",@progbits,_ZL15flash_attn_tileILi64ELi64ELi2ELi4ELb1EEvPKcS1_S1_S1_S1_PKiPfP15HIP_vector_typeIfLj2EEffffjfiS5_IjLj3EEiiiiiiiiiiiliiliiiiil,comdat
	.globl	_ZL15flash_attn_tileILi64ELi64ELi2ELi4ELb1EEvPKcS1_S1_S1_S1_PKiPfP15HIP_vector_typeIfLj2EEffffjfiS5_IjLj3EEiiiiiiiiiiiliiliiiiil ; -- Begin function _ZL15flash_attn_tileILi64ELi64ELi2ELi4ELb1EEvPKcS1_S1_S1_S1_PKiPfP15HIP_vector_typeIfLj2EEffffjfiS5_IjLj3EEiiiiiiiiiiiliiliiiiil
	.p2align	8
	.type	_ZL15flash_attn_tileILi64ELi64ELi2ELi4ELb1EEvPKcS1_S1_S1_S1_PKiPfP15HIP_vector_typeIfLj2EEffffjfiS5_IjLj3EEiiiiiiiiiiiliiliiiiil,@function
_ZL15flash_attn_tileILi64ELi64ELi2ELi4ELb1EEvPKcS1_S1_S1_S1_PKiPfP15HIP_vector_typeIfLj2EEffffjfiS5_IjLj3EEiiiiiiiiiiiliiliiiiil: ; @_ZL15flash_attn_tileILi64ELi64ELi2ELi4ELb1EEvPKcS1_S1_S1_S1_PKiPfP15HIP_vector_typeIfLj2EEffffjfiS5_IjLj3EEiiiiiiiiiiiliiliiiiil
; %bb.0:
	s_getpc_b64 s[2:3]
	s_sext_i32_i16 s3, s3
	s_add_co_u32 s2, s2, _ZL14no_device_codePKciS0_iS0_@rel32@lo+8
	s_add_co_ci_u32 s3, s3, _ZL14no_device_codePKciS0_iS0_@rel32@hi+16
	s_add_nc_u64 s[8:9], s[0:1], 0xd0
	s_mov_b32 s32, 0
	s_swappc_b64 s[30:31], s[2:3]
	.section	.rodata,"a",@progbits
	.p2align	6, 0x0
	.amdhsa_kernel _ZL15flash_attn_tileILi64ELi64ELi2ELi4ELb1EEvPKcS1_S1_S1_S1_PKiPfP15HIP_vector_typeIfLj2EEffffjfiS5_IjLj3EEiiiiiiiiiiiliiliiiiil
		.amdhsa_group_segment_fixed_size 0
		.amdhsa_private_segment_fixed_size 16
		.amdhsa_kernarg_size 464
		.amdhsa_user_sgpr_count 2
		.amdhsa_user_sgpr_dispatch_ptr 0
		.amdhsa_user_sgpr_queue_ptr 0
		.amdhsa_user_sgpr_kernarg_segment_ptr 1
		.amdhsa_user_sgpr_dispatch_id 0
		.amdhsa_user_sgpr_private_segment_size 0
		.amdhsa_wavefront_size32 1
		.amdhsa_uses_dynamic_stack 0
		.amdhsa_enable_private_segment 1
		.amdhsa_system_sgpr_workgroup_id_x 1
		.amdhsa_system_sgpr_workgroup_id_y 0
		.amdhsa_system_sgpr_workgroup_id_z 0
		.amdhsa_system_sgpr_workgroup_info 0
		.amdhsa_system_vgpr_workitem_id 0
		.amdhsa_next_free_vgpr 40
		.amdhsa_next_free_sgpr 34
		.amdhsa_reserve_vcc 1
		.amdhsa_float_round_mode_32 0
		.amdhsa_float_round_mode_16_64 0
		.amdhsa_float_denorm_mode_32 3
		.amdhsa_float_denorm_mode_16_64 3
		.amdhsa_fp16_overflow 0
		.amdhsa_workgroup_processor_mode 1
		.amdhsa_memory_ordered 1
		.amdhsa_forward_progress 1
		.amdhsa_inst_pref_size 1
		.amdhsa_round_robin_scheduling 0
		.amdhsa_exception_fp_ieee_invalid_op 0
		.amdhsa_exception_fp_denorm_src 0
		.amdhsa_exception_fp_ieee_div_zero 0
		.amdhsa_exception_fp_ieee_overflow 0
		.amdhsa_exception_fp_ieee_underflow 0
		.amdhsa_exception_fp_ieee_inexact 0
		.amdhsa_exception_int_div_zero 0
	.end_amdhsa_kernel
	.section	.text._ZL15flash_attn_tileILi64ELi64ELi2ELi4ELb1EEvPKcS1_S1_S1_S1_PKiPfP15HIP_vector_typeIfLj2EEffffjfiS5_IjLj3EEiiiiiiiiiiiliiliiiiil,"axG",@progbits,_ZL15flash_attn_tileILi64ELi64ELi2ELi4ELb1EEvPKcS1_S1_S1_S1_PKiPfP15HIP_vector_typeIfLj2EEffffjfiS5_IjLj3EEiiiiiiiiiiiliiliiiiil,comdat
.Lfunc_end81:
	.size	_ZL15flash_attn_tileILi64ELi64ELi2ELi4ELb1EEvPKcS1_S1_S1_S1_PKiPfP15HIP_vector_typeIfLj2EEffffjfiS5_IjLj3EEiiiiiiiiiiiliiliiiiil, .Lfunc_end81-_ZL15flash_attn_tileILi64ELi64ELi2ELi4ELb1EEvPKcS1_S1_S1_S1_PKiPfP15HIP_vector_typeIfLj2EEffffjfiS5_IjLj3EEiiiiiiiiiiiliiliiiiil
                                        ; -- End function
	.set _ZL15flash_attn_tileILi64ELi64ELi2ELi4ELb1EEvPKcS1_S1_S1_S1_PKiPfP15HIP_vector_typeIfLj2EEffffjfiS5_IjLj3EEiiiiiiiiiiiliiliiiiil.num_vgpr, max(0, .L_ZL14no_device_codePKciS0_iS0_.num_vgpr)
	.set _ZL15flash_attn_tileILi64ELi64ELi2ELi4ELb1EEvPKcS1_S1_S1_S1_PKiPfP15HIP_vector_typeIfLj2EEffffjfiS5_IjLj3EEiiiiiiiiiiiliiliiiiil.num_agpr, max(0, .L_ZL14no_device_codePKciS0_iS0_.num_agpr)
	.set _ZL15flash_attn_tileILi64ELi64ELi2ELi4ELb1EEvPKcS1_S1_S1_S1_PKiPfP15HIP_vector_typeIfLj2EEffffjfiS5_IjLj3EEiiiiiiiiiiiliiliiiiil.numbered_sgpr, max(33, .L_ZL14no_device_codePKciS0_iS0_.numbered_sgpr)
	.set _ZL15flash_attn_tileILi64ELi64ELi2ELi4ELb1EEvPKcS1_S1_S1_S1_PKiPfP15HIP_vector_typeIfLj2EEffffjfiS5_IjLj3EEiiiiiiiiiiiliiliiiiil.num_named_barrier, max(0, .L_ZL14no_device_codePKciS0_iS0_.num_named_barrier)
	.set _ZL15flash_attn_tileILi64ELi64ELi2ELi4ELb1EEvPKcS1_S1_S1_S1_PKiPfP15HIP_vector_typeIfLj2EEffffjfiS5_IjLj3EEiiiiiiiiiiiliiliiiiil.private_seg_size, 0+max(.L_ZL14no_device_codePKciS0_iS0_.private_seg_size)
	.set _ZL15flash_attn_tileILi64ELi64ELi2ELi4ELb1EEvPKcS1_S1_S1_S1_PKiPfP15HIP_vector_typeIfLj2EEffffjfiS5_IjLj3EEiiiiiiiiiiiliiliiiiil.uses_vcc, or(1, .L_ZL14no_device_codePKciS0_iS0_.uses_vcc)
	.set _ZL15flash_attn_tileILi64ELi64ELi2ELi4ELb1EEvPKcS1_S1_S1_S1_PKiPfP15HIP_vector_typeIfLj2EEffffjfiS5_IjLj3EEiiiiiiiiiiiliiliiiiil.uses_flat_scratch, or(0, .L_ZL14no_device_codePKciS0_iS0_.uses_flat_scratch)
	.set _ZL15flash_attn_tileILi64ELi64ELi2ELi4ELb1EEvPKcS1_S1_S1_S1_PKiPfP15HIP_vector_typeIfLj2EEffffjfiS5_IjLj3EEiiiiiiiiiiiliiliiiiil.has_dyn_sized_stack, or(0, .L_ZL14no_device_codePKciS0_iS0_.has_dyn_sized_stack)
	.set _ZL15flash_attn_tileILi64ELi64ELi2ELi4ELb1EEvPKcS1_S1_S1_S1_PKiPfP15HIP_vector_typeIfLj2EEffffjfiS5_IjLj3EEiiiiiiiiiiiliiliiiiil.has_recursion, or(0, .L_ZL14no_device_codePKciS0_iS0_.has_recursion)
	.set _ZL15flash_attn_tileILi64ELi64ELi2ELi4ELb1EEvPKcS1_S1_S1_S1_PKiPfP15HIP_vector_typeIfLj2EEffffjfiS5_IjLj3EEiiiiiiiiiiiliiliiiiil.has_indirect_call, or(0, .L_ZL14no_device_codePKciS0_iS0_.has_indirect_call)
	.section	.AMDGPU.csdata,"",@progbits
; Kernel info:
; codeLenInByte = 40
; TotalNumSgprs: 36
; NumVgprs: 40
; ScratchSize: 16
; MemoryBound: 0
; FloatMode: 240
; IeeeMode: 1
; LDSByteSize: 0 bytes/workgroup (compile time only)
; SGPRBlocks: 0
; VGPRBlocks: 4
; NumSGPRsForWavesPerEU: 36
; NumVGPRsForWavesPerEU: 40
; Occupancy: 16
; WaveLimiterHint : 1
; COMPUTE_PGM_RSRC2:SCRATCH_EN: 1
; COMPUTE_PGM_RSRC2:USER_SGPR: 2
; COMPUTE_PGM_RSRC2:TRAP_HANDLER: 0
; COMPUTE_PGM_RSRC2:TGID_X_EN: 1
; COMPUTE_PGM_RSRC2:TGID_Y_EN: 0
; COMPUTE_PGM_RSRC2:TGID_Z_EN: 0
; COMPUTE_PGM_RSRC2:TIDIG_COMP_CNT: 0
	.section	.text._ZL15flash_attn_tileILi64ELi64ELi1ELi4ELb1EEvPKcS1_S1_S1_S1_PKiPfP15HIP_vector_typeIfLj2EEffffjfiS5_IjLj3EEiiiiiiiiiiiliiliiiiil,"axG",@progbits,_ZL15flash_attn_tileILi64ELi64ELi1ELi4ELb1EEvPKcS1_S1_S1_S1_PKiPfP15HIP_vector_typeIfLj2EEffffjfiS5_IjLj3EEiiiiiiiiiiiliiliiiiil,comdat
	.globl	_ZL15flash_attn_tileILi64ELi64ELi1ELi4ELb1EEvPKcS1_S1_S1_S1_PKiPfP15HIP_vector_typeIfLj2EEffffjfiS5_IjLj3EEiiiiiiiiiiiliiliiiiil ; -- Begin function _ZL15flash_attn_tileILi64ELi64ELi1ELi4ELb1EEvPKcS1_S1_S1_S1_PKiPfP15HIP_vector_typeIfLj2EEffffjfiS5_IjLj3EEiiiiiiiiiiiliiliiiiil
	.p2align	8
	.type	_ZL15flash_attn_tileILi64ELi64ELi1ELi4ELb1EEvPKcS1_S1_S1_S1_PKiPfP15HIP_vector_typeIfLj2EEffffjfiS5_IjLj3EEiiiiiiiiiiiliiliiiiil,@function
_ZL15flash_attn_tileILi64ELi64ELi1ELi4ELb1EEvPKcS1_S1_S1_S1_PKiPfP15HIP_vector_typeIfLj2EEffffjfiS5_IjLj3EEiiiiiiiiiiiliiliiiiil: ; @_ZL15flash_attn_tileILi64ELi64ELi1ELi4ELb1EEvPKcS1_S1_S1_S1_PKiPfP15HIP_vector_typeIfLj2EEffffjfiS5_IjLj3EEiiiiiiiiiiiliiliiiiil
; %bb.0:
	s_getpc_b64 s[2:3]
	s_sext_i32_i16 s3, s3
	s_add_co_u32 s2, s2, _ZL14no_device_codePKciS0_iS0_@rel32@lo+8
	s_add_co_ci_u32 s3, s3, _ZL14no_device_codePKciS0_iS0_@rel32@hi+16
	s_add_nc_u64 s[8:9], s[0:1], 0xd0
	s_mov_b32 s32, 0
	s_swappc_b64 s[30:31], s[2:3]
	.section	.rodata,"a",@progbits
	.p2align	6, 0x0
	.amdhsa_kernel _ZL15flash_attn_tileILi64ELi64ELi1ELi4ELb1EEvPKcS1_S1_S1_S1_PKiPfP15HIP_vector_typeIfLj2EEffffjfiS5_IjLj3EEiiiiiiiiiiiliiliiiiil
		.amdhsa_group_segment_fixed_size 0
		.amdhsa_private_segment_fixed_size 16
		.amdhsa_kernarg_size 464
		.amdhsa_user_sgpr_count 2
		.amdhsa_user_sgpr_dispatch_ptr 0
		.amdhsa_user_sgpr_queue_ptr 0
		.amdhsa_user_sgpr_kernarg_segment_ptr 1
		.amdhsa_user_sgpr_dispatch_id 0
		.amdhsa_user_sgpr_private_segment_size 0
		.amdhsa_wavefront_size32 1
		.amdhsa_uses_dynamic_stack 0
		.amdhsa_enable_private_segment 1
		.amdhsa_system_sgpr_workgroup_id_x 1
		.amdhsa_system_sgpr_workgroup_id_y 0
		.amdhsa_system_sgpr_workgroup_id_z 0
		.amdhsa_system_sgpr_workgroup_info 0
		.amdhsa_system_vgpr_workitem_id 0
		.amdhsa_next_free_vgpr 40
		.amdhsa_next_free_sgpr 34
		.amdhsa_reserve_vcc 1
		.amdhsa_float_round_mode_32 0
		.amdhsa_float_round_mode_16_64 0
		.amdhsa_float_denorm_mode_32 3
		.amdhsa_float_denorm_mode_16_64 3
		.amdhsa_fp16_overflow 0
		.amdhsa_workgroup_processor_mode 1
		.amdhsa_memory_ordered 1
		.amdhsa_forward_progress 1
		.amdhsa_inst_pref_size 1
		.amdhsa_round_robin_scheduling 0
		.amdhsa_exception_fp_ieee_invalid_op 0
		.amdhsa_exception_fp_denorm_src 0
		.amdhsa_exception_fp_ieee_div_zero 0
		.amdhsa_exception_fp_ieee_overflow 0
		.amdhsa_exception_fp_ieee_underflow 0
		.amdhsa_exception_fp_ieee_inexact 0
		.amdhsa_exception_int_div_zero 0
	.end_amdhsa_kernel
	.section	.text._ZL15flash_attn_tileILi64ELi64ELi1ELi4ELb1EEvPKcS1_S1_S1_S1_PKiPfP15HIP_vector_typeIfLj2EEffffjfiS5_IjLj3EEiiiiiiiiiiiliiliiiiil,"axG",@progbits,_ZL15flash_attn_tileILi64ELi64ELi1ELi4ELb1EEvPKcS1_S1_S1_S1_PKiPfP15HIP_vector_typeIfLj2EEffffjfiS5_IjLj3EEiiiiiiiiiiiliiliiiiil,comdat
.Lfunc_end82:
	.size	_ZL15flash_attn_tileILi64ELi64ELi1ELi4ELb1EEvPKcS1_S1_S1_S1_PKiPfP15HIP_vector_typeIfLj2EEffffjfiS5_IjLj3EEiiiiiiiiiiiliiliiiiil, .Lfunc_end82-_ZL15flash_attn_tileILi64ELi64ELi1ELi4ELb1EEvPKcS1_S1_S1_S1_PKiPfP15HIP_vector_typeIfLj2EEffffjfiS5_IjLj3EEiiiiiiiiiiiliiliiiiil
                                        ; -- End function
	.set _ZL15flash_attn_tileILi64ELi64ELi1ELi4ELb1EEvPKcS1_S1_S1_S1_PKiPfP15HIP_vector_typeIfLj2EEffffjfiS5_IjLj3EEiiiiiiiiiiiliiliiiiil.num_vgpr, max(0, .L_ZL14no_device_codePKciS0_iS0_.num_vgpr)
	.set _ZL15flash_attn_tileILi64ELi64ELi1ELi4ELb1EEvPKcS1_S1_S1_S1_PKiPfP15HIP_vector_typeIfLj2EEffffjfiS5_IjLj3EEiiiiiiiiiiiliiliiiiil.num_agpr, max(0, .L_ZL14no_device_codePKciS0_iS0_.num_agpr)
	.set _ZL15flash_attn_tileILi64ELi64ELi1ELi4ELb1EEvPKcS1_S1_S1_S1_PKiPfP15HIP_vector_typeIfLj2EEffffjfiS5_IjLj3EEiiiiiiiiiiiliiliiiiil.numbered_sgpr, max(33, .L_ZL14no_device_codePKciS0_iS0_.numbered_sgpr)
	.set _ZL15flash_attn_tileILi64ELi64ELi1ELi4ELb1EEvPKcS1_S1_S1_S1_PKiPfP15HIP_vector_typeIfLj2EEffffjfiS5_IjLj3EEiiiiiiiiiiiliiliiiiil.num_named_barrier, max(0, .L_ZL14no_device_codePKciS0_iS0_.num_named_barrier)
	.set _ZL15flash_attn_tileILi64ELi64ELi1ELi4ELb1EEvPKcS1_S1_S1_S1_PKiPfP15HIP_vector_typeIfLj2EEffffjfiS5_IjLj3EEiiiiiiiiiiiliiliiiiil.private_seg_size, 0+max(.L_ZL14no_device_codePKciS0_iS0_.private_seg_size)
	.set _ZL15flash_attn_tileILi64ELi64ELi1ELi4ELb1EEvPKcS1_S1_S1_S1_PKiPfP15HIP_vector_typeIfLj2EEffffjfiS5_IjLj3EEiiiiiiiiiiiliiliiiiil.uses_vcc, or(1, .L_ZL14no_device_codePKciS0_iS0_.uses_vcc)
	.set _ZL15flash_attn_tileILi64ELi64ELi1ELi4ELb1EEvPKcS1_S1_S1_S1_PKiPfP15HIP_vector_typeIfLj2EEffffjfiS5_IjLj3EEiiiiiiiiiiiliiliiiiil.uses_flat_scratch, or(0, .L_ZL14no_device_codePKciS0_iS0_.uses_flat_scratch)
	.set _ZL15flash_attn_tileILi64ELi64ELi1ELi4ELb1EEvPKcS1_S1_S1_S1_PKiPfP15HIP_vector_typeIfLj2EEffffjfiS5_IjLj3EEiiiiiiiiiiiliiliiiiil.has_dyn_sized_stack, or(0, .L_ZL14no_device_codePKciS0_iS0_.has_dyn_sized_stack)
	.set _ZL15flash_attn_tileILi64ELi64ELi1ELi4ELb1EEvPKcS1_S1_S1_S1_PKiPfP15HIP_vector_typeIfLj2EEffffjfiS5_IjLj3EEiiiiiiiiiiiliiliiiiil.has_recursion, or(0, .L_ZL14no_device_codePKciS0_iS0_.has_recursion)
	.set _ZL15flash_attn_tileILi64ELi64ELi1ELi4ELb1EEvPKcS1_S1_S1_S1_PKiPfP15HIP_vector_typeIfLj2EEffffjfiS5_IjLj3EEiiiiiiiiiiiliiliiiiil.has_indirect_call, or(0, .L_ZL14no_device_codePKciS0_iS0_.has_indirect_call)
	.section	.AMDGPU.csdata,"",@progbits
; Kernel info:
; codeLenInByte = 40
; TotalNumSgprs: 36
; NumVgprs: 40
; ScratchSize: 16
; MemoryBound: 0
; FloatMode: 240
; IeeeMode: 1
; LDSByteSize: 0 bytes/workgroup (compile time only)
; SGPRBlocks: 0
; VGPRBlocks: 4
; NumSGPRsForWavesPerEU: 36
; NumVGPRsForWavesPerEU: 40
; Occupancy: 16
; WaveLimiterHint : 1
; COMPUTE_PGM_RSRC2:SCRATCH_EN: 1
; COMPUTE_PGM_RSRC2:USER_SGPR: 2
; COMPUTE_PGM_RSRC2:TRAP_HANDLER: 0
; COMPUTE_PGM_RSRC2:TGID_X_EN: 1
; COMPUTE_PGM_RSRC2:TGID_Y_EN: 0
; COMPUTE_PGM_RSRC2:TGID_Z_EN: 0
; COMPUTE_PGM_RSRC2:TIDIG_COMP_CNT: 0
	.section	.text._ZL15flash_attn_tileILi64ELi64ELi32ELi2ELb1EEvPKcS1_S1_S1_S1_PKiPfP15HIP_vector_typeIfLj2EEffffjfiS5_IjLj3EEiiiiiiiiiiiliiliiiiil,"axG",@progbits,_ZL15flash_attn_tileILi64ELi64ELi32ELi2ELb1EEvPKcS1_S1_S1_S1_PKiPfP15HIP_vector_typeIfLj2EEffffjfiS5_IjLj3EEiiiiiiiiiiiliiliiiiil,comdat
	.globl	_ZL15flash_attn_tileILi64ELi64ELi32ELi2ELb1EEvPKcS1_S1_S1_S1_PKiPfP15HIP_vector_typeIfLj2EEffffjfiS5_IjLj3EEiiiiiiiiiiiliiliiiiil ; -- Begin function _ZL15flash_attn_tileILi64ELi64ELi32ELi2ELb1EEvPKcS1_S1_S1_S1_PKiPfP15HIP_vector_typeIfLj2EEffffjfiS5_IjLj3EEiiiiiiiiiiiliiliiiiil
	.p2align	8
	.type	_ZL15flash_attn_tileILi64ELi64ELi32ELi2ELb1EEvPKcS1_S1_S1_S1_PKiPfP15HIP_vector_typeIfLj2EEffffjfiS5_IjLj3EEiiiiiiiiiiiliiliiiiil,@function
_ZL15flash_attn_tileILi64ELi64ELi32ELi2ELb1EEvPKcS1_S1_S1_S1_PKiPfP15HIP_vector_typeIfLj2EEffffjfiS5_IjLj3EEiiiiiiiiiiiliiliiiiil: ; @_ZL15flash_attn_tileILi64ELi64ELi32ELi2ELb1EEvPKcS1_S1_S1_S1_PKiPfP15HIP_vector_typeIfLj2EEffffjfiS5_IjLj3EEiiiiiiiiiiiliiliiiiil
; %bb.0:
	s_getpc_b64 s[2:3]
	s_sext_i32_i16 s3, s3
	s_add_co_u32 s2, s2, _ZL14no_device_codePKciS0_iS0_@rel32@lo+8
	s_add_co_ci_u32 s3, s3, _ZL14no_device_codePKciS0_iS0_@rel32@hi+16
	s_add_nc_u64 s[8:9], s[0:1], 0xd0
	s_mov_b32 s32, 0
	s_swappc_b64 s[30:31], s[2:3]
	.section	.rodata,"a",@progbits
	.p2align	6, 0x0
	.amdhsa_kernel _ZL15flash_attn_tileILi64ELi64ELi32ELi2ELb1EEvPKcS1_S1_S1_S1_PKiPfP15HIP_vector_typeIfLj2EEffffjfiS5_IjLj3EEiiiiiiiiiiiliiliiiiil
		.amdhsa_group_segment_fixed_size 0
		.amdhsa_private_segment_fixed_size 16
		.amdhsa_kernarg_size 464
		.amdhsa_user_sgpr_count 2
		.amdhsa_user_sgpr_dispatch_ptr 0
		.amdhsa_user_sgpr_queue_ptr 0
		.amdhsa_user_sgpr_kernarg_segment_ptr 1
		.amdhsa_user_sgpr_dispatch_id 0
		.amdhsa_user_sgpr_private_segment_size 0
		.amdhsa_wavefront_size32 1
		.amdhsa_uses_dynamic_stack 0
		.amdhsa_enable_private_segment 1
		.amdhsa_system_sgpr_workgroup_id_x 1
		.amdhsa_system_sgpr_workgroup_id_y 0
		.amdhsa_system_sgpr_workgroup_id_z 0
		.amdhsa_system_sgpr_workgroup_info 0
		.amdhsa_system_vgpr_workitem_id 0
		.amdhsa_next_free_vgpr 40
		.amdhsa_next_free_sgpr 34
		.amdhsa_reserve_vcc 1
		.amdhsa_float_round_mode_32 0
		.amdhsa_float_round_mode_16_64 0
		.amdhsa_float_denorm_mode_32 3
		.amdhsa_float_denorm_mode_16_64 3
		.amdhsa_fp16_overflow 0
		.amdhsa_workgroup_processor_mode 1
		.amdhsa_memory_ordered 1
		.amdhsa_forward_progress 1
		.amdhsa_inst_pref_size 1
		.amdhsa_round_robin_scheduling 0
		.amdhsa_exception_fp_ieee_invalid_op 0
		.amdhsa_exception_fp_denorm_src 0
		.amdhsa_exception_fp_ieee_div_zero 0
		.amdhsa_exception_fp_ieee_overflow 0
		.amdhsa_exception_fp_ieee_underflow 0
		.amdhsa_exception_fp_ieee_inexact 0
		.amdhsa_exception_int_div_zero 0
	.end_amdhsa_kernel
	.section	.text._ZL15flash_attn_tileILi64ELi64ELi32ELi2ELb1EEvPKcS1_S1_S1_S1_PKiPfP15HIP_vector_typeIfLj2EEffffjfiS5_IjLj3EEiiiiiiiiiiiliiliiiiil,"axG",@progbits,_ZL15flash_attn_tileILi64ELi64ELi32ELi2ELb1EEvPKcS1_S1_S1_S1_PKiPfP15HIP_vector_typeIfLj2EEffffjfiS5_IjLj3EEiiiiiiiiiiiliiliiiiil,comdat
.Lfunc_end83:
	.size	_ZL15flash_attn_tileILi64ELi64ELi32ELi2ELb1EEvPKcS1_S1_S1_S1_PKiPfP15HIP_vector_typeIfLj2EEffffjfiS5_IjLj3EEiiiiiiiiiiiliiliiiiil, .Lfunc_end83-_ZL15flash_attn_tileILi64ELi64ELi32ELi2ELb1EEvPKcS1_S1_S1_S1_PKiPfP15HIP_vector_typeIfLj2EEffffjfiS5_IjLj3EEiiiiiiiiiiiliiliiiiil
                                        ; -- End function
	.set _ZL15flash_attn_tileILi64ELi64ELi32ELi2ELb1EEvPKcS1_S1_S1_S1_PKiPfP15HIP_vector_typeIfLj2EEffffjfiS5_IjLj3EEiiiiiiiiiiiliiliiiiil.num_vgpr, max(0, .L_ZL14no_device_codePKciS0_iS0_.num_vgpr)
	.set _ZL15flash_attn_tileILi64ELi64ELi32ELi2ELb1EEvPKcS1_S1_S1_S1_PKiPfP15HIP_vector_typeIfLj2EEffffjfiS5_IjLj3EEiiiiiiiiiiiliiliiiiil.num_agpr, max(0, .L_ZL14no_device_codePKciS0_iS0_.num_agpr)
	.set _ZL15flash_attn_tileILi64ELi64ELi32ELi2ELb1EEvPKcS1_S1_S1_S1_PKiPfP15HIP_vector_typeIfLj2EEffffjfiS5_IjLj3EEiiiiiiiiiiiliiliiiiil.numbered_sgpr, max(33, .L_ZL14no_device_codePKciS0_iS0_.numbered_sgpr)
	.set _ZL15flash_attn_tileILi64ELi64ELi32ELi2ELb1EEvPKcS1_S1_S1_S1_PKiPfP15HIP_vector_typeIfLj2EEffffjfiS5_IjLj3EEiiiiiiiiiiiliiliiiiil.num_named_barrier, max(0, .L_ZL14no_device_codePKciS0_iS0_.num_named_barrier)
	.set _ZL15flash_attn_tileILi64ELi64ELi32ELi2ELb1EEvPKcS1_S1_S1_S1_PKiPfP15HIP_vector_typeIfLj2EEffffjfiS5_IjLj3EEiiiiiiiiiiiliiliiiiil.private_seg_size, 0+max(.L_ZL14no_device_codePKciS0_iS0_.private_seg_size)
	.set _ZL15flash_attn_tileILi64ELi64ELi32ELi2ELb1EEvPKcS1_S1_S1_S1_PKiPfP15HIP_vector_typeIfLj2EEffffjfiS5_IjLj3EEiiiiiiiiiiiliiliiiiil.uses_vcc, or(1, .L_ZL14no_device_codePKciS0_iS0_.uses_vcc)
	.set _ZL15flash_attn_tileILi64ELi64ELi32ELi2ELb1EEvPKcS1_S1_S1_S1_PKiPfP15HIP_vector_typeIfLj2EEffffjfiS5_IjLj3EEiiiiiiiiiiiliiliiiiil.uses_flat_scratch, or(0, .L_ZL14no_device_codePKciS0_iS0_.uses_flat_scratch)
	.set _ZL15flash_attn_tileILi64ELi64ELi32ELi2ELb1EEvPKcS1_S1_S1_S1_PKiPfP15HIP_vector_typeIfLj2EEffffjfiS5_IjLj3EEiiiiiiiiiiiliiliiiiil.has_dyn_sized_stack, or(0, .L_ZL14no_device_codePKciS0_iS0_.has_dyn_sized_stack)
	.set _ZL15flash_attn_tileILi64ELi64ELi32ELi2ELb1EEvPKcS1_S1_S1_S1_PKiPfP15HIP_vector_typeIfLj2EEffffjfiS5_IjLj3EEiiiiiiiiiiiliiliiiiil.has_recursion, or(0, .L_ZL14no_device_codePKciS0_iS0_.has_recursion)
	.set _ZL15flash_attn_tileILi64ELi64ELi32ELi2ELb1EEvPKcS1_S1_S1_S1_PKiPfP15HIP_vector_typeIfLj2EEffffjfiS5_IjLj3EEiiiiiiiiiiiliiliiiiil.has_indirect_call, or(0, .L_ZL14no_device_codePKciS0_iS0_.has_indirect_call)
	.section	.AMDGPU.csdata,"",@progbits
; Kernel info:
; codeLenInByte = 40
; TotalNumSgprs: 36
; NumVgprs: 40
; ScratchSize: 16
; MemoryBound: 0
; FloatMode: 240
; IeeeMode: 1
; LDSByteSize: 0 bytes/workgroup (compile time only)
; SGPRBlocks: 0
; VGPRBlocks: 4
; NumSGPRsForWavesPerEU: 36
; NumVGPRsForWavesPerEU: 40
; Occupancy: 16
; WaveLimiterHint : 1
; COMPUTE_PGM_RSRC2:SCRATCH_EN: 1
; COMPUTE_PGM_RSRC2:USER_SGPR: 2
; COMPUTE_PGM_RSRC2:TRAP_HANDLER: 0
; COMPUTE_PGM_RSRC2:TGID_X_EN: 1
; COMPUTE_PGM_RSRC2:TGID_Y_EN: 0
; COMPUTE_PGM_RSRC2:TGID_Z_EN: 0
; COMPUTE_PGM_RSRC2:TIDIG_COMP_CNT: 0
	.section	.text._ZL15flash_attn_tileILi64ELi64ELi16ELi2ELb1EEvPKcS1_S1_S1_S1_PKiPfP15HIP_vector_typeIfLj2EEffffjfiS5_IjLj3EEiiiiiiiiiiiliiliiiiil,"axG",@progbits,_ZL15flash_attn_tileILi64ELi64ELi16ELi2ELb1EEvPKcS1_S1_S1_S1_PKiPfP15HIP_vector_typeIfLj2EEffffjfiS5_IjLj3EEiiiiiiiiiiiliiliiiiil,comdat
	.globl	_ZL15flash_attn_tileILi64ELi64ELi16ELi2ELb1EEvPKcS1_S1_S1_S1_PKiPfP15HIP_vector_typeIfLj2EEffffjfiS5_IjLj3EEiiiiiiiiiiiliiliiiiil ; -- Begin function _ZL15flash_attn_tileILi64ELi64ELi16ELi2ELb1EEvPKcS1_S1_S1_S1_PKiPfP15HIP_vector_typeIfLj2EEffffjfiS5_IjLj3EEiiiiiiiiiiiliiliiiiil
	.p2align	8
	.type	_ZL15flash_attn_tileILi64ELi64ELi16ELi2ELb1EEvPKcS1_S1_S1_S1_PKiPfP15HIP_vector_typeIfLj2EEffffjfiS5_IjLj3EEiiiiiiiiiiiliiliiiiil,@function
_ZL15flash_attn_tileILi64ELi64ELi16ELi2ELb1EEvPKcS1_S1_S1_S1_PKiPfP15HIP_vector_typeIfLj2EEffffjfiS5_IjLj3EEiiiiiiiiiiiliiliiiiil: ; @_ZL15flash_attn_tileILi64ELi64ELi16ELi2ELb1EEvPKcS1_S1_S1_S1_PKiPfP15HIP_vector_typeIfLj2EEffffjfiS5_IjLj3EEiiiiiiiiiiiliiliiiiil
; %bb.0:
	s_getpc_b64 s[2:3]
	s_sext_i32_i16 s3, s3
	s_add_co_u32 s2, s2, _ZL14no_device_codePKciS0_iS0_@rel32@lo+8
	s_add_co_ci_u32 s3, s3, _ZL14no_device_codePKciS0_iS0_@rel32@hi+16
	s_add_nc_u64 s[8:9], s[0:1], 0xd0
	s_mov_b32 s32, 0
	s_swappc_b64 s[30:31], s[2:3]
	.section	.rodata,"a",@progbits
	.p2align	6, 0x0
	.amdhsa_kernel _ZL15flash_attn_tileILi64ELi64ELi16ELi2ELb1EEvPKcS1_S1_S1_S1_PKiPfP15HIP_vector_typeIfLj2EEffffjfiS5_IjLj3EEiiiiiiiiiiiliiliiiiil
		.amdhsa_group_segment_fixed_size 0
		.amdhsa_private_segment_fixed_size 16
		.amdhsa_kernarg_size 464
		.amdhsa_user_sgpr_count 2
		.amdhsa_user_sgpr_dispatch_ptr 0
		.amdhsa_user_sgpr_queue_ptr 0
		.amdhsa_user_sgpr_kernarg_segment_ptr 1
		.amdhsa_user_sgpr_dispatch_id 0
		.amdhsa_user_sgpr_private_segment_size 0
		.amdhsa_wavefront_size32 1
		.amdhsa_uses_dynamic_stack 0
		.amdhsa_enable_private_segment 1
		.amdhsa_system_sgpr_workgroup_id_x 1
		.amdhsa_system_sgpr_workgroup_id_y 0
		.amdhsa_system_sgpr_workgroup_id_z 0
		.amdhsa_system_sgpr_workgroup_info 0
		.amdhsa_system_vgpr_workitem_id 0
		.amdhsa_next_free_vgpr 40
		.amdhsa_next_free_sgpr 34
		.amdhsa_reserve_vcc 1
		.amdhsa_float_round_mode_32 0
		.amdhsa_float_round_mode_16_64 0
		.amdhsa_float_denorm_mode_32 3
		.amdhsa_float_denorm_mode_16_64 3
		.amdhsa_fp16_overflow 0
		.amdhsa_workgroup_processor_mode 1
		.amdhsa_memory_ordered 1
		.amdhsa_forward_progress 1
		.amdhsa_inst_pref_size 1
		.amdhsa_round_robin_scheduling 0
		.amdhsa_exception_fp_ieee_invalid_op 0
		.amdhsa_exception_fp_denorm_src 0
		.amdhsa_exception_fp_ieee_div_zero 0
		.amdhsa_exception_fp_ieee_overflow 0
		.amdhsa_exception_fp_ieee_underflow 0
		.amdhsa_exception_fp_ieee_inexact 0
		.amdhsa_exception_int_div_zero 0
	.end_amdhsa_kernel
	.section	.text._ZL15flash_attn_tileILi64ELi64ELi16ELi2ELb1EEvPKcS1_S1_S1_S1_PKiPfP15HIP_vector_typeIfLj2EEffffjfiS5_IjLj3EEiiiiiiiiiiiliiliiiiil,"axG",@progbits,_ZL15flash_attn_tileILi64ELi64ELi16ELi2ELb1EEvPKcS1_S1_S1_S1_PKiPfP15HIP_vector_typeIfLj2EEffffjfiS5_IjLj3EEiiiiiiiiiiiliiliiiiil,comdat
.Lfunc_end84:
	.size	_ZL15flash_attn_tileILi64ELi64ELi16ELi2ELb1EEvPKcS1_S1_S1_S1_PKiPfP15HIP_vector_typeIfLj2EEffffjfiS5_IjLj3EEiiiiiiiiiiiliiliiiiil, .Lfunc_end84-_ZL15flash_attn_tileILi64ELi64ELi16ELi2ELb1EEvPKcS1_S1_S1_S1_PKiPfP15HIP_vector_typeIfLj2EEffffjfiS5_IjLj3EEiiiiiiiiiiiliiliiiiil
                                        ; -- End function
	.set _ZL15flash_attn_tileILi64ELi64ELi16ELi2ELb1EEvPKcS1_S1_S1_S1_PKiPfP15HIP_vector_typeIfLj2EEffffjfiS5_IjLj3EEiiiiiiiiiiiliiliiiiil.num_vgpr, max(0, .L_ZL14no_device_codePKciS0_iS0_.num_vgpr)
	.set _ZL15flash_attn_tileILi64ELi64ELi16ELi2ELb1EEvPKcS1_S1_S1_S1_PKiPfP15HIP_vector_typeIfLj2EEffffjfiS5_IjLj3EEiiiiiiiiiiiliiliiiiil.num_agpr, max(0, .L_ZL14no_device_codePKciS0_iS0_.num_agpr)
	.set _ZL15flash_attn_tileILi64ELi64ELi16ELi2ELb1EEvPKcS1_S1_S1_S1_PKiPfP15HIP_vector_typeIfLj2EEffffjfiS5_IjLj3EEiiiiiiiiiiiliiliiiiil.numbered_sgpr, max(33, .L_ZL14no_device_codePKciS0_iS0_.numbered_sgpr)
	.set _ZL15flash_attn_tileILi64ELi64ELi16ELi2ELb1EEvPKcS1_S1_S1_S1_PKiPfP15HIP_vector_typeIfLj2EEffffjfiS5_IjLj3EEiiiiiiiiiiiliiliiiiil.num_named_barrier, max(0, .L_ZL14no_device_codePKciS0_iS0_.num_named_barrier)
	.set _ZL15flash_attn_tileILi64ELi64ELi16ELi2ELb1EEvPKcS1_S1_S1_S1_PKiPfP15HIP_vector_typeIfLj2EEffffjfiS5_IjLj3EEiiiiiiiiiiiliiliiiiil.private_seg_size, 0+max(.L_ZL14no_device_codePKciS0_iS0_.private_seg_size)
	.set _ZL15flash_attn_tileILi64ELi64ELi16ELi2ELb1EEvPKcS1_S1_S1_S1_PKiPfP15HIP_vector_typeIfLj2EEffffjfiS5_IjLj3EEiiiiiiiiiiiliiliiiiil.uses_vcc, or(1, .L_ZL14no_device_codePKciS0_iS0_.uses_vcc)
	.set _ZL15flash_attn_tileILi64ELi64ELi16ELi2ELb1EEvPKcS1_S1_S1_S1_PKiPfP15HIP_vector_typeIfLj2EEffffjfiS5_IjLj3EEiiiiiiiiiiiliiliiiiil.uses_flat_scratch, or(0, .L_ZL14no_device_codePKciS0_iS0_.uses_flat_scratch)
	.set _ZL15flash_attn_tileILi64ELi64ELi16ELi2ELb1EEvPKcS1_S1_S1_S1_PKiPfP15HIP_vector_typeIfLj2EEffffjfiS5_IjLj3EEiiiiiiiiiiiliiliiiiil.has_dyn_sized_stack, or(0, .L_ZL14no_device_codePKciS0_iS0_.has_dyn_sized_stack)
	.set _ZL15flash_attn_tileILi64ELi64ELi16ELi2ELb1EEvPKcS1_S1_S1_S1_PKiPfP15HIP_vector_typeIfLj2EEffffjfiS5_IjLj3EEiiiiiiiiiiiliiliiiiil.has_recursion, or(0, .L_ZL14no_device_codePKciS0_iS0_.has_recursion)
	.set _ZL15flash_attn_tileILi64ELi64ELi16ELi2ELb1EEvPKcS1_S1_S1_S1_PKiPfP15HIP_vector_typeIfLj2EEffffjfiS5_IjLj3EEiiiiiiiiiiiliiliiiiil.has_indirect_call, or(0, .L_ZL14no_device_codePKciS0_iS0_.has_indirect_call)
	.section	.AMDGPU.csdata,"",@progbits
; Kernel info:
; codeLenInByte = 40
; TotalNumSgprs: 36
; NumVgprs: 40
; ScratchSize: 16
; MemoryBound: 0
; FloatMode: 240
; IeeeMode: 1
; LDSByteSize: 0 bytes/workgroup (compile time only)
; SGPRBlocks: 0
; VGPRBlocks: 4
; NumSGPRsForWavesPerEU: 36
; NumVGPRsForWavesPerEU: 40
; Occupancy: 16
; WaveLimiterHint : 1
; COMPUTE_PGM_RSRC2:SCRATCH_EN: 1
; COMPUTE_PGM_RSRC2:USER_SGPR: 2
; COMPUTE_PGM_RSRC2:TRAP_HANDLER: 0
; COMPUTE_PGM_RSRC2:TGID_X_EN: 1
; COMPUTE_PGM_RSRC2:TGID_Y_EN: 0
; COMPUTE_PGM_RSRC2:TGID_Z_EN: 0
; COMPUTE_PGM_RSRC2:TIDIG_COMP_CNT: 0
	.section	.text._ZL15flash_attn_tileILi64ELi64ELi8ELi2ELb1EEvPKcS1_S1_S1_S1_PKiPfP15HIP_vector_typeIfLj2EEffffjfiS5_IjLj3EEiiiiiiiiiiiliiliiiiil,"axG",@progbits,_ZL15flash_attn_tileILi64ELi64ELi8ELi2ELb1EEvPKcS1_S1_S1_S1_PKiPfP15HIP_vector_typeIfLj2EEffffjfiS5_IjLj3EEiiiiiiiiiiiliiliiiiil,comdat
	.globl	_ZL15flash_attn_tileILi64ELi64ELi8ELi2ELb1EEvPKcS1_S1_S1_S1_PKiPfP15HIP_vector_typeIfLj2EEffffjfiS5_IjLj3EEiiiiiiiiiiiliiliiiiil ; -- Begin function _ZL15flash_attn_tileILi64ELi64ELi8ELi2ELb1EEvPKcS1_S1_S1_S1_PKiPfP15HIP_vector_typeIfLj2EEffffjfiS5_IjLj3EEiiiiiiiiiiiliiliiiiil
	.p2align	8
	.type	_ZL15flash_attn_tileILi64ELi64ELi8ELi2ELb1EEvPKcS1_S1_S1_S1_PKiPfP15HIP_vector_typeIfLj2EEffffjfiS5_IjLj3EEiiiiiiiiiiiliiliiiiil,@function
_ZL15flash_attn_tileILi64ELi64ELi8ELi2ELb1EEvPKcS1_S1_S1_S1_PKiPfP15HIP_vector_typeIfLj2EEffffjfiS5_IjLj3EEiiiiiiiiiiiliiliiiiil: ; @_ZL15flash_attn_tileILi64ELi64ELi8ELi2ELb1EEvPKcS1_S1_S1_S1_PKiPfP15HIP_vector_typeIfLj2EEffffjfiS5_IjLj3EEiiiiiiiiiiiliiliiiiil
; %bb.0:
	s_getpc_b64 s[2:3]
	s_sext_i32_i16 s3, s3
	s_add_co_u32 s2, s2, _ZL14no_device_codePKciS0_iS0_@rel32@lo+8
	s_add_co_ci_u32 s3, s3, _ZL14no_device_codePKciS0_iS0_@rel32@hi+16
	s_add_nc_u64 s[8:9], s[0:1], 0xd0
	s_mov_b32 s32, 0
	s_swappc_b64 s[30:31], s[2:3]
	.section	.rodata,"a",@progbits
	.p2align	6, 0x0
	.amdhsa_kernel _ZL15flash_attn_tileILi64ELi64ELi8ELi2ELb1EEvPKcS1_S1_S1_S1_PKiPfP15HIP_vector_typeIfLj2EEffffjfiS5_IjLj3EEiiiiiiiiiiiliiliiiiil
		.amdhsa_group_segment_fixed_size 0
		.amdhsa_private_segment_fixed_size 16
		.amdhsa_kernarg_size 464
		.amdhsa_user_sgpr_count 2
		.amdhsa_user_sgpr_dispatch_ptr 0
		.amdhsa_user_sgpr_queue_ptr 0
		.amdhsa_user_sgpr_kernarg_segment_ptr 1
		.amdhsa_user_sgpr_dispatch_id 0
		.amdhsa_user_sgpr_private_segment_size 0
		.amdhsa_wavefront_size32 1
		.amdhsa_uses_dynamic_stack 0
		.amdhsa_enable_private_segment 1
		.amdhsa_system_sgpr_workgroup_id_x 1
		.amdhsa_system_sgpr_workgroup_id_y 0
		.amdhsa_system_sgpr_workgroup_id_z 0
		.amdhsa_system_sgpr_workgroup_info 0
		.amdhsa_system_vgpr_workitem_id 0
		.amdhsa_next_free_vgpr 40
		.amdhsa_next_free_sgpr 34
		.amdhsa_reserve_vcc 1
		.amdhsa_float_round_mode_32 0
		.amdhsa_float_round_mode_16_64 0
		.amdhsa_float_denorm_mode_32 3
		.amdhsa_float_denorm_mode_16_64 3
		.amdhsa_fp16_overflow 0
		.amdhsa_workgroup_processor_mode 1
		.amdhsa_memory_ordered 1
		.amdhsa_forward_progress 1
		.amdhsa_inst_pref_size 1
		.amdhsa_round_robin_scheduling 0
		.amdhsa_exception_fp_ieee_invalid_op 0
		.amdhsa_exception_fp_denorm_src 0
		.amdhsa_exception_fp_ieee_div_zero 0
		.amdhsa_exception_fp_ieee_overflow 0
		.amdhsa_exception_fp_ieee_underflow 0
		.amdhsa_exception_fp_ieee_inexact 0
		.amdhsa_exception_int_div_zero 0
	.end_amdhsa_kernel
	.section	.text._ZL15flash_attn_tileILi64ELi64ELi8ELi2ELb1EEvPKcS1_S1_S1_S1_PKiPfP15HIP_vector_typeIfLj2EEffffjfiS5_IjLj3EEiiiiiiiiiiiliiliiiiil,"axG",@progbits,_ZL15flash_attn_tileILi64ELi64ELi8ELi2ELb1EEvPKcS1_S1_S1_S1_PKiPfP15HIP_vector_typeIfLj2EEffffjfiS5_IjLj3EEiiiiiiiiiiiliiliiiiil,comdat
.Lfunc_end85:
	.size	_ZL15flash_attn_tileILi64ELi64ELi8ELi2ELb1EEvPKcS1_S1_S1_S1_PKiPfP15HIP_vector_typeIfLj2EEffffjfiS5_IjLj3EEiiiiiiiiiiiliiliiiiil, .Lfunc_end85-_ZL15flash_attn_tileILi64ELi64ELi8ELi2ELb1EEvPKcS1_S1_S1_S1_PKiPfP15HIP_vector_typeIfLj2EEffffjfiS5_IjLj3EEiiiiiiiiiiiliiliiiiil
                                        ; -- End function
	.set _ZL15flash_attn_tileILi64ELi64ELi8ELi2ELb1EEvPKcS1_S1_S1_S1_PKiPfP15HIP_vector_typeIfLj2EEffffjfiS5_IjLj3EEiiiiiiiiiiiliiliiiiil.num_vgpr, max(0, .L_ZL14no_device_codePKciS0_iS0_.num_vgpr)
	.set _ZL15flash_attn_tileILi64ELi64ELi8ELi2ELb1EEvPKcS1_S1_S1_S1_PKiPfP15HIP_vector_typeIfLj2EEffffjfiS5_IjLj3EEiiiiiiiiiiiliiliiiiil.num_agpr, max(0, .L_ZL14no_device_codePKciS0_iS0_.num_agpr)
	.set _ZL15flash_attn_tileILi64ELi64ELi8ELi2ELb1EEvPKcS1_S1_S1_S1_PKiPfP15HIP_vector_typeIfLj2EEffffjfiS5_IjLj3EEiiiiiiiiiiiliiliiiiil.numbered_sgpr, max(33, .L_ZL14no_device_codePKciS0_iS0_.numbered_sgpr)
	.set _ZL15flash_attn_tileILi64ELi64ELi8ELi2ELb1EEvPKcS1_S1_S1_S1_PKiPfP15HIP_vector_typeIfLj2EEffffjfiS5_IjLj3EEiiiiiiiiiiiliiliiiiil.num_named_barrier, max(0, .L_ZL14no_device_codePKciS0_iS0_.num_named_barrier)
	.set _ZL15flash_attn_tileILi64ELi64ELi8ELi2ELb1EEvPKcS1_S1_S1_S1_PKiPfP15HIP_vector_typeIfLj2EEffffjfiS5_IjLj3EEiiiiiiiiiiiliiliiiiil.private_seg_size, 0+max(.L_ZL14no_device_codePKciS0_iS0_.private_seg_size)
	.set _ZL15flash_attn_tileILi64ELi64ELi8ELi2ELb1EEvPKcS1_S1_S1_S1_PKiPfP15HIP_vector_typeIfLj2EEffffjfiS5_IjLj3EEiiiiiiiiiiiliiliiiiil.uses_vcc, or(1, .L_ZL14no_device_codePKciS0_iS0_.uses_vcc)
	.set _ZL15flash_attn_tileILi64ELi64ELi8ELi2ELb1EEvPKcS1_S1_S1_S1_PKiPfP15HIP_vector_typeIfLj2EEffffjfiS5_IjLj3EEiiiiiiiiiiiliiliiiiil.uses_flat_scratch, or(0, .L_ZL14no_device_codePKciS0_iS0_.uses_flat_scratch)
	.set _ZL15flash_attn_tileILi64ELi64ELi8ELi2ELb1EEvPKcS1_S1_S1_S1_PKiPfP15HIP_vector_typeIfLj2EEffffjfiS5_IjLj3EEiiiiiiiiiiiliiliiiiil.has_dyn_sized_stack, or(0, .L_ZL14no_device_codePKciS0_iS0_.has_dyn_sized_stack)
	.set _ZL15flash_attn_tileILi64ELi64ELi8ELi2ELb1EEvPKcS1_S1_S1_S1_PKiPfP15HIP_vector_typeIfLj2EEffffjfiS5_IjLj3EEiiiiiiiiiiiliiliiiiil.has_recursion, or(0, .L_ZL14no_device_codePKciS0_iS0_.has_recursion)
	.set _ZL15flash_attn_tileILi64ELi64ELi8ELi2ELb1EEvPKcS1_S1_S1_S1_PKiPfP15HIP_vector_typeIfLj2EEffffjfiS5_IjLj3EEiiiiiiiiiiiliiliiiiil.has_indirect_call, or(0, .L_ZL14no_device_codePKciS0_iS0_.has_indirect_call)
	.section	.AMDGPU.csdata,"",@progbits
; Kernel info:
; codeLenInByte = 40
; TotalNumSgprs: 36
; NumVgprs: 40
; ScratchSize: 16
; MemoryBound: 0
; FloatMode: 240
; IeeeMode: 1
; LDSByteSize: 0 bytes/workgroup (compile time only)
; SGPRBlocks: 0
; VGPRBlocks: 4
; NumSGPRsForWavesPerEU: 36
; NumVGPRsForWavesPerEU: 40
; Occupancy: 16
; WaveLimiterHint : 1
; COMPUTE_PGM_RSRC2:SCRATCH_EN: 1
; COMPUTE_PGM_RSRC2:USER_SGPR: 2
; COMPUTE_PGM_RSRC2:TRAP_HANDLER: 0
; COMPUTE_PGM_RSRC2:TGID_X_EN: 1
; COMPUTE_PGM_RSRC2:TGID_Y_EN: 0
; COMPUTE_PGM_RSRC2:TGID_Z_EN: 0
; COMPUTE_PGM_RSRC2:TIDIG_COMP_CNT: 0
	.section	.text._ZL15flash_attn_tileILi64ELi64ELi4ELi2ELb1EEvPKcS1_S1_S1_S1_PKiPfP15HIP_vector_typeIfLj2EEffffjfiS5_IjLj3EEiiiiiiiiiiiliiliiiiil,"axG",@progbits,_ZL15flash_attn_tileILi64ELi64ELi4ELi2ELb1EEvPKcS1_S1_S1_S1_PKiPfP15HIP_vector_typeIfLj2EEffffjfiS5_IjLj3EEiiiiiiiiiiiliiliiiiil,comdat
	.globl	_ZL15flash_attn_tileILi64ELi64ELi4ELi2ELb1EEvPKcS1_S1_S1_S1_PKiPfP15HIP_vector_typeIfLj2EEffffjfiS5_IjLj3EEiiiiiiiiiiiliiliiiiil ; -- Begin function _ZL15flash_attn_tileILi64ELi64ELi4ELi2ELb1EEvPKcS1_S1_S1_S1_PKiPfP15HIP_vector_typeIfLj2EEffffjfiS5_IjLj3EEiiiiiiiiiiiliiliiiiil
	.p2align	8
	.type	_ZL15flash_attn_tileILi64ELi64ELi4ELi2ELb1EEvPKcS1_S1_S1_S1_PKiPfP15HIP_vector_typeIfLj2EEffffjfiS5_IjLj3EEiiiiiiiiiiiliiliiiiil,@function
_ZL15flash_attn_tileILi64ELi64ELi4ELi2ELb1EEvPKcS1_S1_S1_S1_PKiPfP15HIP_vector_typeIfLj2EEffffjfiS5_IjLj3EEiiiiiiiiiiiliiliiiiil: ; @_ZL15flash_attn_tileILi64ELi64ELi4ELi2ELb1EEvPKcS1_S1_S1_S1_PKiPfP15HIP_vector_typeIfLj2EEffffjfiS5_IjLj3EEiiiiiiiiiiiliiliiiiil
; %bb.0:
	s_getpc_b64 s[2:3]
	s_sext_i32_i16 s3, s3
	s_add_co_u32 s2, s2, _ZL14no_device_codePKciS0_iS0_@rel32@lo+8
	s_add_co_ci_u32 s3, s3, _ZL14no_device_codePKciS0_iS0_@rel32@hi+16
	s_add_nc_u64 s[8:9], s[0:1], 0xd0
	s_mov_b32 s32, 0
	s_swappc_b64 s[30:31], s[2:3]
	.section	.rodata,"a",@progbits
	.p2align	6, 0x0
	.amdhsa_kernel _ZL15flash_attn_tileILi64ELi64ELi4ELi2ELb1EEvPKcS1_S1_S1_S1_PKiPfP15HIP_vector_typeIfLj2EEffffjfiS5_IjLj3EEiiiiiiiiiiiliiliiiiil
		.amdhsa_group_segment_fixed_size 0
		.amdhsa_private_segment_fixed_size 16
		.amdhsa_kernarg_size 464
		.amdhsa_user_sgpr_count 2
		.amdhsa_user_sgpr_dispatch_ptr 0
		.amdhsa_user_sgpr_queue_ptr 0
		.amdhsa_user_sgpr_kernarg_segment_ptr 1
		.amdhsa_user_sgpr_dispatch_id 0
		.amdhsa_user_sgpr_private_segment_size 0
		.amdhsa_wavefront_size32 1
		.amdhsa_uses_dynamic_stack 0
		.amdhsa_enable_private_segment 1
		.amdhsa_system_sgpr_workgroup_id_x 1
		.amdhsa_system_sgpr_workgroup_id_y 0
		.amdhsa_system_sgpr_workgroup_id_z 0
		.amdhsa_system_sgpr_workgroup_info 0
		.amdhsa_system_vgpr_workitem_id 0
		.amdhsa_next_free_vgpr 40
		.amdhsa_next_free_sgpr 34
		.amdhsa_reserve_vcc 1
		.amdhsa_float_round_mode_32 0
		.amdhsa_float_round_mode_16_64 0
		.amdhsa_float_denorm_mode_32 3
		.amdhsa_float_denorm_mode_16_64 3
		.amdhsa_fp16_overflow 0
		.amdhsa_workgroup_processor_mode 1
		.amdhsa_memory_ordered 1
		.amdhsa_forward_progress 1
		.amdhsa_inst_pref_size 1
		.amdhsa_round_robin_scheduling 0
		.amdhsa_exception_fp_ieee_invalid_op 0
		.amdhsa_exception_fp_denorm_src 0
		.amdhsa_exception_fp_ieee_div_zero 0
		.amdhsa_exception_fp_ieee_overflow 0
		.amdhsa_exception_fp_ieee_underflow 0
		.amdhsa_exception_fp_ieee_inexact 0
		.amdhsa_exception_int_div_zero 0
	.end_amdhsa_kernel
	.section	.text._ZL15flash_attn_tileILi64ELi64ELi4ELi2ELb1EEvPKcS1_S1_S1_S1_PKiPfP15HIP_vector_typeIfLj2EEffffjfiS5_IjLj3EEiiiiiiiiiiiliiliiiiil,"axG",@progbits,_ZL15flash_attn_tileILi64ELi64ELi4ELi2ELb1EEvPKcS1_S1_S1_S1_PKiPfP15HIP_vector_typeIfLj2EEffffjfiS5_IjLj3EEiiiiiiiiiiiliiliiiiil,comdat
.Lfunc_end86:
	.size	_ZL15flash_attn_tileILi64ELi64ELi4ELi2ELb1EEvPKcS1_S1_S1_S1_PKiPfP15HIP_vector_typeIfLj2EEffffjfiS5_IjLj3EEiiiiiiiiiiiliiliiiiil, .Lfunc_end86-_ZL15flash_attn_tileILi64ELi64ELi4ELi2ELb1EEvPKcS1_S1_S1_S1_PKiPfP15HIP_vector_typeIfLj2EEffffjfiS5_IjLj3EEiiiiiiiiiiiliiliiiiil
                                        ; -- End function
	.set _ZL15flash_attn_tileILi64ELi64ELi4ELi2ELb1EEvPKcS1_S1_S1_S1_PKiPfP15HIP_vector_typeIfLj2EEffffjfiS5_IjLj3EEiiiiiiiiiiiliiliiiiil.num_vgpr, max(0, .L_ZL14no_device_codePKciS0_iS0_.num_vgpr)
	.set _ZL15flash_attn_tileILi64ELi64ELi4ELi2ELb1EEvPKcS1_S1_S1_S1_PKiPfP15HIP_vector_typeIfLj2EEffffjfiS5_IjLj3EEiiiiiiiiiiiliiliiiiil.num_agpr, max(0, .L_ZL14no_device_codePKciS0_iS0_.num_agpr)
	.set _ZL15flash_attn_tileILi64ELi64ELi4ELi2ELb1EEvPKcS1_S1_S1_S1_PKiPfP15HIP_vector_typeIfLj2EEffffjfiS5_IjLj3EEiiiiiiiiiiiliiliiiiil.numbered_sgpr, max(33, .L_ZL14no_device_codePKciS0_iS0_.numbered_sgpr)
	.set _ZL15flash_attn_tileILi64ELi64ELi4ELi2ELb1EEvPKcS1_S1_S1_S1_PKiPfP15HIP_vector_typeIfLj2EEffffjfiS5_IjLj3EEiiiiiiiiiiiliiliiiiil.num_named_barrier, max(0, .L_ZL14no_device_codePKciS0_iS0_.num_named_barrier)
	.set _ZL15flash_attn_tileILi64ELi64ELi4ELi2ELb1EEvPKcS1_S1_S1_S1_PKiPfP15HIP_vector_typeIfLj2EEffffjfiS5_IjLj3EEiiiiiiiiiiiliiliiiiil.private_seg_size, 0+max(.L_ZL14no_device_codePKciS0_iS0_.private_seg_size)
	.set _ZL15flash_attn_tileILi64ELi64ELi4ELi2ELb1EEvPKcS1_S1_S1_S1_PKiPfP15HIP_vector_typeIfLj2EEffffjfiS5_IjLj3EEiiiiiiiiiiiliiliiiiil.uses_vcc, or(1, .L_ZL14no_device_codePKciS0_iS0_.uses_vcc)
	.set _ZL15flash_attn_tileILi64ELi64ELi4ELi2ELb1EEvPKcS1_S1_S1_S1_PKiPfP15HIP_vector_typeIfLj2EEffffjfiS5_IjLj3EEiiiiiiiiiiiliiliiiiil.uses_flat_scratch, or(0, .L_ZL14no_device_codePKciS0_iS0_.uses_flat_scratch)
	.set _ZL15flash_attn_tileILi64ELi64ELi4ELi2ELb1EEvPKcS1_S1_S1_S1_PKiPfP15HIP_vector_typeIfLj2EEffffjfiS5_IjLj3EEiiiiiiiiiiiliiliiiiil.has_dyn_sized_stack, or(0, .L_ZL14no_device_codePKciS0_iS0_.has_dyn_sized_stack)
	.set _ZL15flash_attn_tileILi64ELi64ELi4ELi2ELb1EEvPKcS1_S1_S1_S1_PKiPfP15HIP_vector_typeIfLj2EEffffjfiS5_IjLj3EEiiiiiiiiiiiliiliiiiil.has_recursion, or(0, .L_ZL14no_device_codePKciS0_iS0_.has_recursion)
	.set _ZL15flash_attn_tileILi64ELi64ELi4ELi2ELb1EEvPKcS1_S1_S1_S1_PKiPfP15HIP_vector_typeIfLj2EEffffjfiS5_IjLj3EEiiiiiiiiiiiliiliiiiil.has_indirect_call, or(0, .L_ZL14no_device_codePKciS0_iS0_.has_indirect_call)
	.section	.AMDGPU.csdata,"",@progbits
; Kernel info:
; codeLenInByte = 40
; TotalNumSgprs: 36
; NumVgprs: 40
; ScratchSize: 16
; MemoryBound: 0
; FloatMode: 240
; IeeeMode: 1
; LDSByteSize: 0 bytes/workgroup (compile time only)
; SGPRBlocks: 0
; VGPRBlocks: 4
; NumSGPRsForWavesPerEU: 36
; NumVGPRsForWavesPerEU: 40
; Occupancy: 16
; WaveLimiterHint : 1
; COMPUTE_PGM_RSRC2:SCRATCH_EN: 1
; COMPUTE_PGM_RSRC2:USER_SGPR: 2
; COMPUTE_PGM_RSRC2:TRAP_HANDLER: 0
; COMPUTE_PGM_RSRC2:TGID_X_EN: 1
; COMPUTE_PGM_RSRC2:TGID_Y_EN: 0
; COMPUTE_PGM_RSRC2:TGID_Z_EN: 0
; COMPUTE_PGM_RSRC2:TIDIG_COMP_CNT: 0
	.section	.text._ZL15flash_attn_tileILi64ELi64ELi2ELi2ELb1EEvPKcS1_S1_S1_S1_PKiPfP15HIP_vector_typeIfLj2EEffffjfiS5_IjLj3EEiiiiiiiiiiiliiliiiiil,"axG",@progbits,_ZL15flash_attn_tileILi64ELi64ELi2ELi2ELb1EEvPKcS1_S1_S1_S1_PKiPfP15HIP_vector_typeIfLj2EEffffjfiS5_IjLj3EEiiiiiiiiiiiliiliiiiil,comdat
	.globl	_ZL15flash_attn_tileILi64ELi64ELi2ELi2ELb1EEvPKcS1_S1_S1_S1_PKiPfP15HIP_vector_typeIfLj2EEffffjfiS5_IjLj3EEiiiiiiiiiiiliiliiiiil ; -- Begin function _ZL15flash_attn_tileILi64ELi64ELi2ELi2ELb1EEvPKcS1_S1_S1_S1_PKiPfP15HIP_vector_typeIfLj2EEffffjfiS5_IjLj3EEiiiiiiiiiiiliiliiiiil
	.p2align	8
	.type	_ZL15flash_attn_tileILi64ELi64ELi2ELi2ELb1EEvPKcS1_S1_S1_S1_PKiPfP15HIP_vector_typeIfLj2EEffffjfiS5_IjLj3EEiiiiiiiiiiiliiliiiiil,@function
_ZL15flash_attn_tileILi64ELi64ELi2ELi2ELb1EEvPKcS1_S1_S1_S1_PKiPfP15HIP_vector_typeIfLj2EEffffjfiS5_IjLj3EEiiiiiiiiiiiliiliiiiil: ; @_ZL15flash_attn_tileILi64ELi64ELi2ELi2ELb1EEvPKcS1_S1_S1_S1_PKiPfP15HIP_vector_typeIfLj2EEffffjfiS5_IjLj3EEiiiiiiiiiiiliiliiiiil
; %bb.0:
	s_getpc_b64 s[2:3]
	s_sext_i32_i16 s3, s3
	s_add_co_u32 s2, s2, _ZL14no_device_codePKciS0_iS0_@rel32@lo+8
	s_add_co_ci_u32 s3, s3, _ZL14no_device_codePKciS0_iS0_@rel32@hi+16
	s_add_nc_u64 s[8:9], s[0:1], 0xd0
	s_mov_b32 s32, 0
	s_swappc_b64 s[30:31], s[2:3]
	.section	.rodata,"a",@progbits
	.p2align	6, 0x0
	.amdhsa_kernel _ZL15flash_attn_tileILi64ELi64ELi2ELi2ELb1EEvPKcS1_S1_S1_S1_PKiPfP15HIP_vector_typeIfLj2EEffffjfiS5_IjLj3EEiiiiiiiiiiiliiliiiiil
		.amdhsa_group_segment_fixed_size 0
		.amdhsa_private_segment_fixed_size 16
		.amdhsa_kernarg_size 464
		.amdhsa_user_sgpr_count 2
		.amdhsa_user_sgpr_dispatch_ptr 0
		.amdhsa_user_sgpr_queue_ptr 0
		.amdhsa_user_sgpr_kernarg_segment_ptr 1
		.amdhsa_user_sgpr_dispatch_id 0
		.amdhsa_user_sgpr_private_segment_size 0
		.amdhsa_wavefront_size32 1
		.amdhsa_uses_dynamic_stack 0
		.amdhsa_enable_private_segment 1
		.amdhsa_system_sgpr_workgroup_id_x 1
		.amdhsa_system_sgpr_workgroup_id_y 0
		.amdhsa_system_sgpr_workgroup_id_z 0
		.amdhsa_system_sgpr_workgroup_info 0
		.amdhsa_system_vgpr_workitem_id 0
		.amdhsa_next_free_vgpr 40
		.amdhsa_next_free_sgpr 34
		.amdhsa_reserve_vcc 1
		.amdhsa_float_round_mode_32 0
		.amdhsa_float_round_mode_16_64 0
		.amdhsa_float_denorm_mode_32 3
		.amdhsa_float_denorm_mode_16_64 3
		.amdhsa_fp16_overflow 0
		.amdhsa_workgroup_processor_mode 1
		.amdhsa_memory_ordered 1
		.amdhsa_forward_progress 1
		.amdhsa_inst_pref_size 1
		.amdhsa_round_robin_scheduling 0
		.amdhsa_exception_fp_ieee_invalid_op 0
		.amdhsa_exception_fp_denorm_src 0
		.amdhsa_exception_fp_ieee_div_zero 0
		.amdhsa_exception_fp_ieee_overflow 0
		.amdhsa_exception_fp_ieee_underflow 0
		.amdhsa_exception_fp_ieee_inexact 0
		.amdhsa_exception_int_div_zero 0
	.end_amdhsa_kernel
	.section	.text._ZL15flash_attn_tileILi64ELi64ELi2ELi2ELb1EEvPKcS1_S1_S1_S1_PKiPfP15HIP_vector_typeIfLj2EEffffjfiS5_IjLj3EEiiiiiiiiiiiliiliiiiil,"axG",@progbits,_ZL15flash_attn_tileILi64ELi64ELi2ELi2ELb1EEvPKcS1_S1_S1_S1_PKiPfP15HIP_vector_typeIfLj2EEffffjfiS5_IjLj3EEiiiiiiiiiiiliiliiiiil,comdat
.Lfunc_end87:
	.size	_ZL15flash_attn_tileILi64ELi64ELi2ELi2ELb1EEvPKcS1_S1_S1_S1_PKiPfP15HIP_vector_typeIfLj2EEffffjfiS5_IjLj3EEiiiiiiiiiiiliiliiiiil, .Lfunc_end87-_ZL15flash_attn_tileILi64ELi64ELi2ELi2ELb1EEvPKcS1_S1_S1_S1_PKiPfP15HIP_vector_typeIfLj2EEffffjfiS5_IjLj3EEiiiiiiiiiiiliiliiiiil
                                        ; -- End function
	.set _ZL15flash_attn_tileILi64ELi64ELi2ELi2ELb1EEvPKcS1_S1_S1_S1_PKiPfP15HIP_vector_typeIfLj2EEffffjfiS5_IjLj3EEiiiiiiiiiiiliiliiiiil.num_vgpr, max(0, .L_ZL14no_device_codePKciS0_iS0_.num_vgpr)
	.set _ZL15flash_attn_tileILi64ELi64ELi2ELi2ELb1EEvPKcS1_S1_S1_S1_PKiPfP15HIP_vector_typeIfLj2EEffffjfiS5_IjLj3EEiiiiiiiiiiiliiliiiiil.num_agpr, max(0, .L_ZL14no_device_codePKciS0_iS0_.num_agpr)
	.set _ZL15flash_attn_tileILi64ELi64ELi2ELi2ELb1EEvPKcS1_S1_S1_S1_PKiPfP15HIP_vector_typeIfLj2EEffffjfiS5_IjLj3EEiiiiiiiiiiiliiliiiiil.numbered_sgpr, max(33, .L_ZL14no_device_codePKciS0_iS0_.numbered_sgpr)
	.set _ZL15flash_attn_tileILi64ELi64ELi2ELi2ELb1EEvPKcS1_S1_S1_S1_PKiPfP15HIP_vector_typeIfLj2EEffffjfiS5_IjLj3EEiiiiiiiiiiiliiliiiiil.num_named_barrier, max(0, .L_ZL14no_device_codePKciS0_iS0_.num_named_barrier)
	.set _ZL15flash_attn_tileILi64ELi64ELi2ELi2ELb1EEvPKcS1_S1_S1_S1_PKiPfP15HIP_vector_typeIfLj2EEffffjfiS5_IjLj3EEiiiiiiiiiiiliiliiiiil.private_seg_size, 0+max(.L_ZL14no_device_codePKciS0_iS0_.private_seg_size)
	.set _ZL15flash_attn_tileILi64ELi64ELi2ELi2ELb1EEvPKcS1_S1_S1_S1_PKiPfP15HIP_vector_typeIfLj2EEffffjfiS5_IjLj3EEiiiiiiiiiiiliiliiiiil.uses_vcc, or(1, .L_ZL14no_device_codePKciS0_iS0_.uses_vcc)
	.set _ZL15flash_attn_tileILi64ELi64ELi2ELi2ELb1EEvPKcS1_S1_S1_S1_PKiPfP15HIP_vector_typeIfLj2EEffffjfiS5_IjLj3EEiiiiiiiiiiiliiliiiiil.uses_flat_scratch, or(0, .L_ZL14no_device_codePKciS0_iS0_.uses_flat_scratch)
	.set _ZL15flash_attn_tileILi64ELi64ELi2ELi2ELb1EEvPKcS1_S1_S1_S1_PKiPfP15HIP_vector_typeIfLj2EEffffjfiS5_IjLj3EEiiiiiiiiiiiliiliiiiil.has_dyn_sized_stack, or(0, .L_ZL14no_device_codePKciS0_iS0_.has_dyn_sized_stack)
	.set _ZL15flash_attn_tileILi64ELi64ELi2ELi2ELb1EEvPKcS1_S1_S1_S1_PKiPfP15HIP_vector_typeIfLj2EEffffjfiS5_IjLj3EEiiiiiiiiiiiliiliiiiil.has_recursion, or(0, .L_ZL14no_device_codePKciS0_iS0_.has_recursion)
	.set _ZL15flash_attn_tileILi64ELi64ELi2ELi2ELb1EEvPKcS1_S1_S1_S1_PKiPfP15HIP_vector_typeIfLj2EEffffjfiS5_IjLj3EEiiiiiiiiiiiliiliiiiil.has_indirect_call, or(0, .L_ZL14no_device_codePKciS0_iS0_.has_indirect_call)
	.section	.AMDGPU.csdata,"",@progbits
; Kernel info:
; codeLenInByte = 40
; TotalNumSgprs: 36
; NumVgprs: 40
; ScratchSize: 16
; MemoryBound: 0
; FloatMode: 240
; IeeeMode: 1
; LDSByteSize: 0 bytes/workgroup (compile time only)
; SGPRBlocks: 0
; VGPRBlocks: 4
; NumSGPRsForWavesPerEU: 36
; NumVGPRsForWavesPerEU: 40
; Occupancy: 16
; WaveLimiterHint : 1
; COMPUTE_PGM_RSRC2:SCRATCH_EN: 1
; COMPUTE_PGM_RSRC2:USER_SGPR: 2
; COMPUTE_PGM_RSRC2:TRAP_HANDLER: 0
; COMPUTE_PGM_RSRC2:TGID_X_EN: 1
; COMPUTE_PGM_RSRC2:TGID_Y_EN: 0
; COMPUTE_PGM_RSRC2:TGID_Z_EN: 0
; COMPUTE_PGM_RSRC2:TIDIG_COMP_CNT: 0
	.section	.text._ZL15flash_attn_tileILi64ELi64ELi1ELi2ELb1EEvPKcS1_S1_S1_S1_PKiPfP15HIP_vector_typeIfLj2EEffffjfiS5_IjLj3EEiiiiiiiiiiiliiliiiiil,"axG",@progbits,_ZL15flash_attn_tileILi64ELi64ELi1ELi2ELb1EEvPKcS1_S1_S1_S1_PKiPfP15HIP_vector_typeIfLj2EEffffjfiS5_IjLj3EEiiiiiiiiiiiliiliiiiil,comdat
	.globl	_ZL15flash_attn_tileILi64ELi64ELi1ELi2ELb1EEvPKcS1_S1_S1_S1_PKiPfP15HIP_vector_typeIfLj2EEffffjfiS5_IjLj3EEiiiiiiiiiiiliiliiiiil ; -- Begin function _ZL15flash_attn_tileILi64ELi64ELi1ELi2ELb1EEvPKcS1_S1_S1_S1_PKiPfP15HIP_vector_typeIfLj2EEffffjfiS5_IjLj3EEiiiiiiiiiiiliiliiiiil
	.p2align	8
	.type	_ZL15flash_attn_tileILi64ELi64ELi1ELi2ELb1EEvPKcS1_S1_S1_S1_PKiPfP15HIP_vector_typeIfLj2EEffffjfiS5_IjLj3EEiiiiiiiiiiiliiliiiiil,@function
_ZL15flash_attn_tileILi64ELi64ELi1ELi2ELb1EEvPKcS1_S1_S1_S1_PKiPfP15HIP_vector_typeIfLj2EEffffjfiS5_IjLj3EEiiiiiiiiiiiliiliiiiil: ; @_ZL15flash_attn_tileILi64ELi64ELi1ELi2ELb1EEvPKcS1_S1_S1_S1_PKiPfP15HIP_vector_typeIfLj2EEffffjfiS5_IjLj3EEiiiiiiiiiiiliiliiiiil
; %bb.0:
	s_getpc_b64 s[2:3]
	s_sext_i32_i16 s3, s3
	s_add_co_u32 s2, s2, _ZL14no_device_codePKciS0_iS0_@rel32@lo+8
	s_add_co_ci_u32 s3, s3, _ZL14no_device_codePKciS0_iS0_@rel32@hi+16
	s_add_nc_u64 s[8:9], s[0:1], 0xd0
	s_mov_b32 s32, 0
	s_swappc_b64 s[30:31], s[2:3]
	.section	.rodata,"a",@progbits
	.p2align	6, 0x0
	.amdhsa_kernel _ZL15flash_attn_tileILi64ELi64ELi1ELi2ELb1EEvPKcS1_S1_S1_S1_PKiPfP15HIP_vector_typeIfLj2EEffffjfiS5_IjLj3EEiiiiiiiiiiiliiliiiiil
		.amdhsa_group_segment_fixed_size 0
		.amdhsa_private_segment_fixed_size 16
		.amdhsa_kernarg_size 464
		.amdhsa_user_sgpr_count 2
		.amdhsa_user_sgpr_dispatch_ptr 0
		.amdhsa_user_sgpr_queue_ptr 0
		.amdhsa_user_sgpr_kernarg_segment_ptr 1
		.amdhsa_user_sgpr_dispatch_id 0
		.amdhsa_user_sgpr_private_segment_size 0
		.amdhsa_wavefront_size32 1
		.amdhsa_uses_dynamic_stack 0
		.amdhsa_enable_private_segment 1
		.amdhsa_system_sgpr_workgroup_id_x 1
		.amdhsa_system_sgpr_workgroup_id_y 0
		.amdhsa_system_sgpr_workgroup_id_z 0
		.amdhsa_system_sgpr_workgroup_info 0
		.amdhsa_system_vgpr_workitem_id 0
		.amdhsa_next_free_vgpr 40
		.amdhsa_next_free_sgpr 34
		.amdhsa_reserve_vcc 1
		.amdhsa_float_round_mode_32 0
		.amdhsa_float_round_mode_16_64 0
		.amdhsa_float_denorm_mode_32 3
		.amdhsa_float_denorm_mode_16_64 3
		.amdhsa_fp16_overflow 0
		.amdhsa_workgroup_processor_mode 1
		.amdhsa_memory_ordered 1
		.amdhsa_forward_progress 1
		.amdhsa_inst_pref_size 1
		.amdhsa_round_robin_scheduling 0
		.amdhsa_exception_fp_ieee_invalid_op 0
		.amdhsa_exception_fp_denorm_src 0
		.amdhsa_exception_fp_ieee_div_zero 0
		.amdhsa_exception_fp_ieee_overflow 0
		.amdhsa_exception_fp_ieee_underflow 0
		.amdhsa_exception_fp_ieee_inexact 0
		.amdhsa_exception_int_div_zero 0
	.end_amdhsa_kernel
	.section	.text._ZL15flash_attn_tileILi64ELi64ELi1ELi2ELb1EEvPKcS1_S1_S1_S1_PKiPfP15HIP_vector_typeIfLj2EEffffjfiS5_IjLj3EEiiiiiiiiiiiliiliiiiil,"axG",@progbits,_ZL15flash_attn_tileILi64ELi64ELi1ELi2ELb1EEvPKcS1_S1_S1_S1_PKiPfP15HIP_vector_typeIfLj2EEffffjfiS5_IjLj3EEiiiiiiiiiiiliiliiiiil,comdat
.Lfunc_end88:
	.size	_ZL15flash_attn_tileILi64ELi64ELi1ELi2ELb1EEvPKcS1_S1_S1_S1_PKiPfP15HIP_vector_typeIfLj2EEffffjfiS5_IjLj3EEiiiiiiiiiiiliiliiiiil, .Lfunc_end88-_ZL15flash_attn_tileILi64ELi64ELi1ELi2ELb1EEvPKcS1_S1_S1_S1_PKiPfP15HIP_vector_typeIfLj2EEffffjfiS5_IjLj3EEiiiiiiiiiiiliiliiiiil
                                        ; -- End function
	.set _ZL15flash_attn_tileILi64ELi64ELi1ELi2ELb1EEvPKcS1_S1_S1_S1_PKiPfP15HIP_vector_typeIfLj2EEffffjfiS5_IjLj3EEiiiiiiiiiiiliiliiiiil.num_vgpr, max(0, .L_ZL14no_device_codePKciS0_iS0_.num_vgpr)
	.set _ZL15flash_attn_tileILi64ELi64ELi1ELi2ELb1EEvPKcS1_S1_S1_S1_PKiPfP15HIP_vector_typeIfLj2EEffffjfiS5_IjLj3EEiiiiiiiiiiiliiliiiiil.num_agpr, max(0, .L_ZL14no_device_codePKciS0_iS0_.num_agpr)
	.set _ZL15flash_attn_tileILi64ELi64ELi1ELi2ELb1EEvPKcS1_S1_S1_S1_PKiPfP15HIP_vector_typeIfLj2EEffffjfiS5_IjLj3EEiiiiiiiiiiiliiliiiiil.numbered_sgpr, max(33, .L_ZL14no_device_codePKciS0_iS0_.numbered_sgpr)
	.set _ZL15flash_attn_tileILi64ELi64ELi1ELi2ELb1EEvPKcS1_S1_S1_S1_PKiPfP15HIP_vector_typeIfLj2EEffffjfiS5_IjLj3EEiiiiiiiiiiiliiliiiiil.num_named_barrier, max(0, .L_ZL14no_device_codePKciS0_iS0_.num_named_barrier)
	.set _ZL15flash_attn_tileILi64ELi64ELi1ELi2ELb1EEvPKcS1_S1_S1_S1_PKiPfP15HIP_vector_typeIfLj2EEffffjfiS5_IjLj3EEiiiiiiiiiiiliiliiiiil.private_seg_size, 0+max(.L_ZL14no_device_codePKciS0_iS0_.private_seg_size)
	.set _ZL15flash_attn_tileILi64ELi64ELi1ELi2ELb1EEvPKcS1_S1_S1_S1_PKiPfP15HIP_vector_typeIfLj2EEffffjfiS5_IjLj3EEiiiiiiiiiiiliiliiiiil.uses_vcc, or(1, .L_ZL14no_device_codePKciS0_iS0_.uses_vcc)
	.set _ZL15flash_attn_tileILi64ELi64ELi1ELi2ELb1EEvPKcS1_S1_S1_S1_PKiPfP15HIP_vector_typeIfLj2EEffffjfiS5_IjLj3EEiiiiiiiiiiiliiliiiiil.uses_flat_scratch, or(0, .L_ZL14no_device_codePKciS0_iS0_.uses_flat_scratch)
	.set _ZL15flash_attn_tileILi64ELi64ELi1ELi2ELb1EEvPKcS1_S1_S1_S1_PKiPfP15HIP_vector_typeIfLj2EEffffjfiS5_IjLj3EEiiiiiiiiiiiliiliiiiil.has_dyn_sized_stack, or(0, .L_ZL14no_device_codePKciS0_iS0_.has_dyn_sized_stack)
	.set _ZL15flash_attn_tileILi64ELi64ELi1ELi2ELb1EEvPKcS1_S1_S1_S1_PKiPfP15HIP_vector_typeIfLj2EEffffjfiS5_IjLj3EEiiiiiiiiiiiliiliiiiil.has_recursion, or(0, .L_ZL14no_device_codePKciS0_iS0_.has_recursion)
	.set _ZL15flash_attn_tileILi64ELi64ELi1ELi2ELb1EEvPKcS1_S1_S1_S1_PKiPfP15HIP_vector_typeIfLj2EEffffjfiS5_IjLj3EEiiiiiiiiiiiliiliiiiil.has_indirect_call, or(0, .L_ZL14no_device_codePKciS0_iS0_.has_indirect_call)
	.section	.AMDGPU.csdata,"",@progbits
; Kernel info:
; codeLenInByte = 40
; TotalNumSgprs: 36
; NumVgprs: 40
; ScratchSize: 16
; MemoryBound: 0
; FloatMode: 240
; IeeeMode: 1
; LDSByteSize: 0 bytes/workgroup (compile time only)
; SGPRBlocks: 0
; VGPRBlocks: 4
; NumSGPRsForWavesPerEU: 36
; NumVGPRsForWavesPerEU: 40
; Occupancy: 16
; WaveLimiterHint : 1
; COMPUTE_PGM_RSRC2:SCRATCH_EN: 1
; COMPUTE_PGM_RSRC2:USER_SGPR: 2
; COMPUTE_PGM_RSRC2:TRAP_HANDLER: 0
; COMPUTE_PGM_RSRC2:TGID_X_EN: 1
; COMPUTE_PGM_RSRC2:TGID_Y_EN: 0
; COMPUTE_PGM_RSRC2:TGID_Z_EN: 0
; COMPUTE_PGM_RSRC2:TIDIG_COMP_CNT: 0
	.section	.text._ZL15flash_attn_tileILi64ELi64ELi64ELi1ELb1EEvPKcS1_S1_S1_S1_PKiPfP15HIP_vector_typeIfLj2EEffffjfiS5_IjLj3EEiiiiiiiiiiiliiliiiiil,"axG",@progbits,_ZL15flash_attn_tileILi64ELi64ELi64ELi1ELb1EEvPKcS1_S1_S1_S1_PKiPfP15HIP_vector_typeIfLj2EEffffjfiS5_IjLj3EEiiiiiiiiiiiliiliiiiil,comdat
	.globl	_ZL15flash_attn_tileILi64ELi64ELi64ELi1ELb1EEvPKcS1_S1_S1_S1_PKiPfP15HIP_vector_typeIfLj2EEffffjfiS5_IjLj3EEiiiiiiiiiiiliiliiiiil ; -- Begin function _ZL15flash_attn_tileILi64ELi64ELi64ELi1ELb1EEvPKcS1_S1_S1_S1_PKiPfP15HIP_vector_typeIfLj2EEffffjfiS5_IjLj3EEiiiiiiiiiiiliiliiiiil
	.p2align	8
	.type	_ZL15flash_attn_tileILi64ELi64ELi64ELi1ELb1EEvPKcS1_S1_S1_S1_PKiPfP15HIP_vector_typeIfLj2EEffffjfiS5_IjLj3EEiiiiiiiiiiiliiliiiiil,@function
_ZL15flash_attn_tileILi64ELi64ELi64ELi1ELb1EEvPKcS1_S1_S1_S1_PKiPfP15HIP_vector_typeIfLj2EEffffjfiS5_IjLj3EEiiiiiiiiiiiliiliiiiil: ; @_ZL15flash_attn_tileILi64ELi64ELi64ELi1ELb1EEvPKcS1_S1_S1_S1_PKiPfP15HIP_vector_typeIfLj2EEffffjfiS5_IjLj3EEiiiiiiiiiiiliiliiiiil
; %bb.0:
	s_getpc_b64 s[2:3]
	s_sext_i32_i16 s3, s3
	s_add_co_u32 s2, s2, _ZL14no_device_codePKciS0_iS0_@rel32@lo+8
	s_add_co_ci_u32 s3, s3, _ZL14no_device_codePKciS0_iS0_@rel32@hi+16
	s_add_nc_u64 s[8:9], s[0:1], 0xd0
	s_mov_b32 s32, 0
	s_swappc_b64 s[30:31], s[2:3]
	.section	.rodata,"a",@progbits
	.p2align	6, 0x0
	.amdhsa_kernel _ZL15flash_attn_tileILi64ELi64ELi64ELi1ELb1EEvPKcS1_S1_S1_S1_PKiPfP15HIP_vector_typeIfLj2EEffffjfiS5_IjLj3EEiiiiiiiiiiiliiliiiiil
		.amdhsa_group_segment_fixed_size 0
		.amdhsa_private_segment_fixed_size 16
		.amdhsa_kernarg_size 464
		.amdhsa_user_sgpr_count 2
		.amdhsa_user_sgpr_dispatch_ptr 0
		.amdhsa_user_sgpr_queue_ptr 0
		.amdhsa_user_sgpr_kernarg_segment_ptr 1
		.amdhsa_user_sgpr_dispatch_id 0
		.amdhsa_user_sgpr_private_segment_size 0
		.amdhsa_wavefront_size32 1
		.amdhsa_uses_dynamic_stack 0
		.amdhsa_enable_private_segment 1
		.amdhsa_system_sgpr_workgroup_id_x 1
		.amdhsa_system_sgpr_workgroup_id_y 0
		.amdhsa_system_sgpr_workgroup_id_z 0
		.amdhsa_system_sgpr_workgroup_info 0
		.amdhsa_system_vgpr_workitem_id 0
		.amdhsa_next_free_vgpr 40
		.amdhsa_next_free_sgpr 34
		.amdhsa_reserve_vcc 1
		.amdhsa_float_round_mode_32 0
		.amdhsa_float_round_mode_16_64 0
		.amdhsa_float_denorm_mode_32 3
		.amdhsa_float_denorm_mode_16_64 3
		.amdhsa_fp16_overflow 0
		.amdhsa_workgroup_processor_mode 1
		.amdhsa_memory_ordered 1
		.amdhsa_forward_progress 1
		.amdhsa_inst_pref_size 1
		.amdhsa_round_robin_scheduling 0
		.amdhsa_exception_fp_ieee_invalid_op 0
		.amdhsa_exception_fp_denorm_src 0
		.amdhsa_exception_fp_ieee_div_zero 0
		.amdhsa_exception_fp_ieee_overflow 0
		.amdhsa_exception_fp_ieee_underflow 0
		.amdhsa_exception_fp_ieee_inexact 0
		.amdhsa_exception_int_div_zero 0
	.end_amdhsa_kernel
	.section	.text._ZL15flash_attn_tileILi64ELi64ELi64ELi1ELb1EEvPKcS1_S1_S1_S1_PKiPfP15HIP_vector_typeIfLj2EEffffjfiS5_IjLj3EEiiiiiiiiiiiliiliiiiil,"axG",@progbits,_ZL15flash_attn_tileILi64ELi64ELi64ELi1ELb1EEvPKcS1_S1_S1_S1_PKiPfP15HIP_vector_typeIfLj2EEffffjfiS5_IjLj3EEiiiiiiiiiiiliiliiiiil,comdat
.Lfunc_end89:
	.size	_ZL15flash_attn_tileILi64ELi64ELi64ELi1ELb1EEvPKcS1_S1_S1_S1_PKiPfP15HIP_vector_typeIfLj2EEffffjfiS5_IjLj3EEiiiiiiiiiiiliiliiiiil, .Lfunc_end89-_ZL15flash_attn_tileILi64ELi64ELi64ELi1ELb1EEvPKcS1_S1_S1_S1_PKiPfP15HIP_vector_typeIfLj2EEffffjfiS5_IjLj3EEiiiiiiiiiiiliiliiiiil
                                        ; -- End function
	.set _ZL15flash_attn_tileILi64ELi64ELi64ELi1ELb1EEvPKcS1_S1_S1_S1_PKiPfP15HIP_vector_typeIfLj2EEffffjfiS5_IjLj3EEiiiiiiiiiiiliiliiiiil.num_vgpr, max(0, .L_ZL14no_device_codePKciS0_iS0_.num_vgpr)
	.set _ZL15flash_attn_tileILi64ELi64ELi64ELi1ELb1EEvPKcS1_S1_S1_S1_PKiPfP15HIP_vector_typeIfLj2EEffffjfiS5_IjLj3EEiiiiiiiiiiiliiliiiiil.num_agpr, max(0, .L_ZL14no_device_codePKciS0_iS0_.num_agpr)
	.set _ZL15flash_attn_tileILi64ELi64ELi64ELi1ELb1EEvPKcS1_S1_S1_S1_PKiPfP15HIP_vector_typeIfLj2EEffffjfiS5_IjLj3EEiiiiiiiiiiiliiliiiiil.numbered_sgpr, max(33, .L_ZL14no_device_codePKciS0_iS0_.numbered_sgpr)
	.set _ZL15flash_attn_tileILi64ELi64ELi64ELi1ELb1EEvPKcS1_S1_S1_S1_PKiPfP15HIP_vector_typeIfLj2EEffffjfiS5_IjLj3EEiiiiiiiiiiiliiliiiiil.num_named_barrier, max(0, .L_ZL14no_device_codePKciS0_iS0_.num_named_barrier)
	.set _ZL15flash_attn_tileILi64ELi64ELi64ELi1ELb1EEvPKcS1_S1_S1_S1_PKiPfP15HIP_vector_typeIfLj2EEffffjfiS5_IjLj3EEiiiiiiiiiiiliiliiiiil.private_seg_size, 0+max(.L_ZL14no_device_codePKciS0_iS0_.private_seg_size)
	.set _ZL15flash_attn_tileILi64ELi64ELi64ELi1ELb1EEvPKcS1_S1_S1_S1_PKiPfP15HIP_vector_typeIfLj2EEffffjfiS5_IjLj3EEiiiiiiiiiiiliiliiiiil.uses_vcc, or(1, .L_ZL14no_device_codePKciS0_iS0_.uses_vcc)
	.set _ZL15flash_attn_tileILi64ELi64ELi64ELi1ELb1EEvPKcS1_S1_S1_S1_PKiPfP15HIP_vector_typeIfLj2EEffffjfiS5_IjLj3EEiiiiiiiiiiiliiliiiiil.uses_flat_scratch, or(0, .L_ZL14no_device_codePKciS0_iS0_.uses_flat_scratch)
	.set _ZL15flash_attn_tileILi64ELi64ELi64ELi1ELb1EEvPKcS1_S1_S1_S1_PKiPfP15HIP_vector_typeIfLj2EEffffjfiS5_IjLj3EEiiiiiiiiiiiliiliiiiil.has_dyn_sized_stack, or(0, .L_ZL14no_device_codePKciS0_iS0_.has_dyn_sized_stack)
	.set _ZL15flash_attn_tileILi64ELi64ELi64ELi1ELb1EEvPKcS1_S1_S1_S1_PKiPfP15HIP_vector_typeIfLj2EEffffjfiS5_IjLj3EEiiiiiiiiiiiliiliiiiil.has_recursion, or(0, .L_ZL14no_device_codePKciS0_iS0_.has_recursion)
	.set _ZL15flash_attn_tileILi64ELi64ELi64ELi1ELb1EEvPKcS1_S1_S1_S1_PKiPfP15HIP_vector_typeIfLj2EEffffjfiS5_IjLj3EEiiiiiiiiiiiliiliiiiil.has_indirect_call, or(0, .L_ZL14no_device_codePKciS0_iS0_.has_indirect_call)
	.section	.AMDGPU.csdata,"",@progbits
; Kernel info:
; codeLenInByte = 40
; TotalNumSgprs: 36
; NumVgprs: 40
; ScratchSize: 16
; MemoryBound: 0
; FloatMode: 240
; IeeeMode: 1
; LDSByteSize: 0 bytes/workgroup (compile time only)
; SGPRBlocks: 0
; VGPRBlocks: 4
; NumSGPRsForWavesPerEU: 36
; NumVGPRsForWavesPerEU: 40
; Occupancy: 16
; WaveLimiterHint : 1
; COMPUTE_PGM_RSRC2:SCRATCH_EN: 1
; COMPUTE_PGM_RSRC2:USER_SGPR: 2
; COMPUTE_PGM_RSRC2:TRAP_HANDLER: 0
; COMPUTE_PGM_RSRC2:TGID_X_EN: 1
; COMPUTE_PGM_RSRC2:TGID_Y_EN: 0
; COMPUTE_PGM_RSRC2:TGID_Z_EN: 0
; COMPUTE_PGM_RSRC2:TIDIG_COMP_CNT: 0
	.section	.text._ZL15flash_attn_tileILi64ELi64ELi32ELi1ELb1EEvPKcS1_S1_S1_S1_PKiPfP15HIP_vector_typeIfLj2EEffffjfiS5_IjLj3EEiiiiiiiiiiiliiliiiiil,"axG",@progbits,_ZL15flash_attn_tileILi64ELi64ELi32ELi1ELb1EEvPKcS1_S1_S1_S1_PKiPfP15HIP_vector_typeIfLj2EEffffjfiS5_IjLj3EEiiiiiiiiiiiliiliiiiil,comdat
	.globl	_ZL15flash_attn_tileILi64ELi64ELi32ELi1ELb1EEvPKcS1_S1_S1_S1_PKiPfP15HIP_vector_typeIfLj2EEffffjfiS5_IjLj3EEiiiiiiiiiiiliiliiiiil ; -- Begin function _ZL15flash_attn_tileILi64ELi64ELi32ELi1ELb1EEvPKcS1_S1_S1_S1_PKiPfP15HIP_vector_typeIfLj2EEffffjfiS5_IjLj3EEiiiiiiiiiiiliiliiiiil
	.p2align	8
	.type	_ZL15flash_attn_tileILi64ELi64ELi32ELi1ELb1EEvPKcS1_S1_S1_S1_PKiPfP15HIP_vector_typeIfLj2EEffffjfiS5_IjLj3EEiiiiiiiiiiiliiliiiiil,@function
_ZL15flash_attn_tileILi64ELi64ELi32ELi1ELb1EEvPKcS1_S1_S1_S1_PKiPfP15HIP_vector_typeIfLj2EEffffjfiS5_IjLj3EEiiiiiiiiiiiliiliiiiil: ; @_ZL15flash_attn_tileILi64ELi64ELi32ELi1ELb1EEvPKcS1_S1_S1_S1_PKiPfP15HIP_vector_typeIfLj2EEffffjfiS5_IjLj3EEiiiiiiiiiiiliiliiiiil
; %bb.0:
	s_getpc_b64 s[2:3]
	s_sext_i32_i16 s3, s3
	s_add_co_u32 s2, s2, _ZL14no_device_codePKciS0_iS0_@rel32@lo+8
	s_add_co_ci_u32 s3, s3, _ZL14no_device_codePKciS0_iS0_@rel32@hi+16
	s_add_nc_u64 s[8:9], s[0:1], 0xd0
	s_mov_b32 s32, 0
	s_swappc_b64 s[30:31], s[2:3]
	.section	.rodata,"a",@progbits
	.p2align	6, 0x0
	.amdhsa_kernel _ZL15flash_attn_tileILi64ELi64ELi32ELi1ELb1EEvPKcS1_S1_S1_S1_PKiPfP15HIP_vector_typeIfLj2EEffffjfiS5_IjLj3EEiiiiiiiiiiiliiliiiiil
		.amdhsa_group_segment_fixed_size 0
		.amdhsa_private_segment_fixed_size 16
		.amdhsa_kernarg_size 464
		.amdhsa_user_sgpr_count 2
		.amdhsa_user_sgpr_dispatch_ptr 0
		.amdhsa_user_sgpr_queue_ptr 0
		.amdhsa_user_sgpr_kernarg_segment_ptr 1
		.amdhsa_user_sgpr_dispatch_id 0
		.amdhsa_user_sgpr_private_segment_size 0
		.amdhsa_wavefront_size32 1
		.amdhsa_uses_dynamic_stack 0
		.amdhsa_enable_private_segment 1
		.amdhsa_system_sgpr_workgroup_id_x 1
		.amdhsa_system_sgpr_workgroup_id_y 0
		.amdhsa_system_sgpr_workgroup_id_z 0
		.amdhsa_system_sgpr_workgroup_info 0
		.amdhsa_system_vgpr_workitem_id 0
		.amdhsa_next_free_vgpr 40
		.amdhsa_next_free_sgpr 34
		.amdhsa_reserve_vcc 1
		.amdhsa_float_round_mode_32 0
		.amdhsa_float_round_mode_16_64 0
		.amdhsa_float_denorm_mode_32 3
		.amdhsa_float_denorm_mode_16_64 3
		.amdhsa_fp16_overflow 0
		.amdhsa_workgroup_processor_mode 1
		.amdhsa_memory_ordered 1
		.amdhsa_forward_progress 1
		.amdhsa_inst_pref_size 1
		.amdhsa_round_robin_scheduling 0
		.amdhsa_exception_fp_ieee_invalid_op 0
		.amdhsa_exception_fp_denorm_src 0
		.amdhsa_exception_fp_ieee_div_zero 0
		.amdhsa_exception_fp_ieee_overflow 0
		.amdhsa_exception_fp_ieee_underflow 0
		.amdhsa_exception_fp_ieee_inexact 0
		.amdhsa_exception_int_div_zero 0
	.end_amdhsa_kernel
	.section	.text._ZL15flash_attn_tileILi64ELi64ELi32ELi1ELb1EEvPKcS1_S1_S1_S1_PKiPfP15HIP_vector_typeIfLj2EEffffjfiS5_IjLj3EEiiiiiiiiiiiliiliiiiil,"axG",@progbits,_ZL15flash_attn_tileILi64ELi64ELi32ELi1ELb1EEvPKcS1_S1_S1_S1_PKiPfP15HIP_vector_typeIfLj2EEffffjfiS5_IjLj3EEiiiiiiiiiiiliiliiiiil,comdat
.Lfunc_end90:
	.size	_ZL15flash_attn_tileILi64ELi64ELi32ELi1ELb1EEvPKcS1_S1_S1_S1_PKiPfP15HIP_vector_typeIfLj2EEffffjfiS5_IjLj3EEiiiiiiiiiiiliiliiiiil, .Lfunc_end90-_ZL15flash_attn_tileILi64ELi64ELi32ELi1ELb1EEvPKcS1_S1_S1_S1_PKiPfP15HIP_vector_typeIfLj2EEffffjfiS5_IjLj3EEiiiiiiiiiiiliiliiiiil
                                        ; -- End function
	.set _ZL15flash_attn_tileILi64ELi64ELi32ELi1ELb1EEvPKcS1_S1_S1_S1_PKiPfP15HIP_vector_typeIfLj2EEffffjfiS5_IjLj3EEiiiiiiiiiiiliiliiiiil.num_vgpr, max(0, .L_ZL14no_device_codePKciS0_iS0_.num_vgpr)
	.set _ZL15flash_attn_tileILi64ELi64ELi32ELi1ELb1EEvPKcS1_S1_S1_S1_PKiPfP15HIP_vector_typeIfLj2EEffffjfiS5_IjLj3EEiiiiiiiiiiiliiliiiiil.num_agpr, max(0, .L_ZL14no_device_codePKciS0_iS0_.num_agpr)
	.set _ZL15flash_attn_tileILi64ELi64ELi32ELi1ELb1EEvPKcS1_S1_S1_S1_PKiPfP15HIP_vector_typeIfLj2EEffffjfiS5_IjLj3EEiiiiiiiiiiiliiliiiiil.numbered_sgpr, max(33, .L_ZL14no_device_codePKciS0_iS0_.numbered_sgpr)
	.set _ZL15flash_attn_tileILi64ELi64ELi32ELi1ELb1EEvPKcS1_S1_S1_S1_PKiPfP15HIP_vector_typeIfLj2EEffffjfiS5_IjLj3EEiiiiiiiiiiiliiliiiiil.num_named_barrier, max(0, .L_ZL14no_device_codePKciS0_iS0_.num_named_barrier)
	.set _ZL15flash_attn_tileILi64ELi64ELi32ELi1ELb1EEvPKcS1_S1_S1_S1_PKiPfP15HIP_vector_typeIfLj2EEffffjfiS5_IjLj3EEiiiiiiiiiiiliiliiiiil.private_seg_size, 0+max(.L_ZL14no_device_codePKciS0_iS0_.private_seg_size)
	.set _ZL15flash_attn_tileILi64ELi64ELi32ELi1ELb1EEvPKcS1_S1_S1_S1_PKiPfP15HIP_vector_typeIfLj2EEffffjfiS5_IjLj3EEiiiiiiiiiiiliiliiiiil.uses_vcc, or(1, .L_ZL14no_device_codePKciS0_iS0_.uses_vcc)
	.set _ZL15flash_attn_tileILi64ELi64ELi32ELi1ELb1EEvPKcS1_S1_S1_S1_PKiPfP15HIP_vector_typeIfLj2EEffffjfiS5_IjLj3EEiiiiiiiiiiiliiliiiiil.uses_flat_scratch, or(0, .L_ZL14no_device_codePKciS0_iS0_.uses_flat_scratch)
	.set _ZL15flash_attn_tileILi64ELi64ELi32ELi1ELb1EEvPKcS1_S1_S1_S1_PKiPfP15HIP_vector_typeIfLj2EEffffjfiS5_IjLj3EEiiiiiiiiiiiliiliiiiil.has_dyn_sized_stack, or(0, .L_ZL14no_device_codePKciS0_iS0_.has_dyn_sized_stack)
	.set _ZL15flash_attn_tileILi64ELi64ELi32ELi1ELb1EEvPKcS1_S1_S1_S1_PKiPfP15HIP_vector_typeIfLj2EEffffjfiS5_IjLj3EEiiiiiiiiiiiliiliiiiil.has_recursion, or(0, .L_ZL14no_device_codePKciS0_iS0_.has_recursion)
	.set _ZL15flash_attn_tileILi64ELi64ELi32ELi1ELb1EEvPKcS1_S1_S1_S1_PKiPfP15HIP_vector_typeIfLj2EEffffjfiS5_IjLj3EEiiiiiiiiiiiliiliiiiil.has_indirect_call, or(0, .L_ZL14no_device_codePKciS0_iS0_.has_indirect_call)
	.section	.AMDGPU.csdata,"",@progbits
; Kernel info:
; codeLenInByte = 40
; TotalNumSgprs: 36
; NumVgprs: 40
; ScratchSize: 16
; MemoryBound: 0
; FloatMode: 240
; IeeeMode: 1
; LDSByteSize: 0 bytes/workgroup (compile time only)
; SGPRBlocks: 0
; VGPRBlocks: 4
; NumSGPRsForWavesPerEU: 36
; NumVGPRsForWavesPerEU: 40
; Occupancy: 16
; WaveLimiterHint : 1
; COMPUTE_PGM_RSRC2:SCRATCH_EN: 1
; COMPUTE_PGM_RSRC2:USER_SGPR: 2
; COMPUTE_PGM_RSRC2:TRAP_HANDLER: 0
; COMPUTE_PGM_RSRC2:TGID_X_EN: 1
; COMPUTE_PGM_RSRC2:TGID_Y_EN: 0
; COMPUTE_PGM_RSRC2:TGID_Z_EN: 0
; COMPUTE_PGM_RSRC2:TIDIG_COMP_CNT: 0
	.section	.text._ZL15flash_attn_tileILi64ELi64ELi16ELi1ELb1EEvPKcS1_S1_S1_S1_PKiPfP15HIP_vector_typeIfLj2EEffffjfiS5_IjLj3EEiiiiiiiiiiiliiliiiiil,"axG",@progbits,_ZL15flash_attn_tileILi64ELi64ELi16ELi1ELb1EEvPKcS1_S1_S1_S1_PKiPfP15HIP_vector_typeIfLj2EEffffjfiS5_IjLj3EEiiiiiiiiiiiliiliiiiil,comdat
	.globl	_ZL15flash_attn_tileILi64ELi64ELi16ELi1ELb1EEvPKcS1_S1_S1_S1_PKiPfP15HIP_vector_typeIfLj2EEffffjfiS5_IjLj3EEiiiiiiiiiiiliiliiiiil ; -- Begin function _ZL15flash_attn_tileILi64ELi64ELi16ELi1ELb1EEvPKcS1_S1_S1_S1_PKiPfP15HIP_vector_typeIfLj2EEffffjfiS5_IjLj3EEiiiiiiiiiiiliiliiiiil
	.p2align	8
	.type	_ZL15flash_attn_tileILi64ELi64ELi16ELi1ELb1EEvPKcS1_S1_S1_S1_PKiPfP15HIP_vector_typeIfLj2EEffffjfiS5_IjLj3EEiiiiiiiiiiiliiliiiiil,@function
_ZL15flash_attn_tileILi64ELi64ELi16ELi1ELb1EEvPKcS1_S1_S1_S1_PKiPfP15HIP_vector_typeIfLj2EEffffjfiS5_IjLj3EEiiiiiiiiiiiliiliiiiil: ; @_ZL15flash_attn_tileILi64ELi64ELi16ELi1ELb1EEvPKcS1_S1_S1_S1_PKiPfP15HIP_vector_typeIfLj2EEffffjfiS5_IjLj3EEiiiiiiiiiiiliiliiiiil
; %bb.0:
	s_getpc_b64 s[2:3]
	s_sext_i32_i16 s3, s3
	s_add_co_u32 s2, s2, _ZL14no_device_codePKciS0_iS0_@rel32@lo+8
	s_add_co_ci_u32 s3, s3, _ZL14no_device_codePKciS0_iS0_@rel32@hi+16
	s_add_nc_u64 s[8:9], s[0:1], 0xd0
	s_mov_b32 s32, 0
	s_swappc_b64 s[30:31], s[2:3]
	.section	.rodata,"a",@progbits
	.p2align	6, 0x0
	.amdhsa_kernel _ZL15flash_attn_tileILi64ELi64ELi16ELi1ELb1EEvPKcS1_S1_S1_S1_PKiPfP15HIP_vector_typeIfLj2EEffffjfiS5_IjLj3EEiiiiiiiiiiiliiliiiiil
		.amdhsa_group_segment_fixed_size 0
		.amdhsa_private_segment_fixed_size 16
		.amdhsa_kernarg_size 464
		.amdhsa_user_sgpr_count 2
		.amdhsa_user_sgpr_dispatch_ptr 0
		.amdhsa_user_sgpr_queue_ptr 0
		.amdhsa_user_sgpr_kernarg_segment_ptr 1
		.amdhsa_user_sgpr_dispatch_id 0
		.amdhsa_user_sgpr_private_segment_size 0
		.amdhsa_wavefront_size32 1
		.amdhsa_uses_dynamic_stack 0
		.amdhsa_enable_private_segment 1
		.amdhsa_system_sgpr_workgroup_id_x 1
		.amdhsa_system_sgpr_workgroup_id_y 0
		.amdhsa_system_sgpr_workgroup_id_z 0
		.amdhsa_system_sgpr_workgroup_info 0
		.amdhsa_system_vgpr_workitem_id 0
		.amdhsa_next_free_vgpr 40
		.amdhsa_next_free_sgpr 34
		.amdhsa_reserve_vcc 1
		.amdhsa_float_round_mode_32 0
		.amdhsa_float_round_mode_16_64 0
		.amdhsa_float_denorm_mode_32 3
		.amdhsa_float_denorm_mode_16_64 3
		.amdhsa_fp16_overflow 0
		.amdhsa_workgroup_processor_mode 1
		.amdhsa_memory_ordered 1
		.amdhsa_forward_progress 1
		.amdhsa_inst_pref_size 1
		.amdhsa_round_robin_scheduling 0
		.amdhsa_exception_fp_ieee_invalid_op 0
		.amdhsa_exception_fp_denorm_src 0
		.amdhsa_exception_fp_ieee_div_zero 0
		.amdhsa_exception_fp_ieee_overflow 0
		.amdhsa_exception_fp_ieee_underflow 0
		.amdhsa_exception_fp_ieee_inexact 0
		.amdhsa_exception_int_div_zero 0
	.end_amdhsa_kernel
	.section	.text._ZL15flash_attn_tileILi64ELi64ELi16ELi1ELb1EEvPKcS1_S1_S1_S1_PKiPfP15HIP_vector_typeIfLj2EEffffjfiS5_IjLj3EEiiiiiiiiiiiliiliiiiil,"axG",@progbits,_ZL15flash_attn_tileILi64ELi64ELi16ELi1ELb1EEvPKcS1_S1_S1_S1_PKiPfP15HIP_vector_typeIfLj2EEffffjfiS5_IjLj3EEiiiiiiiiiiiliiliiiiil,comdat
.Lfunc_end91:
	.size	_ZL15flash_attn_tileILi64ELi64ELi16ELi1ELb1EEvPKcS1_S1_S1_S1_PKiPfP15HIP_vector_typeIfLj2EEffffjfiS5_IjLj3EEiiiiiiiiiiiliiliiiiil, .Lfunc_end91-_ZL15flash_attn_tileILi64ELi64ELi16ELi1ELb1EEvPKcS1_S1_S1_S1_PKiPfP15HIP_vector_typeIfLj2EEffffjfiS5_IjLj3EEiiiiiiiiiiiliiliiiiil
                                        ; -- End function
	.set _ZL15flash_attn_tileILi64ELi64ELi16ELi1ELb1EEvPKcS1_S1_S1_S1_PKiPfP15HIP_vector_typeIfLj2EEffffjfiS5_IjLj3EEiiiiiiiiiiiliiliiiiil.num_vgpr, max(0, .L_ZL14no_device_codePKciS0_iS0_.num_vgpr)
	.set _ZL15flash_attn_tileILi64ELi64ELi16ELi1ELb1EEvPKcS1_S1_S1_S1_PKiPfP15HIP_vector_typeIfLj2EEffffjfiS5_IjLj3EEiiiiiiiiiiiliiliiiiil.num_agpr, max(0, .L_ZL14no_device_codePKciS0_iS0_.num_agpr)
	.set _ZL15flash_attn_tileILi64ELi64ELi16ELi1ELb1EEvPKcS1_S1_S1_S1_PKiPfP15HIP_vector_typeIfLj2EEffffjfiS5_IjLj3EEiiiiiiiiiiiliiliiiiil.numbered_sgpr, max(33, .L_ZL14no_device_codePKciS0_iS0_.numbered_sgpr)
	.set _ZL15flash_attn_tileILi64ELi64ELi16ELi1ELb1EEvPKcS1_S1_S1_S1_PKiPfP15HIP_vector_typeIfLj2EEffffjfiS5_IjLj3EEiiiiiiiiiiiliiliiiiil.num_named_barrier, max(0, .L_ZL14no_device_codePKciS0_iS0_.num_named_barrier)
	.set _ZL15flash_attn_tileILi64ELi64ELi16ELi1ELb1EEvPKcS1_S1_S1_S1_PKiPfP15HIP_vector_typeIfLj2EEffffjfiS5_IjLj3EEiiiiiiiiiiiliiliiiiil.private_seg_size, 0+max(.L_ZL14no_device_codePKciS0_iS0_.private_seg_size)
	.set _ZL15flash_attn_tileILi64ELi64ELi16ELi1ELb1EEvPKcS1_S1_S1_S1_PKiPfP15HIP_vector_typeIfLj2EEffffjfiS5_IjLj3EEiiiiiiiiiiiliiliiiiil.uses_vcc, or(1, .L_ZL14no_device_codePKciS0_iS0_.uses_vcc)
	.set _ZL15flash_attn_tileILi64ELi64ELi16ELi1ELb1EEvPKcS1_S1_S1_S1_PKiPfP15HIP_vector_typeIfLj2EEffffjfiS5_IjLj3EEiiiiiiiiiiiliiliiiiil.uses_flat_scratch, or(0, .L_ZL14no_device_codePKciS0_iS0_.uses_flat_scratch)
	.set _ZL15flash_attn_tileILi64ELi64ELi16ELi1ELb1EEvPKcS1_S1_S1_S1_PKiPfP15HIP_vector_typeIfLj2EEffffjfiS5_IjLj3EEiiiiiiiiiiiliiliiiiil.has_dyn_sized_stack, or(0, .L_ZL14no_device_codePKciS0_iS0_.has_dyn_sized_stack)
	.set _ZL15flash_attn_tileILi64ELi64ELi16ELi1ELb1EEvPKcS1_S1_S1_S1_PKiPfP15HIP_vector_typeIfLj2EEffffjfiS5_IjLj3EEiiiiiiiiiiiliiliiiiil.has_recursion, or(0, .L_ZL14no_device_codePKciS0_iS0_.has_recursion)
	.set _ZL15flash_attn_tileILi64ELi64ELi16ELi1ELb1EEvPKcS1_S1_S1_S1_PKiPfP15HIP_vector_typeIfLj2EEffffjfiS5_IjLj3EEiiiiiiiiiiiliiliiiiil.has_indirect_call, or(0, .L_ZL14no_device_codePKciS0_iS0_.has_indirect_call)
	.section	.AMDGPU.csdata,"",@progbits
; Kernel info:
; codeLenInByte = 40
; TotalNumSgprs: 36
; NumVgprs: 40
; ScratchSize: 16
; MemoryBound: 0
; FloatMode: 240
; IeeeMode: 1
; LDSByteSize: 0 bytes/workgroup (compile time only)
; SGPRBlocks: 0
; VGPRBlocks: 4
; NumSGPRsForWavesPerEU: 36
; NumVGPRsForWavesPerEU: 40
; Occupancy: 16
; WaveLimiterHint : 1
; COMPUTE_PGM_RSRC2:SCRATCH_EN: 1
; COMPUTE_PGM_RSRC2:USER_SGPR: 2
; COMPUTE_PGM_RSRC2:TRAP_HANDLER: 0
; COMPUTE_PGM_RSRC2:TGID_X_EN: 1
; COMPUTE_PGM_RSRC2:TGID_Y_EN: 0
; COMPUTE_PGM_RSRC2:TGID_Z_EN: 0
; COMPUTE_PGM_RSRC2:TIDIG_COMP_CNT: 0
	.section	.text._ZL15flash_attn_tileILi64ELi64ELi8ELi1ELb1EEvPKcS1_S1_S1_S1_PKiPfP15HIP_vector_typeIfLj2EEffffjfiS5_IjLj3EEiiiiiiiiiiiliiliiiiil,"axG",@progbits,_ZL15flash_attn_tileILi64ELi64ELi8ELi1ELb1EEvPKcS1_S1_S1_S1_PKiPfP15HIP_vector_typeIfLj2EEffffjfiS5_IjLj3EEiiiiiiiiiiiliiliiiiil,comdat
	.globl	_ZL15flash_attn_tileILi64ELi64ELi8ELi1ELb1EEvPKcS1_S1_S1_S1_PKiPfP15HIP_vector_typeIfLj2EEffffjfiS5_IjLj3EEiiiiiiiiiiiliiliiiiil ; -- Begin function _ZL15flash_attn_tileILi64ELi64ELi8ELi1ELb1EEvPKcS1_S1_S1_S1_PKiPfP15HIP_vector_typeIfLj2EEffffjfiS5_IjLj3EEiiiiiiiiiiiliiliiiiil
	.p2align	8
	.type	_ZL15flash_attn_tileILi64ELi64ELi8ELi1ELb1EEvPKcS1_S1_S1_S1_PKiPfP15HIP_vector_typeIfLj2EEffffjfiS5_IjLj3EEiiiiiiiiiiiliiliiiiil,@function
_ZL15flash_attn_tileILi64ELi64ELi8ELi1ELb1EEvPKcS1_S1_S1_S1_PKiPfP15HIP_vector_typeIfLj2EEffffjfiS5_IjLj3EEiiiiiiiiiiiliiliiiiil: ; @_ZL15flash_attn_tileILi64ELi64ELi8ELi1ELb1EEvPKcS1_S1_S1_S1_PKiPfP15HIP_vector_typeIfLj2EEffffjfiS5_IjLj3EEiiiiiiiiiiiliiliiiiil
; %bb.0:
	s_getpc_b64 s[2:3]
	s_sext_i32_i16 s3, s3
	s_add_co_u32 s2, s2, _ZL14no_device_codePKciS0_iS0_@rel32@lo+8
	s_add_co_ci_u32 s3, s3, _ZL14no_device_codePKciS0_iS0_@rel32@hi+16
	s_add_nc_u64 s[8:9], s[0:1], 0xd0
	s_mov_b32 s32, 0
	s_swappc_b64 s[30:31], s[2:3]
	.section	.rodata,"a",@progbits
	.p2align	6, 0x0
	.amdhsa_kernel _ZL15flash_attn_tileILi64ELi64ELi8ELi1ELb1EEvPKcS1_S1_S1_S1_PKiPfP15HIP_vector_typeIfLj2EEffffjfiS5_IjLj3EEiiiiiiiiiiiliiliiiiil
		.amdhsa_group_segment_fixed_size 0
		.amdhsa_private_segment_fixed_size 16
		.amdhsa_kernarg_size 464
		.amdhsa_user_sgpr_count 2
		.amdhsa_user_sgpr_dispatch_ptr 0
		.amdhsa_user_sgpr_queue_ptr 0
		.amdhsa_user_sgpr_kernarg_segment_ptr 1
		.amdhsa_user_sgpr_dispatch_id 0
		.amdhsa_user_sgpr_private_segment_size 0
		.amdhsa_wavefront_size32 1
		.amdhsa_uses_dynamic_stack 0
		.amdhsa_enable_private_segment 1
		.amdhsa_system_sgpr_workgroup_id_x 1
		.amdhsa_system_sgpr_workgroup_id_y 0
		.amdhsa_system_sgpr_workgroup_id_z 0
		.amdhsa_system_sgpr_workgroup_info 0
		.amdhsa_system_vgpr_workitem_id 0
		.amdhsa_next_free_vgpr 40
		.amdhsa_next_free_sgpr 34
		.amdhsa_reserve_vcc 1
		.amdhsa_float_round_mode_32 0
		.amdhsa_float_round_mode_16_64 0
		.amdhsa_float_denorm_mode_32 3
		.amdhsa_float_denorm_mode_16_64 3
		.amdhsa_fp16_overflow 0
		.amdhsa_workgroup_processor_mode 1
		.amdhsa_memory_ordered 1
		.amdhsa_forward_progress 1
		.amdhsa_inst_pref_size 1
		.amdhsa_round_robin_scheduling 0
		.amdhsa_exception_fp_ieee_invalid_op 0
		.amdhsa_exception_fp_denorm_src 0
		.amdhsa_exception_fp_ieee_div_zero 0
		.amdhsa_exception_fp_ieee_overflow 0
		.amdhsa_exception_fp_ieee_underflow 0
		.amdhsa_exception_fp_ieee_inexact 0
		.amdhsa_exception_int_div_zero 0
	.end_amdhsa_kernel
	.section	.text._ZL15flash_attn_tileILi64ELi64ELi8ELi1ELb1EEvPKcS1_S1_S1_S1_PKiPfP15HIP_vector_typeIfLj2EEffffjfiS5_IjLj3EEiiiiiiiiiiiliiliiiiil,"axG",@progbits,_ZL15flash_attn_tileILi64ELi64ELi8ELi1ELb1EEvPKcS1_S1_S1_S1_PKiPfP15HIP_vector_typeIfLj2EEffffjfiS5_IjLj3EEiiiiiiiiiiiliiliiiiil,comdat
.Lfunc_end92:
	.size	_ZL15flash_attn_tileILi64ELi64ELi8ELi1ELb1EEvPKcS1_S1_S1_S1_PKiPfP15HIP_vector_typeIfLj2EEffffjfiS5_IjLj3EEiiiiiiiiiiiliiliiiiil, .Lfunc_end92-_ZL15flash_attn_tileILi64ELi64ELi8ELi1ELb1EEvPKcS1_S1_S1_S1_PKiPfP15HIP_vector_typeIfLj2EEffffjfiS5_IjLj3EEiiiiiiiiiiiliiliiiiil
                                        ; -- End function
	.set _ZL15flash_attn_tileILi64ELi64ELi8ELi1ELb1EEvPKcS1_S1_S1_S1_PKiPfP15HIP_vector_typeIfLj2EEffffjfiS5_IjLj3EEiiiiiiiiiiiliiliiiiil.num_vgpr, max(0, .L_ZL14no_device_codePKciS0_iS0_.num_vgpr)
	.set _ZL15flash_attn_tileILi64ELi64ELi8ELi1ELb1EEvPKcS1_S1_S1_S1_PKiPfP15HIP_vector_typeIfLj2EEffffjfiS5_IjLj3EEiiiiiiiiiiiliiliiiiil.num_agpr, max(0, .L_ZL14no_device_codePKciS0_iS0_.num_agpr)
	.set _ZL15flash_attn_tileILi64ELi64ELi8ELi1ELb1EEvPKcS1_S1_S1_S1_PKiPfP15HIP_vector_typeIfLj2EEffffjfiS5_IjLj3EEiiiiiiiiiiiliiliiiiil.numbered_sgpr, max(33, .L_ZL14no_device_codePKciS0_iS0_.numbered_sgpr)
	.set _ZL15flash_attn_tileILi64ELi64ELi8ELi1ELb1EEvPKcS1_S1_S1_S1_PKiPfP15HIP_vector_typeIfLj2EEffffjfiS5_IjLj3EEiiiiiiiiiiiliiliiiiil.num_named_barrier, max(0, .L_ZL14no_device_codePKciS0_iS0_.num_named_barrier)
	.set _ZL15flash_attn_tileILi64ELi64ELi8ELi1ELb1EEvPKcS1_S1_S1_S1_PKiPfP15HIP_vector_typeIfLj2EEffffjfiS5_IjLj3EEiiiiiiiiiiiliiliiiiil.private_seg_size, 0+max(.L_ZL14no_device_codePKciS0_iS0_.private_seg_size)
	.set _ZL15flash_attn_tileILi64ELi64ELi8ELi1ELb1EEvPKcS1_S1_S1_S1_PKiPfP15HIP_vector_typeIfLj2EEffffjfiS5_IjLj3EEiiiiiiiiiiiliiliiiiil.uses_vcc, or(1, .L_ZL14no_device_codePKciS0_iS0_.uses_vcc)
	.set _ZL15flash_attn_tileILi64ELi64ELi8ELi1ELb1EEvPKcS1_S1_S1_S1_PKiPfP15HIP_vector_typeIfLj2EEffffjfiS5_IjLj3EEiiiiiiiiiiiliiliiiiil.uses_flat_scratch, or(0, .L_ZL14no_device_codePKciS0_iS0_.uses_flat_scratch)
	.set _ZL15flash_attn_tileILi64ELi64ELi8ELi1ELb1EEvPKcS1_S1_S1_S1_PKiPfP15HIP_vector_typeIfLj2EEffffjfiS5_IjLj3EEiiiiiiiiiiiliiliiiiil.has_dyn_sized_stack, or(0, .L_ZL14no_device_codePKciS0_iS0_.has_dyn_sized_stack)
	.set _ZL15flash_attn_tileILi64ELi64ELi8ELi1ELb1EEvPKcS1_S1_S1_S1_PKiPfP15HIP_vector_typeIfLj2EEffffjfiS5_IjLj3EEiiiiiiiiiiiliiliiiiil.has_recursion, or(0, .L_ZL14no_device_codePKciS0_iS0_.has_recursion)
	.set _ZL15flash_attn_tileILi64ELi64ELi8ELi1ELb1EEvPKcS1_S1_S1_S1_PKiPfP15HIP_vector_typeIfLj2EEffffjfiS5_IjLj3EEiiiiiiiiiiiliiliiiiil.has_indirect_call, or(0, .L_ZL14no_device_codePKciS0_iS0_.has_indirect_call)
	.section	.AMDGPU.csdata,"",@progbits
; Kernel info:
; codeLenInByte = 40
; TotalNumSgprs: 36
; NumVgprs: 40
; ScratchSize: 16
; MemoryBound: 0
; FloatMode: 240
; IeeeMode: 1
; LDSByteSize: 0 bytes/workgroup (compile time only)
; SGPRBlocks: 0
; VGPRBlocks: 4
; NumSGPRsForWavesPerEU: 36
; NumVGPRsForWavesPerEU: 40
; Occupancy: 16
; WaveLimiterHint : 1
; COMPUTE_PGM_RSRC2:SCRATCH_EN: 1
; COMPUTE_PGM_RSRC2:USER_SGPR: 2
; COMPUTE_PGM_RSRC2:TRAP_HANDLER: 0
; COMPUTE_PGM_RSRC2:TGID_X_EN: 1
; COMPUTE_PGM_RSRC2:TGID_Y_EN: 0
; COMPUTE_PGM_RSRC2:TGID_Z_EN: 0
; COMPUTE_PGM_RSRC2:TIDIG_COMP_CNT: 0
	.section	.text._ZL15flash_attn_tileILi64ELi64ELi4ELi1ELb1EEvPKcS1_S1_S1_S1_PKiPfP15HIP_vector_typeIfLj2EEffffjfiS5_IjLj3EEiiiiiiiiiiiliiliiiiil,"axG",@progbits,_ZL15flash_attn_tileILi64ELi64ELi4ELi1ELb1EEvPKcS1_S1_S1_S1_PKiPfP15HIP_vector_typeIfLj2EEffffjfiS5_IjLj3EEiiiiiiiiiiiliiliiiiil,comdat
	.globl	_ZL15flash_attn_tileILi64ELi64ELi4ELi1ELb1EEvPKcS1_S1_S1_S1_PKiPfP15HIP_vector_typeIfLj2EEffffjfiS5_IjLj3EEiiiiiiiiiiiliiliiiiil ; -- Begin function _ZL15flash_attn_tileILi64ELi64ELi4ELi1ELb1EEvPKcS1_S1_S1_S1_PKiPfP15HIP_vector_typeIfLj2EEffffjfiS5_IjLj3EEiiiiiiiiiiiliiliiiiil
	.p2align	8
	.type	_ZL15flash_attn_tileILi64ELi64ELi4ELi1ELb1EEvPKcS1_S1_S1_S1_PKiPfP15HIP_vector_typeIfLj2EEffffjfiS5_IjLj3EEiiiiiiiiiiiliiliiiiil,@function
_ZL15flash_attn_tileILi64ELi64ELi4ELi1ELb1EEvPKcS1_S1_S1_S1_PKiPfP15HIP_vector_typeIfLj2EEffffjfiS5_IjLj3EEiiiiiiiiiiiliiliiiiil: ; @_ZL15flash_attn_tileILi64ELi64ELi4ELi1ELb1EEvPKcS1_S1_S1_S1_PKiPfP15HIP_vector_typeIfLj2EEffffjfiS5_IjLj3EEiiiiiiiiiiiliiliiiiil
; %bb.0:
	s_getpc_b64 s[2:3]
	s_sext_i32_i16 s3, s3
	s_add_co_u32 s2, s2, _ZL14no_device_codePKciS0_iS0_@rel32@lo+8
	s_add_co_ci_u32 s3, s3, _ZL14no_device_codePKciS0_iS0_@rel32@hi+16
	s_add_nc_u64 s[8:9], s[0:1], 0xd0
	s_mov_b32 s32, 0
	s_swappc_b64 s[30:31], s[2:3]
	.section	.rodata,"a",@progbits
	.p2align	6, 0x0
	.amdhsa_kernel _ZL15flash_attn_tileILi64ELi64ELi4ELi1ELb1EEvPKcS1_S1_S1_S1_PKiPfP15HIP_vector_typeIfLj2EEffffjfiS5_IjLj3EEiiiiiiiiiiiliiliiiiil
		.amdhsa_group_segment_fixed_size 0
		.amdhsa_private_segment_fixed_size 16
		.amdhsa_kernarg_size 464
		.amdhsa_user_sgpr_count 2
		.amdhsa_user_sgpr_dispatch_ptr 0
		.amdhsa_user_sgpr_queue_ptr 0
		.amdhsa_user_sgpr_kernarg_segment_ptr 1
		.amdhsa_user_sgpr_dispatch_id 0
		.amdhsa_user_sgpr_private_segment_size 0
		.amdhsa_wavefront_size32 1
		.amdhsa_uses_dynamic_stack 0
		.amdhsa_enable_private_segment 1
		.amdhsa_system_sgpr_workgroup_id_x 1
		.amdhsa_system_sgpr_workgroup_id_y 0
		.amdhsa_system_sgpr_workgroup_id_z 0
		.amdhsa_system_sgpr_workgroup_info 0
		.amdhsa_system_vgpr_workitem_id 0
		.amdhsa_next_free_vgpr 40
		.amdhsa_next_free_sgpr 34
		.amdhsa_reserve_vcc 1
		.amdhsa_float_round_mode_32 0
		.amdhsa_float_round_mode_16_64 0
		.amdhsa_float_denorm_mode_32 3
		.amdhsa_float_denorm_mode_16_64 3
		.amdhsa_fp16_overflow 0
		.amdhsa_workgroup_processor_mode 1
		.amdhsa_memory_ordered 1
		.amdhsa_forward_progress 1
		.amdhsa_inst_pref_size 1
		.amdhsa_round_robin_scheduling 0
		.amdhsa_exception_fp_ieee_invalid_op 0
		.amdhsa_exception_fp_denorm_src 0
		.amdhsa_exception_fp_ieee_div_zero 0
		.amdhsa_exception_fp_ieee_overflow 0
		.amdhsa_exception_fp_ieee_underflow 0
		.amdhsa_exception_fp_ieee_inexact 0
		.amdhsa_exception_int_div_zero 0
	.end_amdhsa_kernel
	.section	.text._ZL15flash_attn_tileILi64ELi64ELi4ELi1ELb1EEvPKcS1_S1_S1_S1_PKiPfP15HIP_vector_typeIfLj2EEffffjfiS5_IjLj3EEiiiiiiiiiiiliiliiiiil,"axG",@progbits,_ZL15flash_attn_tileILi64ELi64ELi4ELi1ELb1EEvPKcS1_S1_S1_S1_PKiPfP15HIP_vector_typeIfLj2EEffffjfiS5_IjLj3EEiiiiiiiiiiiliiliiiiil,comdat
.Lfunc_end93:
	.size	_ZL15flash_attn_tileILi64ELi64ELi4ELi1ELb1EEvPKcS1_S1_S1_S1_PKiPfP15HIP_vector_typeIfLj2EEffffjfiS5_IjLj3EEiiiiiiiiiiiliiliiiiil, .Lfunc_end93-_ZL15flash_attn_tileILi64ELi64ELi4ELi1ELb1EEvPKcS1_S1_S1_S1_PKiPfP15HIP_vector_typeIfLj2EEffffjfiS5_IjLj3EEiiiiiiiiiiiliiliiiiil
                                        ; -- End function
	.set _ZL15flash_attn_tileILi64ELi64ELi4ELi1ELb1EEvPKcS1_S1_S1_S1_PKiPfP15HIP_vector_typeIfLj2EEffffjfiS5_IjLj3EEiiiiiiiiiiiliiliiiiil.num_vgpr, max(0, .L_ZL14no_device_codePKciS0_iS0_.num_vgpr)
	.set _ZL15flash_attn_tileILi64ELi64ELi4ELi1ELb1EEvPKcS1_S1_S1_S1_PKiPfP15HIP_vector_typeIfLj2EEffffjfiS5_IjLj3EEiiiiiiiiiiiliiliiiiil.num_agpr, max(0, .L_ZL14no_device_codePKciS0_iS0_.num_agpr)
	.set _ZL15flash_attn_tileILi64ELi64ELi4ELi1ELb1EEvPKcS1_S1_S1_S1_PKiPfP15HIP_vector_typeIfLj2EEffffjfiS5_IjLj3EEiiiiiiiiiiiliiliiiiil.numbered_sgpr, max(33, .L_ZL14no_device_codePKciS0_iS0_.numbered_sgpr)
	.set _ZL15flash_attn_tileILi64ELi64ELi4ELi1ELb1EEvPKcS1_S1_S1_S1_PKiPfP15HIP_vector_typeIfLj2EEffffjfiS5_IjLj3EEiiiiiiiiiiiliiliiiiil.num_named_barrier, max(0, .L_ZL14no_device_codePKciS0_iS0_.num_named_barrier)
	.set _ZL15flash_attn_tileILi64ELi64ELi4ELi1ELb1EEvPKcS1_S1_S1_S1_PKiPfP15HIP_vector_typeIfLj2EEffffjfiS5_IjLj3EEiiiiiiiiiiiliiliiiiil.private_seg_size, 0+max(.L_ZL14no_device_codePKciS0_iS0_.private_seg_size)
	.set _ZL15flash_attn_tileILi64ELi64ELi4ELi1ELb1EEvPKcS1_S1_S1_S1_PKiPfP15HIP_vector_typeIfLj2EEffffjfiS5_IjLj3EEiiiiiiiiiiiliiliiiiil.uses_vcc, or(1, .L_ZL14no_device_codePKciS0_iS0_.uses_vcc)
	.set _ZL15flash_attn_tileILi64ELi64ELi4ELi1ELb1EEvPKcS1_S1_S1_S1_PKiPfP15HIP_vector_typeIfLj2EEffffjfiS5_IjLj3EEiiiiiiiiiiiliiliiiiil.uses_flat_scratch, or(0, .L_ZL14no_device_codePKciS0_iS0_.uses_flat_scratch)
	.set _ZL15flash_attn_tileILi64ELi64ELi4ELi1ELb1EEvPKcS1_S1_S1_S1_PKiPfP15HIP_vector_typeIfLj2EEffffjfiS5_IjLj3EEiiiiiiiiiiiliiliiiiil.has_dyn_sized_stack, or(0, .L_ZL14no_device_codePKciS0_iS0_.has_dyn_sized_stack)
	.set _ZL15flash_attn_tileILi64ELi64ELi4ELi1ELb1EEvPKcS1_S1_S1_S1_PKiPfP15HIP_vector_typeIfLj2EEffffjfiS5_IjLj3EEiiiiiiiiiiiliiliiiiil.has_recursion, or(0, .L_ZL14no_device_codePKciS0_iS0_.has_recursion)
	.set _ZL15flash_attn_tileILi64ELi64ELi4ELi1ELb1EEvPKcS1_S1_S1_S1_PKiPfP15HIP_vector_typeIfLj2EEffffjfiS5_IjLj3EEiiiiiiiiiiiliiliiiiil.has_indirect_call, or(0, .L_ZL14no_device_codePKciS0_iS0_.has_indirect_call)
	.section	.AMDGPU.csdata,"",@progbits
; Kernel info:
; codeLenInByte = 40
; TotalNumSgprs: 36
; NumVgprs: 40
; ScratchSize: 16
; MemoryBound: 0
; FloatMode: 240
; IeeeMode: 1
; LDSByteSize: 0 bytes/workgroup (compile time only)
; SGPRBlocks: 0
; VGPRBlocks: 4
; NumSGPRsForWavesPerEU: 36
; NumVGPRsForWavesPerEU: 40
; Occupancy: 16
; WaveLimiterHint : 1
; COMPUTE_PGM_RSRC2:SCRATCH_EN: 1
; COMPUTE_PGM_RSRC2:USER_SGPR: 2
; COMPUTE_PGM_RSRC2:TRAP_HANDLER: 0
; COMPUTE_PGM_RSRC2:TGID_X_EN: 1
; COMPUTE_PGM_RSRC2:TGID_Y_EN: 0
; COMPUTE_PGM_RSRC2:TGID_Z_EN: 0
; COMPUTE_PGM_RSRC2:TIDIG_COMP_CNT: 0
	.section	.text._ZL15flash_attn_tileILi64ELi64ELi2ELi1ELb1EEvPKcS1_S1_S1_S1_PKiPfP15HIP_vector_typeIfLj2EEffffjfiS5_IjLj3EEiiiiiiiiiiiliiliiiiil,"axG",@progbits,_ZL15flash_attn_tileILi64ELi64ELi2ELi1ELb1EEvPKcS1_S1_S1_S1_PKiPfP15HIP_vector_typeIfLj2EEffffjfiS5_IjLj3EEiiiiiiiiiiiliiliiiiil,comdat
	.globl	_ZL15flash_attn_tileILi64ELi64ELi2ELi1ELb1EEvPKcS1_S1_S1_S1_PKiPfP15HIP_vector_typeIfLj2EEffffjfiS5_IjLj3EEiiiiiiiiiiiliiliiiiil ; -- Begin function _ZL15flash_attn_tileILi64ELi64ELi2ELi1ELb1EEvPKcS1_S1_S1_S1_PKiPfP15HIP_vector_typeIfLj2EEffffjfiS5_IjLj3EEiiiiiiiiiiiliiliiiiil
	.p2align	8
	.type	_ZL15flash_attn_tileILi64ELi64ELi2ELi1ELb1EEvPKcS1_S1_S1_S1_PKiPfP15HIP_vector_typeIfLj2EEffffjfiS5_IjLj3EEiiiiiiiiiiiliiliiiiil,@function
_ZL15flash_attn_tileILi64ELi64ELi2ELi1ELb1EEvPKcS1_S1_S1_S1_PKiPfP15HIP_vector_typeIfLj2EEffffjfiS5_IjLj3EEiiiiiiiiiiiliiliiiiil: ; @_ZL15flash_attn_tileILi64ELi64ELi2ELi1ELb1EEvPKcS1_S1_S1_S1_PKiPfP15HIP_vector_typeIfLj2EEffffjfiS5_IjLj3EEiiiiiiiiiiiliiliiiiil
; %bb.0:
	s_getpc_b64 s[2:3]
	s_sext_i32_i16 s3, s3
	s_add_co_u32 s2, s2, _ZL14no_device_codePKciS0_iS0_@rel32@lo+8
	s_add_co_ci_u32 s3, s3, _ZL14no_device_codePKciS0_iS0_@rel32@hi+16
	s_add_nc_u64 s[8:9], s[0:1], 0xd0
	s_mov_b32 s32, 0
	s_swappc_b64 s[30:31], s[2:3]
	.section	.rodata,"a",@progbits
	.p2align	6, 0x0
	.amdhsa_kernel _ZL15flash_attn_tileILi64ELi64ELi2ELi1ELb1EEvPKcS1_S1_S1_S1_PKiPfP15HIP_vector_typeIfLj2EEffffjfiS5_IjLj3EEiiiiiiiiiiiliiliiiiil
		.amdhsa_group_segment_fixed_size 0
		.amdhsa_private_segment_fixed_size 16
		.amdhsa_kernarg_size 464
		.amdhsa_user_sgpr_count 2
		.amdhsa_user_sgpr_dispatch_ptr 0
		.amdhsa_user_sgpr_queue_ptr 0
		.amdhsa_user_sgpr_kernarg_segment_ptr 1
		.amdhsa_user_sgpr_dispatch_id 0
		.amdhsa_user_sgpr_private_segment_size 0
		.amdhsa_wavefront_size32 1
		.amdhsa_uses_dynamic_stack 0
		.amdhsa_enable_private_segment 1
		.amdhsa_system_sgpr_workgroup_id_x 1
		.amdhsa_system_sgpr_workgroup_id_y 0
		.amdhsa_system_sgpr_workgroup_id_z 0
		.amdhsa_system_sgpr_workgroup_info 0
		.amdhsa_system_vgpr_workitem_id 0
		.amdhsa_next_free_vgpr 40
		.amdhsa_next_free_sgpr 34
		.amdhsa_reserve_vcc 1
		.amdhsa_float_round_mode_32 0
		.amdhsa_float_round_mode_16_64 0
		.amdhsa_float_denorm_mode_32 3
		.amdhsa_float_denorm_mode_16_64 3
		.amdhsa_fp16_overflow 0
		.amdhsa_workgroup_processor_mode 1
		.amdhsa_memory_ordered 1
		.amdhsa_forward_progress 1
		.amdhsa_inst_pref_size 1
		.amdhsa_round_robin_scheduling 0
		.amdhsa_exception_fp_ieee_invalid_op 0
		.amdhsa_exception_fp_denorm_src 0
		.amdhsa_exception_fp_ieee_div_zero 0
		.amdhsa_exception_fp_ieee_overflow 0
		.amdhsa_exception_fp_ieee_underflow 0
		.amdhsa_exception_fp_ieee_inexact 0
		.amdhsa_exception_int_div_zero 0
	.end_amdhsa_kernel
	.section	.text._ZL15flash_attn_tileILi64ELi64ELi2ELi1ELb1EEvPKcS1_S1_S1_S1_PKiPfP15HIP_vector_typeIfLj2EEffffjfiS5_IjLj3EEiiiiiiiiiiiliiliiiiil,"axG",@progbits,_ZL15flash_attn_tileILi64ELi64ELi2ELi1ELb1EEvPKcS1_S1_S1_S1_PKiPfP15HIP_vector_typeIfLj2EEffffjfiS5_IjLj3EEiiiiiiiiiiiliiliiiiil,comdat
.Lfunc_end94:
	.size	_ZL15flash_attn_tileILi64ELi64ELi2ELi1ELb1EEvPKcS1_S1_S1_S1_PKiPfP15HIP_vector_typeIfLj2EEffffjfiS5_IjLj3EEiiiiiiiiiiiliiliiiiil, .Lfunc_end94-_ZL15flash_attn_tileILi64ELi64ELi2ELi1ELb1EEvPKcS1_S1_S1_S1_PKiPfP15HIP_vector_typeIfLj2EEffffjfiS5_IjLj3EEiiiiiiiiiiiliiliiiiil
                                        ; -- End function
	.set _ZL15flash_attn_tileILi64ELi64ELi2ELi1ELb1EEvPKcS1_S1_S1_S1_PKiPfP15HIP_vector_typeIfLj2EEffffjfiS5_IjLj3EEiiiiiiiiiiiliiliiiiil.num_vgpr, max(0, .L_ZL14no_device_codePKciS0_iS0_.num_vgpr)
	.set _ZL15flash_attn_tileILi64ELi64ELi2ELi1ELb1EEvPKcS1_S1_S1_S1_PKiPfP15HIP_vector_typeIfLj2EEffffjfiS5_IjLj3EEiiiiiiiiiiiliiliiiiil.num_agpr, max(0, .L_ZL14no_device_codePKciS0_iS0_.num_agpr)
	.set _ZL15flash_attn_tileILi64ELi64ELi2ELi1ELb1EEvPKcS1_S1_S1_S1_PKiPfP15HIP_vector_typeIfLj2EEffffjfiS5_IjLj3EEiiiiiiiiiiiliiliiiiil.numbered_sgpr, max(33, .L_ZL14no_device_codePKciS0_iS0_.numbered_sgpr)
	.set _ZL15flash_attn_tileILi64ELi64ELi2ELi1ELb1EEvPKcS1_S1_S1_S1_PKiPfP15HIP_vector_typeIfLj2EEffffjfiS5_IjLj3EEiiiiiiiiiiiliiliiiiil.num_named_barrier, max(0, .L_ZL14no_device_codePKciS0_iS0_.num_named_barrier)
	.set _ZL15flash_attn_tileILi64ELi64ELi2ELi1ELb1EEvPKcS1_S1_S1_S1_PKiPfP15HIP_vector_typeIfLj2EEffffjfiS5_IjLj3EEiiiiiiiiiiiliiliiiiil.private_seg_size, 0+max(.L_ZL14no_device_codePKciS0_iS0_.private_seg_size)
	.set _ZL15flash_attn_tileILi64ELi64ELi2ELi1ELb1EEvPKcS1_S1_S1_S1_PKiPfP15HIP_vector_typeIfLj2EEffffjfiS5_IjLj3EEiiiiiiiiiiiliiliiiiil.uses_vcc, or(1, .L_ZL14no_device_codePKciS0_iS0_.uses_vcc)
	.set _ZL15flash_attn_tileILi64ELi64ELi2ELi1ELb1EEvPKcS1_S1_S1_S1_PKiPfP15HIP_vector_typeIfLj2EEffffjfiS5_IjLj3EEiiiiiiiiiiiliiliiiiil.uses_flat_scratch, or(0, .L_ZL14no_device_codePKciS0_iS0_.uses_flat_scratch)
	.set _ZL15flash_attn_tileILi64ELi64ELi2ELi1ELb1EEvPKcS1_S1_S1_S1_PKiPfP15HIP_vector_typeIfLj2EEffffjfiS5_IjLj3EEiiiiiiiiiiiliiliiiiil.has_dyn_sized_stack, or(0, .L_ZL14no_device_codePKciS0_iS0_.has_dyn_sized_stack)
	.set _ZL15flash_attn_tileILi64ELi64ELi2ELi1ELb1EEvPKcS1_S1_S1_S1_PKiPfP15HIP_vector_typeIfLj2EEffffjfiS5_IjLj3EEiiiiiiiiiiiliiliiiiil.has_recursion, or(0, .L_ZL14no_device_codePKciS0_iS0_.has_recursion)
	.set _ZL15flash_attn_tileILi64ELi64ELi2ELi1ELb1EEvPKcS1_S1_S1_S1_PKiPfP15HIP_vector_typeIfLj2EEffffjfiS5_IjLj3EEiiiiiiiiiiiliiliiiiil.has_indirect_call, or(0, .L_ZL14no_device_codePKciS0_iS0_.has_indirect_call)
	.section	.AMDGPU.csdata,"",@progbits
; Kernel info:
; codeLenInByte = 40
; TotalNumSgprs: 36
; NumVgprs: 40
; ScratchSize: 16
; MemoryBound: 0
; FloatMode: 240
; IeeeMode: 1
; LDSByteSize: 0 bytes/workgroup (compile time only)
; SGPRBlocks: 0
; VGPRBlocks: 4
; NumSGPRsForWavesPerEU: 36
; NumVGPRsForWavesPerEU: 40
; Occupancy: 16
; WaveLimiterHint : 1
; COMPUTE_PGM_RSRC2:SCRATCH_EN: 1
; COMPUTE_PGM_RSRC2:USER_SGPR: 2
; COMPUTE_PGM_RSRC2:TRAP_HANDLER: 0
; COMPUTE_PGM_RSRC2:TGID_X_EN: 1
; COMPUTE_PGM_RSRC2:TGID_Y_EN: 0
; COMPUTE_PGM_RSRC2:TGID_Z_EN: 0
; COMPUTE_PGM_RSRC2:TIDIG_COMP_CNT: 0
	.text
	.p2alignl 7, 3214868480
	.fill 96, 4, 3214868480
	.section	.AMDGPU.gpr_maximums,"",@progbits
	.set amdgpu.max_num_vgpr, 40
	.set amdgpu.max_num_agpr, 0
	.set amdgpu.max_num_sgpr, 34
	.text
	.type	.str.3,@object                  ; @.str.3
	.section	.rodata.str1.1,"aMS",@progbits,1
.str.3:
	.asciz	"/root/src/amdgpu-assembly/repos/ggml-org__llama.cpp/ggml/src/ggml-cuda/template-instances/../fattn-tile.cuh"
	.size	.str.3, 108

	.type	__FUNCTION__._ZL15flash_attn_tileILi64ELi64ELi8ELi8ELb1EEvPKcS1_S1_S1_S1_PKiPfP15HIP_vector_typeIfLj2EEffffjfiS5_IjLj3EEiiiiiiiiiiiliiliiiiil,@object ; @__FUNCTION__._ZL15flash_attn_tileILi64ELi64ELi8ELi8ELb1EEvPKcS1_S1_S1_S1_PKiPfP15HIP_vector_typeIfLj2EEffffjfiS5_IjLj3EEiiiiiiiiiiiliiliiiiil
__FUNCTION__._ZL15flash_attn_tileILi64ELi64ELi8ELi8ELb1EEvPKcS1_S1_S1_S1_PKiPfP15HIP_vector_typeIfLj2EEffffjfiS5_IjLj3EEiiiiiiiiiiiliiliiiiil:
	.asciz	"flash_attn_tile"
	.size	__FUNCTION__._ZL15flash_attn_tileILi64ELi64ELi8ELi8ELb1EEvPKcS1_S1_S1_S1_PKiPfP15HIP_vector_typeIfLj2EEffffjfiS5_IjLj3EEiiiiiiiiiiiliiliiiiil, 16

	.type	.str.5,@object                  ; @.str.5
.str.5:
	.asciz	"%s:%d: ERROR: HIP kernel %s has no device code compatible with HIP arch %d.\n"
	.size	.str.5, 77

	.type	__hip_cuid_2bedfb2bfb77be52,@object ; @__hip_cuid_2bedfb2bfb77be52
	.section	.bss,"aw",@nobits
	.globl	__hip_cuid_2bedfb2bfb77be52
__hip_cuid_2bedfb2bfb77be52:
	.byte	0                               ; 0x0
	.size	__hip_cuid_2bedfb2bfb77be52, 1

	.ident	"AMD clang version 22.0.0git (https://github.com/RadeonOpenCompute/llvm-project roc-7.2.4 26084 f58b06dce1f9c15707c5f808fd002e18c2accf7e)"
	.section	".note.GNU-stack","",@progbits
	.addrsig
	.addrsig_sym __hip_cuid_2bedfb2bfb77be52
	.amdgpu_metadata
---
amdhsa.kernels:
  - .args:
      - .address_space:  global
        .offset:         0
        .size:           8
        .value_kind:     global_buffer
      - .address_space:  global
        .offset:         8
        .size:           8
        .value_kind:     global_buffer
      - .address_space:  global
        .offset:         16
        .size:           8
        .value_kind:     global_buffer
      - .address_space:  global
        .offset:         24
        .size:           8
        .value_kind:     global_buffer
      - .address_space:  global
        .offset:         32
        .size:           8
        .value_kind:     global_buffer
      - .address_space:  global
        .offset:         40
        .size:           8
        .value_kind:     global_buffer
      - .address_space:  global
        .offset:         48
        .size:           8
        .value_kind:     global_buffer
      - .address_space:  global
        .offset:         56
        .size:           8
        .value_kind:     global_buffer
      - .offset:         64
        .size:           4
        .value_kind:     by_value
      - .offset:         68
        .size:           4
        .value_kind:     by_value
      - .offset:         72
        .size:           4
        .value_kind:     by_value
      - .offset:         76
        .size:           4
        .value_kind:     by_value
      - .offset:         80
        .size:           4
        .value_kind:     by_value
      - .offset:         84
        .size:           4
        .value_kind:     by_value
      - .offset:         88
        .size:           4
        .value_kind:     by_value
      - .offset:         92
        .size:           12
        .value_kind:     by_value
      - .offset:         104
        .size:           4
        .value_kind:     by_value
      - .offset:         108
        .size:           4
        .value_kind:     by_value
      - .offset:         112
        .size:           4
        .value_kind:     by_value
      - .offset:         116
        .size:           4
        .value_kind:     by_value
      - .offset:         120
        .size:           4
        .value_kind:     by_value
      - .offset:         124
        .size:           4
        .value_kind:     by_value
      - .offset:         128
        .size:           4
        .value_kind:     by_value
      - .offset:         132
        .size:           4
        .value_kind:     by_value
      - .offset:         136
        .size:           4
        .value_kind:     by_value
      - .offset:         140
        .size:           4
        .value_kind:     by_value
      - .offset:         144
        .size:           4
        .value_kind:     by_value
      - .offset:         152
        .size:           8
        .value_kind:     by_value
      - .offset:         160
        .size:           4
        .value_kind:     by_value
      - .offset:         164
        .size:           4
        .value_kind:     by_value
      - .offset:         168
        .size:           8
        .value_kind:     by_value
      - .offset:         176
        .size:           4
        .value_kind:     by_value
      - .offset:         180
        .size:           4
        .value_kind:     by_value
      - .offset:         184
        .size:           4
        .value_kind:     by_value
      - .offset:         188
        .size:           4
        .value_kind:     by_value
      - .offset:         192
        .size:           4
        .value_kind:     by_value
      - .offset:         200
        .size:           8
        .value_kind:     by_value
      - .offset:         208
        .size:           4
        .value_kind:     hidden_block_count_x
      - .offset:         212
        .size:           4
        .value_kind:     hidden_block_count_y
      - .offset:         216
        .size:           4
        .value_kind:     hidden_block_count_z
      - .offset:         220
        .size:           2
        .value_kind:     hidden_group_size_x
      - .offset:         222
        .size:           2
        .value_kind:     hidden_group_size_y
      - .offset:         224
        .size:           2
        .value_kind:     hidden_group_size_z
      - .offset:         226
        .size:           2
        .value_kind:     hidden_remainder_x
      - .offset:         228
        .size:           2
        .value_kind:     hidden_remainder_y
      - .offset:         230
        .size:           2
        .value_kind:     hidden_remainder_z
      - .offset:         248
        .size:           8
        .value_kind:     hidden_global_offset_x
      - .offset:         256
        .size:           8
        .value_kind:     hidden_global_offset_y
      - .offset:         264
        .size:           8
        .value_kind:     hidden_global_offset_z
      - .offset:         272
        .size:           2
        .value_kind:     hidden_grid_dims
    .group_segment_fixed_size: 25600
    .kernarg_segment_align: 8
    .kernarg_segment_size: 464
    .language:       OpenCL C
    .language_version:
      - 2
      - 0
    .max_flat_workgroup_size: 128
    .name:           _ZL15flash_attn_tileILi64ELi64ELi8ELi8ELb0EEvPKcS1_S1_S1_S1_PKiPfP15HIP_vector_typeIfLj2EEffffjfiS5_IjLj3EEiiiiiiiiiiiliiliiiiil
    .private_segment_fixed_size: 0
    .sgpr_count:     56
    .sgpr_spill_count: 0
    .symbol:         _ZL15flash_attn_tileILi64ELi64ELi8ELi8ELb0EEvPKcS1_S1_S1_S1_PKiPfP15HIP_vector_typeIfLj2EEffffjfiS5_IjLj3EEiiiiiiiiiiiliiliiiiil.kd
    .uniform_work_group_size: 1
    .uses_dynamic_stack: false
    .vgpr_count:     255
    .vgpr_spill_count: 0
    .wavefront_size: 32
    .workgroup_processor_mode: 1
  - .args:
      - .actual_access:  read_only
        .address_space:  global
        .offset:         0
        .size:           8
        .value_kind:     global_buffer
      - .actual_access:  write_only
        .address_space:  global
        .offset:         8
        .size:           8
        .value_kind:     global_buffer
      - .offset:         16
        .size:           4
        .value_kind:     by_value
      - .offset:         20
        .size:           4
        .value_kind:     by_value
      - .offset:         24
        .size:           4
        .value_kind:     by_value
      - .offset:         32
        .size:           4
        .value_kind:     hidden_block_count_x
      - .offset:         36
        .size:           4
        .value_kind:     hidden_block_count_y
      - .offset:         40
        .size:           4
        .value_kind:     hidden_block_count_z
      - .offset:         44
        .size:           2
        .value_kind:     hidden_group_size_x
      - .offset:         46
        .size:           2
        .value_kind:     hidden_group_size_y
      - .offset:         48
        .size:           2
        .value_kind:     hidden_group_size_z
      - .offset:         50
        .size:           2
        .value_kind:     hidden_remainder_x
      - .offset:         52
        .size:           2
        .value_kind:     hidden_remainder_y
      - .offset:         54
        .size:           2
        .value_kind:     hidden_remainder_z
      - .offset:         72
        .size:           8
        .value_kind:     hidden_global_offset_x
      - .offset:         80
        .size:           8
        .value_kind:     hidden_global_offset_y
      - .offset:         88
        .size:           8
        .value_kind:     hidden_global_offset_z
      - .offset:         96
        .size:           2
        .value_kind:     hidden_grid_dims
    .group_segment_fixed_size: 128
    .kernarg_segment_align: 8
    .kernarg_segment_size: 288
    .language:       OpenCL C
    .language_version:
      - 2
      - 0
    .max_flat_workgroup_size: 128
    .name:           _ZL25flash_attn_mask_to_KV_maxILi8EEvPK7__half2Piiii
    .private_segment_fixed_size: 0
    .sgpr_count:     27
    .sgpr_spill_count: 0
    .symbol:         _ZL25flash_attn_mask_to_KV_maxILi8EEvPK7__half2Piiii.kd
    .uniform_work_group_size: 1
    .uses_dynamic_stack: false
    .vgpr_count:     9
    .vgpr_spill_count: 0
    .wavefront_size: 32
    .workgroup_processor_mode: 1
  - .args:
      - .address_space:  global
        .offset:         0
        .size:           8
        .value_kind:     global_buffer
      - .address_space:  global
        .offset:         8
        .size:           8
        .value_kind:     global_buffer
      - .offset:         16
        .size:           4
        .value_kind:     by_value
      - .offset:         20
        .size:           4
        .value_kind:     by_value
      - .offset:         24
        .size:           4
        .value_kind:     by_value
      - .offset:         28
        .size:           4
        .value_kind:     by_value
      - .offset:         32
        .size:           4
        .value_kind:     by_value
      - .offset:         36
        .size:           4
        .value_kind:     by_value
      - .offset:         40
        .size:           12
        .value_kind:     by_value
      - .offset:         52
        .size:           12
        .value_kind:     by_value
      - .offset:         64
        .size:           12
        .value_kind:     by_value
    .group_segment_fixed_size: 0
    .kernarg_segment_align: 8
    .kernarg_segment_size: 76
    .language:       OpenCL C
    .language_version:
      - 2
      - 0
    .max_flat_workgroup_size: 64
    .name:           _ZL33flash_attn_stream_k_fixup_uniformILi64ELi8ELi8EEvPfPK15HIP_vector_typeIfLj2EEiiiiiiS1_IjLj3EES5_S5_
    .private_segment_fixed_size: 0
    .sgpr_count:     18
    .sgpr_spill_count: 0
    .symbol:         _ZL33flash_attn_stream_k_fixup_uniformILi64ELi8ELi8EEvPfPK15HIP_vector_typeIfLj2EEiiiiiiS1_IjLj3EES5_S5_.kd
    .uniform_work_group_size: 1
    .uses_dynamic_stack: false
    .vgpr_count:     11
    .vgpr_spill_count: 0
    .wavefront_size: 32
    .workgroup_processor_mode: 1
  - .args:
      - .address_space:  global
        .offset:         0
        .size:           8
        .value_kind:     global_buffer
      - .address_space:  global
        .offset:         8
        .size:           8
        .value_kind:     global_buffer
      - .offset:         16
        .size:           4
        .value_kind:     by_value
      - .offset:         20
        .size:           4
        .value_kind:     by_value
      - .offset:         24
        .size:           4
        .value_kind:     by_value
      - .offset:         28
        .size:           4
        .value_kind:     by_value
      - .offset:         32
        .size:           12
        .value_kind:     by_value
      - .offset:         44
        .size:           12
        .value_kind:     by_value
      - .offset:         56
        .size:           12
        .value_kind:     by_value
      - .offset:         68
        .size:           12
        .value_kind:     by_value
      - .offset:         80
        .size:           4
        .value_kind:     hidden_block_count_x
      - .offset:         84
        .size:           4
        .value_kind:     hidden_block_count_y
      - .offset:         88
        .size:           4
        .value_kind:     hidden_block_count_z
      - .offset:         92
        .size:           2
        .value_kind:     hidden_group_size_x
      - .offset:         94
        .size:           2
        .value_kind:     hidden_group_size_y
      - .offset:         96
        .size:           2
        .value_kind:     hidden_group_size_z
      - .offset:         98
        .size:           2
        .value_kind:     hidden_remainder_x
      - .offset:         100
        .size:           2
        .value_kind:     hidden_remainder_y
      - .offset:         102
        .size:           2
        .value_kind:     hidden_remainder_z
      - .offset:         120
        .size:           8
        .value_kind:     hidden_global_offset_x
      - .offset:         128
        .size:           8
        .value_kind:     hidden_global_offset_y
      - .offset:         136
        .size:           8
        .value_kind:     hidden_global_offset_z
      - .offset:         144
        .size:           2
        .value_kind:     hidden_grid_dims
    .group_segment_fixed_size: 0
    .kernarg_segment_align: 8
    .kernarg_segment_size: 336
    .language:       OpenCL C
    .language_version:
      - 2
      - 0
    .max_flat_workgroup_size: 64
    .name:           _ZL33flash_attn_stream_k_fixup_generalILi64ELi8ELi8EEvPfPK15HIP_vector_typeIfLj2EEiiiiS1_IjLj3EES5_S5_S5_
    .private_segment_fixed_size: 0
    .sgpr_count:     46
    .sgpr_spill_count: 0
    .symbol:         _ZL33flash_attn_stream_k_fixup_generalILi64ELi8ELi8EEvPfPK15HIP_vector_typeIfLj2EEiiiiS1_IjLj3EES5_S5_S5_.kd
    .uniform_work_group_size: 1
    .uses_dynamic_stack: false
    .vgpr_count:     9
    .vgpr_spill_count: 0
    .wavefront_size: 32
    .workgroup_processor_mode: 1
  - .args:
      - .address_space:  global
        .offset:         0
        .size:           8
        .value_kind:     global_buffer
      - .address_space:  global
        .offset:         8
        .size:           8
        .value_kind:     global_buffer
      - .address_space:  global
        .offset:         16
        .size:           8
        .value_kind:     global_buffer
      - .offset:         24
        .size:           4
        .value_kind:     by_value
      - .offset:         32
        .size:           4
        .value_kind:     hidden_block_count_x
      - .offset:         36
        .size:           4
        .value_kind:     hidden_block_count_y
      - .offset:         40
        .size:           4
        .value_kind:     hidden_block_count_z
      - .offset:         44
        .size:           2
        .value_kind:     hidden_group_size_x
      - .offset:         46
        .size:           2
        .value_kind:     hidden_group_size_y
      - .offset:         48
        .size:           2
        .value_kind:     hidden_group_size_z
      - .offset:         50
        .size:           2
        .value_kind:     hidden_remainder_x
      - .offset:         52
        .size:           2
        .value_kind:     hidden_remainder_y
      - .offset:         54
        .size:           2
        .value_kind:     hidden_remainder_z
      - .offset:         72
        .size:           8
        .value_kind:     hidden_global_offset_x
      - .offset:         80
        .size:           8
        .value_kind:     hidden_global_offset_y
      - .offset:         88
        .size:           8
        .value_kind:     hidden_global_offset_z
      - .offset:         96
        .size:           2
        .value_kind:     hidden_grid_dims
      - .offset:         152
        .size:           4
        .value_kind:     hidden_dynamic_lds_size
    .group_segment_fixed_size: 0
    .kernarg_segment_align: 8
    .kernarg_segment_size: 288
    .language:       OpenCL C
    .language_version:
      - 2
      - 0
    .max_flat_workgroup_size: 64
    .name:           _ZL26flash_attn_combine_resultsILi64EEvPKfPK15HIP_vector_typeIfLj2EEPfi
    .private_segment_fixed_size: 0
    .sgpr_count:     18
    .sgpr_spill_count: 0
    .symbol:         _ZL26flash_attn_combine_resultsILi64EEvPKfPK15HIP_vector_typeIfLj2EEPfi.kd
    .uniform_work_group_size: 1
    .uses_dynamic_stack: false
    .vgpr_count:     55
    .vgpr_spill_count: 0
    .wavefront_size: 32
    .workgroup_processor_mode: 1
  - .args:
      - .address_space:  global
        .offset:         0
        .size:           8
        .value_kind:     global_buffer
      - .address_space:  global
        .offset:         8
        .size:           8
        .value_kind:     global_buffer
      - .address_space:  global
        .offset:         16
        .size:           8
        .value_kind:     global_buffer
      - .address_space:  global
        .offset:         24
        .size:           8
        .value_kind:     global_buffer
      - .address_space:  global
        .offset:         32
        .size:           8
        .value_kind:     global_buffer
      - .address_space:  global
        .offset:         40
        .size:           8
        .value_kind:     global_buffer
      - .address_space:  global
        .offset:         48
        .size:           8
        .value_kind:     global_buffer
      - .address_space:  global
        .offset:         56
        .size:           8
        .value_kind:     global_buffer
      - .offset:         64
        .size:           4
        .value_kind:     by_value
      - .offset:         68
        .size:           4
        .value_kind:     by_value
      - .offset:         72
        .size:           4
        .value_kind:     by_value
      - .offset:         76
        .size:           4
        .value_kind:     by_value
      - .offset:         80
        .size:           4
        .value_kind:     by_value
      - .offset:         84
        .size:           4
        .value_kind:     by_value
      - .offset:         88
        .size:           4
        .value_kind:     by_value
      - .offset:         92
        .size:           12
        .value_kind:     by_value
      - .offset:         104
        .size:           4
        .value_kind:     by_value
      - .offset:         108
        .size:           4
        .value_kind:     by_value
      - .offset:         112
        .size:           4
        .value_kind:     by_value
      - .offset:         116
        .size:           4
        .value_kind:     by_value
      - .offset:         120
        .size:           4
        .value_kind:     by_value
      - .offset:         124
        .size:           4
        .value_kind:     by_value
      - .offset:         128
        .size:           4
        .value_kind:     by_value
      - .offset:         132
        .size:           4
        .value_kind:     by_value
      - .offset:         136
        .size:           4
        .value_kind:     by_value
      - .offset:         140
        .size:           4
        .value_kind:     by_value
      - .offset:         144
        .size:           4
        .value_kind:     by_value
      - .offset:         152
        .size:           8
        .value_kind:     by_value
      - .offset:         160
        .size:           4
        .value_kind:     by_value
      - .offset:         164
        .size:           4
        .value_kind:     by_value
      - .offset:         168
        .size:           8
        .value_kind:     by_value
      - .offset:         176
        .size:           4
        .value_kind:     by_value
      - .offset:         180
        .size:           4
        .value_kind:     by_value
      - .offset:         184
        .size:           4
        .value_kind:     by_value
      - .offset:         188
        .size:           4
        .value_kind:     by_value
      - .offset:         192
        .size:           4
        .value_kind:     by_value
      - .offset:         200
        .size:           8
        .value_kind:     by_value
      - .offset:         208
        .size:           4
        .value_kind:     hidden_block_count_x
      - .offset:         212
        .size:           4
        .value_kind:     hidden_block_count_y
      - .offset:         216
        .size:           4
        .value_kind:     hidden_block_count_z
      - .offset:         220
        .size:           2
        .value_kind:     hidden_group_size_x
      - .offset:         222
        .size:           2
        .value_kind:     hidden_group_size_y
      - .offset:         224
        .size:           2
        .value_kind:     hidden_group_size_z
      - .offset:         226
        .size:           2
        .value_kind:     hidden_remainder_x
      - .offset:         228
        .size:           2
        .value_kind:     hidden_remainder_y
      - .offset:         230
        .size:           2
        .value_kind:     hidden_remainder_z
      - .offset:         248
        .size:           8
        .value_kind:     hidden_global_offset_x
      - .offset:         256
        .size:           8
        .value_kind:     hidden_global_offset_y
      - .offset:         264
        .size:           8
        .value_kind:     hidden_global_offset_z
      - .offset:         272
        .size:           2
        .value_kind:     hidden_grid_dims
    .group_segment_fixed_size: 17408
    .kernarg_segment_align: 8
    .kernarg_segment_size: 464
    .language:       OpenCL C
    .language_version:
      - 2
      - 0
    .max_flat_workgroup_size: 128
    .name:           _ZL15flash_attn_tileILi64ELi64ELi4ELi8ELb0EEvPKcS1_S1_S1_S1_PKiPfP15HIP_vector_typeIfLj2EEffffjfiS5_IjLj3EEiiiiiiiiiiiliiliiiiil
    .private_segment_fixed_size: 0
    .sgpr_count:     46
    .sgpr_spill_count: 0
    .symbol:         _ZL15flash_attn_tileILi64ELi64ELi4ELi8ELb0EEvPKcS1_S1_S1_S1_PKiPfP15HIP_vector_typeIfLj2EEffffjfiS5_IjLj3EEiiiiiiiiiiiliiliiiiil.kd
    .uniform_work_group_size: 1
    .uses_dynamic_stack: false
    .vgpr_count:     127
    .vgpr_spill_count: 0
    .wavefront_size: 32
    .workgroup_processor_mode: 1
  - .args:
      - .actual_access:  read_only
        .address_space:  global
        .offset:         0
        .size:           8
        .value_kind:     global_buffer
      - .actual_access:  write_only
        .address_space:  global
        .offset:         8
        .size:           8
        .value_kind:     global_buffer
      - .offset:         16
        .size:           4
        .value_kind:     by_value
      - .offset:         20
        .size:           4
        .value_kind:     by_value
      - .offset:         24
        .size:           4
        .value_kind:     by_value
      - .offset:         32
        .size:           4
        .value_kind:     hidden_block_count_x
      - .offset:         36
        .size:           4
        .value_kind:     hidden_block_count_y
      - .offset:         40
        .size:           4
        .value_kind:     hidden_block_count_z
      - .offset:         44
        .size:           2
        .value_kind:     hidden_group_size_x
      - .offset:         46
        .size:           2
        .value_kind:     hidden_group_size_y
      - .offset:         48
        .size:           2
        .value_kind:     hidden_group_size_z
      - .offset:         50
        .size:           2
        .value_kind:     hidden_remainder_x
      - .offset:         52
        .size:           2
        .value_kind:     hidden_remainder_y
      - .offset:         54
        .size:           2
        .value_kind:     hidden_remainder_z
      - .offset:         72
        .size:           8
        .value_kind:     hidden_global_offset_x
      - .offset:         80
        .size:           8
        .value_kind:     hidden_global_offset_y
      - .offset:         88
        .size:           8
        .value_kind:     hidden_global_offset_z
      - .offset:         96
        .size:           2
        .value_kind:     hidden_grid_dims
    .group_segment_fixed_size: 128
    .kernarg_segment_align: 8
    .kernarg_segment_size: 288
    .language:       OpenCL C
    .language_version:
      - 2
      - 0
    .max_flat_workgroup_size: 128
    .name:           _ZL25flash_attn_mask_to_KV_maxILi4EEvPK7__half2Piiii
    .private_segment_fixed_size: 0
    .sgpr_count:     19
    .sgpr_spill_count: 0
    .symbol:         _ZL25flash_attn_mask_to_KV_maxILi4EEvPK7__half2Piiii.kd
    .uniform_work_group_size: 1
    .uses_dynamic_stack: false
    .vgpr_count:     9
    .vgpr_spill_count: 0
    .wavefront_size: 32
    .workgroup_processor_mode: 1
  - .args:
      - .address_space:  global
        .offset:         0
        .size:           8
        .value_kind:     global_buffer
      - .address_space:  global
        .offset:         8
        .size:           8
        .value_kind:     global_buffer
      - .offset:         16
        .size:           4
        .value_kind:     by_value
      - .offset:         20
        .size:           4
        .value_kind:     by_value
      - .offset:         24
        .size:           4
        .value_kind:     by_value
      - .offset:         28
        .size:           4
        .value_kind:     by_value
      - .offset:         32
        .size:           4
        .value_kind:     by_value
      - .offset:         36
        .size:           4
        .value_kind:     by_value
      - .offset:         40
        .size:           12
        .value_kind:     by_value
      - .offset:         52
        .size:           12
        .value_kind:     by_value
      - .offset:         64
        .size:           12
        .value_kind:     by_value
    .group_segment_fixed_size: 0
    .kernarg_segment_align: 8
    .kernarg_segment_size: 76
    .language:       OpenCL C
    .language_version:
      - 2
      - 0
    .max_flat_workgroup_size: 64
    .name:           _ZL33flash_attn_stream_k_fixup_uniformILi64ELi4ELi8EEvPfPK15HIP_vector_typeIfLj2EEiiiiiiS1_IjLj3EES5_S5_
    .private_segment_fixed_size: 0
    .sgpr_count:     18
    .sgpr_spill_count: 0
    .symbol:         _ZL33flash_attn_stream_k_fixup_uniformILi64ELi4ELi8EEvPfPK15HIP_vector_typeIfLj2EEiiiiiiS1_IjLj3EES5_S5_.kd
    .uniform_work_group_size: 1
    .uses_dynamic_stack: false
    .vgpr_count:     11
    .vgpr_spill_count: 0
    .wavefront_size: 32
    .workgroup_processor_mode: 1
  - .args:
      - .address_space:  global
        .offset:         0
        .size:           8
        .value_kind:     global_buffer
      - .address_space:  global
        .offset:         8
        .size:           8
        .value_kind:     global_buffer
      - .offset:         16
        .size:           4
        .value_kind:     by_value
      - .offset:         20
        .size:           4
        .value_kind:     by_value
      - .offset:         24
        .size:           4
        .value_kind:     by_value
      - .offset:         28
        .size:           4
        .value_kind:     by_value
      - .offset:         32
        .size:           12
        .value_kind:     by_value
      - .offset:         44
        .size:           12
        .value_kind:     by_value
      - .offset:         56
        .size:           12
        .value_kind:     by_value
      - .offset:         68
        .size:           12
        .value_kind:     by_value
      - .offset:         80
        .size:           4
        .value_kind:     hidden_block_count_x
      - .offset:         84
        .size:           4
        .value_kind:     hidden_block_count_y
      - .offset:         88
        .size:           4
        .value_kind:     hidden_block_count_z
      - .offset:         92
        .size:           2
        .value_kind:     hidden_group_size_x
      - .offset:         94
        .size:           2
        .value_kind:     hidden_group_size_y
      - .offset:         96
        .size:           2
        .value_kind:     hidden_group_size_z
      - .offset:         98
        .size:           2
        .value_kind:     hidden_remainder_x
      - .offset:         100
        .size:           2
        .value_kind:     hidden_remainder_y
      - .offset:         102
        .size:           2
        .value_kind:     hidden_remainder_z
      - .offset:         120
        .size:           8
        .value_kind:     hidden_global_offset_x
      - .offset:         128
        .size:           8
        .value_kind:     hidden_global_offset_y
      - .offset:         136
        .size:           8
        .value_kind:     hidden_global_offset_z
      - .offset:         144
        .size:           2
        .value_kind:     hidden_grid_dims
    .group_segment_fixed_size: 0
    .kernarg_segment_align: 8
    .kernarg_segment_size: 336
    .language:       OpenCL C
    .language_version:
      - 2
      - 0
    .max_flat_workgroup_size: 64
    .name:           _ZL33flash_attn_stream_k_fixup_generalILi64ELi4ELi8EEvPfPK15HIP_vector_typeIfLj2EEiiiiS1_IjLj3EES5_S5_S5_
    .private_segment_fixed_size: 0
    .sgpr_count:     46
    .sgpr_spill_count: 0
    .symbol:         _ZL33flash_attn_stream_k_fixup_generalILi64ELi4ELi8EEvPfPK15HIP_vector_typeIfLj2EEiiiiS1_IjLj3EES5_S5_S5_.kd
    .uniform_work_group_size: 1
    .uses_dynamic_stack: false
    .vgpr_count:     9
    .vgpr_spill_count: 0
    .wavefront_size: 32
    .workgroup_processor_mode: 1
  - .args:
      - .address_space:  global
        .offset:         0
        .size:           8
        .value_kind:     global_buffer
      - .address_space:  global
        .offset:         8
        .size:           8
        .value_kind:     global_buffer
      - .address_space:  global
        .offset:         16
        .size:           8
        .value_kind:     global_buffer
      - .address_space:  global
        .offset:         24
        .size:           8
        .value_kind:     global_buffer
      - .address_space:  global
        .offset:         32
        .size:           8
        .value_kind:     global_buffer
      - .address_space:  global
        .offset:         40
        .size:           8
        .value_kind:     global_buffer
      - .address_space:  global
        .offset:         48
        .size:           8
        .value_kind:     global_buffer
      - .address_space:  global
        .offset:         56
        .size:           8
        .value_kind:     global_buffer
      - .offset:         64
        .size:           4
        .value_kind:     by_value
      - .offset:         68
        .size:           4
        .value_kind:     by_value
      - .offset:         72
        .size:           4
        .value_kind:     by_value
      - .offset:         76
        .size:           4
        .value_kind:     by_value
      - .offset:         80
        .size:           4
        .value_kind:     by_value
      - .offset:         84
        .size:           4
        .value_kind:     by_value
      - .offset:         88
        .size:           4
        .value_kind:     by_value
      - .offset:         92
        .size:           12
        .value_kind:     by_value
      - .offset:         104
        .size:           4
        .value_kind:     by_value
      - .offset:         108
        .size:           4
        .value_kind:     by_value
      - .offset:         112
        .size:           4
        .value_kind:     by_value
      - .offset:         116
        .size:           4
        .value_kind:     by_value
      - .offset:         120
        .size:           4
        .value_kind:     by_value
      - .offset:         124
        .size:           4
        .value_kind:     by_value
      - .offset:         128
        .size:           4
        .value_kind:     by_value
      - .offset:         132
        .size:           4
        .value_kind:     by_value
      - .offset:         136
        .size:           4
        .value_kind:     by_value
      - .offset:         140
        .size:           4
        .value_kind:     by_value
      - .offset:         144
        .size:           4
        .value_kind:     by_value
      - .offset:         152
        .size:           8
        .value_kind:     by_value
      - .offset:         160
        .size:           4
        .value_kind:     by_value
      - .offset:         164
        .size:           4
        .value_kind:     by_value
      - .offset:         168
        .size:           8
        .value_kind:     by_value
      - .offset:         176
        .size:           4
        .value_kind:     by_value
      - .offset:         180
        .size:           4
        .value_kind:     by_value
      - .offset:         184
        .size:           4
        .value_kind:     by_value
      - .offset:         188
        .size:           4
        .value_kind:     by_value
      - .offset:         192
        .size:           4
        .value_kind:     by_value
      - .offset:         200
        .size:           8
        .value_kind:     by_value
      - .offset:         208
        .size:           4
        .value_kind:     hidden_block_count_x
      - .offset:         212
        .size:           4
        .value_kind:     hidden_block_count_y
      - .offset:         216
        .size:           4
        .value_kind:     hidden_block_count_z
      - .offset:         220
        .size:           2
        .value_kind:     hidden_group_size_x
      - .offset:         222
        .size:           2
        .value_kind:     hidden_group_size_y
      - .offset:         224
        .size:           2
        .value_kind:     hidden_group_size_z
      - .offset:         226
        .size:           2
        .value_kind:     hidden_remainder_x
      - .offset:         228
        .size:           2
        .value_kind:     hidden_remainder_y
      - .offset:         230
        .size:           2
        .value_kind:     hidden_remainder_z
      - .offset:         248
        .size:           8
        .value_kind:     hidden_global_offset_x
      - .offset:         256
        .size:           8
        .value_kind:     hidden_global_offset_y
      - .offset:         264
        .size:           8
        .value_kind:     hidden_global_offset_z
      - .offset:         272
        .size:           2
        .value_kind:     hidden_grid_dims
    .group_segment_fixed_size: 24576
    .kernarg_segment_align: 8
    .kernarg_segment_size: 464
    .language:       OpenCL C
    .language_version:
      - 2
      - 0
    .max_flat_workgroup_size: 128
    .name:           _ZL15flash_attn_tileILi64ELi64ELi2ELi8ELb0EEvPKcS1_S1_S1_S1_PKiPfP15HIP_vector_typeIfLj2EEffffjfiS5_IjLj3EEiiiiiiiiiiiliiliiiiil
    .private_segment_fixed_size: 0
    .sgpr_count:     48
    .sgpr_spill_count: 0
    .symbol:         _ZL15flash_attn_tileILi64ELi64ELi2ELi8ELb0EEvPKcS1_S1_S1_S1_PKiPfP15HIP_vector_typeIfLj2EEffffjfiS5_IjLj3EEiiiiiiiiiiiliiliiiiil.kd
    .uniform_work_group_size: 1
    .uses_dynamic_stack: false
    .vgpr_count:     140
    .vgpr_spill_count: 0
    .wavefront_size: 32
    .workgroup_processor_mode: 1
  - .args:
      - .actual_access:  read_only
        .address_space:  global
        .offset:         0
        .size:           8
        .value_kind:     global_buffer
      - .actual_access:  write_only
        .address_space:  global
        .offset:         8
        .size:           8
        .value_kind:     global_buffer
      - .offset:         16
        .size:           4
        .value_kind:     by_value
      - .offset:         20
        .size:           4
        .value_kind:     by_value
      - .offset:         24
        .size:           4
        .value_kind:     by_value
      - .offset:         32
        .size:           4
        .value_kind:     hidden_block_count_x
      - .offset:         36
        .size:           4
        .value_kind:     hidden_block_count_y
      - .offset:         40
        .size:           4
        .value_kind:     hidden_block_count_z
      - .offset:         44
        .size:           2
        .value_kind:     hidden_group_size_x
      - .offset:         46
        .size:           2
        .value_kind:     hidden_group_size_y
      - .offset:         48
        .size:           2
        .value_kind:     hidden_group_size_z
      - .offset:         50
        .size:           2
        .value_kind:     hidden_remainder_x
      - .offset:         52
        .size:           2
        .value_kind:     hidden_remainder_y
      - .offset:         54
        .size:           2
        .value_kind:     hidden_remainder_z
      - .offset:         72
        .size:           8
        .value_kind:     hidden_global_offset_x
      - .offset:         80
        .size:           8
        .value_kind:     hidden_global_offset_y
      - .offset:         88
        .size:           8
        .value_kind:     hidden_global_offset_z
      - .offset:         96
        .size:           2
        .value_kind:     hidden_grid_dims
    .group_segment_fixed_size: 128
    .kernarg_segment_align: 8
    .kernarg_segment_size: 288
    .language:       OpenCL C
    .language_version:
      - 2
      - 0
    .max_flat_workgroup_size: 128
    .name:           _ZL25flash_attn_mask_to_KV_maxILi2EEvPK7__half2Piiii
    .private_segment_fixed_size: 0
    .sgpr_count:     15
    .sgpr_spill_count: 0
    .symbol:         _ZL25flash_attn_mask_to_KV_maxILi2EEvPK7__half2Piiii.kd
    .uniform_work_group_size: 1
    .uses_dynamic_stack: false
    .vgpr_count:     7
    .vgpr_spill_count: 0
    .wavefront_size: 32
    .workgroup_processor_mode: 1
  - .args:
      - .address_space:  global
        .offset:         0
        .size:           8
        .value_kind:     global_buffer
      - .address_space:  global
        .offset:         8
        .size:           8
        .value_kind:     global_buffer
      - .offset:         16
        .size:           4
        .value_kind:     by_value
      - .offset:         20
        .size:           4
        .value_kind:     by_value
      - .offset:         24
        .size:           4
        .value_kind:     by_value
      - .offset:         28
        .size:           4
        .value_kind:     by_value
      - .offset:         32
        .size:           4
        .value_kind:     by_value
      - .offset:         36
        .size:           4
        .value_kind:     by_value
      - .offset:         40
        .size:           12
        .value_kind:     by_value
      - .offset:         52
        .size:           12
        .value_kind:     by_value
      - .offset:         64
        .size:           12
        .value_kind:     by_value
    .group_segment_fixed_size: 0
    .kernarg_segment_align: 8
    .kernarg_segment_size: 76
    .language:       OpenCL C
    .language_version:
      - 2
      - 0
    .max_flat_workgroup_size: 64
    .name:           _ZL33flash_attn_stream_k_fixup_uniformILi64ELi2ELi8EEvPfPK15HIP_vector_typeIfLj2EEiiiiiiS1_IjLj3EES5_S5_
    .private_segment_fixed_size: 0
    .sgpr_count:     18
    .sgpr_spill_count: 0
    .symbol:         _ZL33flash_attn_stream_k_fixup_uniformILi64ELi2ELi8EEvPfPK15HIP_vector_typeIfLj2EEiiiiiiS1_IjLj3EES5_S5_.kd
    .uniform_work_group_size: 1
    .uses_dynamic_stack: false
    .vgpr_count:     11
    .vgpr_spill_count: 0
    .wavefront_size: 32
    .workgroup_processor_mode: 1
  - .args:
      - .address_space:  global
        .offset:         0
        .size:           8
        .value_kind:     global_buffer
      - .address_space:  global
        .offset:         8
        .size:           8
        .value_kind:     global_buffer
      - .offset:         16
        .size:           4
        .value_kind:     by_value
      - .offset:         20
        .size:           4
        .value_kind:     by_value
      - .offset:         24
        .size:           4
        .value_kind:     by_value
      - .offset:         28
        .size:           4
        .value_kind:     by_value
      - .offset:         32
        .size:           12
        .value_kind:     by_value
      - .offset:         44
        .size:           12
        .value_kind:     by_value
      - .offset:         56
        .size:           12
        .value_kind:     by_value
      - .offset:         68
        .size:           12
        .value_kind:     by_value
      - .offset:         80
        .size:           4
        .value_kind:     hidden_block_count_x
      - .offset:         84
        .size:           4
        .value_kind:     hidden_block_count_y
      - .offset:         88
        .size:           4
        .value_kind:     hidden_block_count_z
      - .offset:         92
        .size:           2
        .value_kind:     hidden_group_size_x
      - .offset:         94
        .size:           2
        .value_kind:     hidden_group_size_y
      - .offset:         96
        .size:           2
        .value_kind:     hidden_group_size_z
      - .offset:         98
        .size:           2
        .value_kind:     hidden_remainder_x
      - .offset:         100
        .size:           2
        .value_kind:     hidden_remainder_y
      - .offset:         102
        .size:           2
        .value_kind:     hidden_remainder_z
      - .offset:         120
        .size:           8
        .value_kind:     hidden_global_offset_x
      - .offset:         128
        .size:           8
        .value_kind:     hidden_global_offset_y
      - .offset:         136
        .size:           8
        .value_kind:     hidden_global_offset_z
      - .offset:         144
        .size:           2
        .value_kind:     hidden_grid_dims
    .group_segment_fixed_size: 0
    .kernarg_segment_align: 8
    .kernarg_segment_size: 336
    .language:       OpenCL C
    .language_version:
      - 2
      - 0
    .max_flat_workgroup_size: 64
    .name:           _ZL33flash_attn_stream_k_fixup_generalILi64ELi2ELi8EEvPfPK15HIP_vector_typeIfLj2EEiiiiS1_IjLj3EES5_S5_S5_
    .private_segment_fixed_size: 0
    .sgpr_count:     46
    .sgpr_spill_count: 0
    .symbol:         _ZL33flash_attn_stream_k_fixup_generalILi64ELi2ELi8EEvPfPK15HIP_vector_typeIfLj2EEiiiiS1_IjLj3EES5_S5_S5_.kd
    .uniform_work_group_size: 1
    .uses_dynamic_stack: false
    .vgpr_count:     9
    .vgpr_spill_count: 0
    .wavefront_size: 32
    .workgroup_processor_mode: 1
  - .args:
      - .address_space:  global
        .offset:         0
        .size:           8
        .value_kind:     global_buffer
      - .address_space:  global
        .offset:         8
        .size:           8
        .value_kind:     global_buffer
      - .address_space:  global
        .offset:         16
        .size:           8
        .value_kind:     global_buffer
      - .address_space:  global
        .offset:         24
        .size:           8
        .value_kind:     global_buffer
      - .address_space:  global
        .offset:         32
        .size:           8
        .value_kind:     global_buffer
      - .address_space:  global
        .offset:         40
        .size:           8
        .value_kind:     global_buffer
      - .address_space:  global
        .offset:         48
        .size:           8
        .value_kind:     global_buffer
      - .address_space:  global
        .offset:         56
        .size:           8
        .value_kind:     global_buffer
      - .offset:         64
        .size:           4
        .value_kind:     by_value
      - .offset:         68
        .size:           4
        .value_kind:     by_value
      - .offset:         72
        .size:           4
        .value_kind:     by_value
      - .offset:         76
        .size:           4
        .value_kind:     by_value
      - .offset:         80
        .size:           4
        .value_kind:     by_value
      - .offset:         84
        .size:           4
        .value_kind:     by_value
      - .offset:         88
        .size:           4
        .value_kind:     by_value
      - .offset:         92
        .size:           12
        .value_kind:     by_value
      - .offset:         104
        .size:           4
        .value_kind:     by_value
      - .offset:         108
        .size:           4
        .value_kind:     by_value
      - .offset:         112
        .size:           4
        .value_kind:     by_value
      - .offset:         116
        .size:           4
        .value_kind:     by_value
      - .offset:         120
        .size:           4
        .value_kind:     by_value
      - .offset:         124
        .size:           4
        .value_kind:     by_value
      - .offset:         128
        .size:           4
        .value_kind:     by_value
      - .offset:         132
        .size:           4
        .value_kind:     by_value
      - .offset:         136
        .size:           4
        .value_kind:     by_value
      - .offset:         140
        .size:           4
        .value_kind:     by_value
      - .offset:         144
        .size:           4
        .value_kind:     by_value
      - .offset:         152
        .size:           8
        .value_kind:     by_value
      - .offset:         160
        .size:           4
        .value_kind:     by_value
      - .offset:         164
        .size:           4
        .value_kind:     by_value
      - .offset:         168
        .size:           8
        .value_kind:     by_value
      - .offset:         176
        .size:           4
        .value_kind:     by_value
      - .offset:         180
        .size:           4
        .value_kind:     by_value
      - .offset:         184
        .size:           4
        .value_kind:     by_value
      - .offset:         188
        .size:           4
        .value_kind:     by_value
      - .offset:         192
        .size:           4
        .value_kind:     by_value
      - .offset:         200
        .size:           8
        .value_kind:     by_value
      - .offset:         208
        .size:           4
        .value_kind:     hidden_block_count_x
      - .offset:         212
        .size:           4
        .value_kind:     hidden_block_count_y
      - .offset:         216
        .size:           4
        .value_kind:     hidden_block_count_z
      - .offset:         220
        .size:           2
        .value_kind:     hidden_group_size_x
      - .offset:         222
        .size:           2
        .value_kind:     hidden_group_size_y
      - .offset:         224
        .size:           2
        .value_kind:     hidden_group_size_z
      - .offset:         226
        .size:           2
        .value_kind:     hidden_remainder_x
      - .offset:         228
        .size:           2
        .value_kind:     hidden_remainder_y
      - .offset:         230
        .size:           2
        .value_kind:     hidden_remainder_z
      - .offset:         248
        .size:           8
        .value_kind:     hidden_global_offset_x
      - .offset:         256
        .size:           8
        .value_kind:     hidden_global_offset_y
      - .offset:         264
        .size:           8
        .value_kind:     hidden_global_offset_z
      - .offset:         272
        .size:           2
        .value_kind:     hidden_grid_dims
    .group_segment_fixed_size: 21504
    .kernarg_segment_align: 8
    .kernarg_segment_size: 464
    .language:       OpenCL C
    .language_version:
      - 2
      - 0
    .max_flat_workgroup_size: 128
    .name:           _ZL15flash_attn_tileILi64ELi64ELi1ELi8ELb0EEvPKcS1_S1_S1_S1_PKiPfP15HIP_vector_typeIfLj2EEffffjfiS5_IjLj3EEiiiiiiiiiiiliiliiiiil
    .private_segment_fixed_size: 0
    .sgpr_count:     44
    .sgpr_spill_count: 0
    .symbol:         _ZL15flash_attn_tileILi64ELi64ELi1ELi8ELb0EEvPKcS1_S1_S1_S1_PKiPfP15HIP_vector_typeIfLj2EEffffjfiS5_IjLj3EEiiiiiiiiiiiliiliiiiil.kd
    .uniform_work_group_size: 1
    .uses_dynamic_stack: false
    .vgpr_count:     118
    .vgpr_spill_count: 0
    .wavefront_size: 32
    .workgroup_processor_mode: 1
  - .args:
      - .actual_access:  read_only
        .address_space:  global
        .offset:         0
        .size:           8
        .value_kind:     global_buffer
      - .actual_access:  write_only
        .address_space:  global
        .offset:         8
        .size:           8
        .value_kind:     global_buffer
      - .offset:         16
        .size:           4
        .value_kind:     by_value
      - .offset:         20
        .size:           4
        .value_kind:     by_value
      - .offset:         24
        .size:           4
        .value_kind:     by_value
      - .offset:         32
        .size:           4
        .value_kind:     hidden_block_count_x
      - .offset:         36
        .size:           4
        .value_kind:     hidden_block_count_y
      - .offset:         40
        .size:           4
        .value_kind:     hidden_block_count_z
      - .offset:         44
        .size:           2
        .value_kind:     hidden_group_size_x
      - .offset:         46
        .size:           2
        .value_kind:     hidden_group_size_y
      - .offset:         48
        .size:           2
        .value_kind:     hidden_group_size_z
      - .offset:         50
        .size:           2
        .value_kind:     hidden_remainder_x
      - .offset:         52
        .size:           2
        .value_kind:     hidden_remainder_y
      - .offset:         54
        .size:           2
        .value_kind:     hidden_remainder_z
      - .offset:         72
        .size:           8
        .value_kind:     hidden_global_offset_x
      - .offset:         80
        .size:           8
        .value_kind:     hidden_global_offset_y
      - .offset:         88
        .size:           8
        .value_kind:     hidden_global_offset_z
      - .offset:         96
        .size:           2
        .value_kind:     hidden_grid_dims
    .group_segment_fixed_size: 128
    .kernarg_segment_align: 8
    .kernarg_segment_size: 288
    .language:       OpenCL C
    .language_version:
      - 2
      - 0
    .max_flat_workgroup_size: 128
    .name:           _ZL25flash_attn_mask_to_KV_maxILi1EEvPK7__half2Piiii
    .private_segment_fixed_size: 0
    .sgpr_count:     13
    .sgpr_spill_count: 0
    .symbol:         _ZL25flash_attn_mask_to_KV_maxILi1EEvPK7__half2Piiii.kd
    .uniform_work_group_size: 1
    .uses_dynamic_stack: false
    .vgpr_count:     7
    .vgpr_spill_count: 0
    .wavefront_size: 32
    .workgroup_processor_mode: 1
  - .args:
      - .address_space:  global
        .offset:         0
        .size:           8
        .value_kind:     global_buffer
      - .address_space:  global
        .offset:         8
        .size:           8
        .value_kind:     global_buffer
      - .offset:         16
        .size:           4
        .value_kind:     by_value
      - .offset:         20
        .size:           4
        .value_kind:     by_value
      - .offset:         24
        .size:           4
        .value_kind:     by_value
      - .offset:         28
        .size:           4
        .value_kind:     by_value
      - .offset:         32
        .size:           4
        .value_kind:     by_value
      - .offset:         36
        .size:           4
        .value_kind:     by_value
      - .offset:         40
        .size:           12
        .value_kind:     by_value
      - .offset:         52
        .size:           12
        .value_kind:     by_value
      - .offset:         64
        .size:           12
        .value_kind:     by_value
    .group_segment_fixed_size: 0
    .kernarg_segment_align: 8
    .kernarg_segment_size: 76
    .language:       OpenCL C
    .language_version:
      - 2
      - 0
    .max_flat_workgroup_size: 64
    .name:           _ZL33flash_attn_stream_k_fixup_uniformILi64ELi1ELi8EEvPfPK15HIP_vector_typeIfLj2EEiiiiiiS1_IjLj3EES5_S5_
    .private_segment_fixed_size: 0
    .sgpr_count:     22
    .sgpr_spill_count: 0
    .symbol:         _ZL33flash_attn_stream_k_fixup_uniformILi64ELi1ELi8EEvPfPK15HIP_vector_typeIfLj2EEiiiiiiS1_IjLj3EES5_S5_.kd
    .uniform_work_group_size: 1
    .uses_dynamic_stack: false
    .vgpr_count:     11
    .vgpr_spill_count: 0
    .wavefront_size: 32
    .workgroup_processor_mode: 1
  - .args:
      - .address_space:  global
        .offset:         0
        .size:           8
        .value_kind:     global_buffer
      - .address_space:  global
        .offset:         8
        .size:           8
        .value_kind:     global_buffer
      - .offset:         16
        .size:           4
        .value_kind:     by_value
      - .offset:         20
        .size:           4
        .value_kind:     by_value
      - .offset:         24
        .size:           4
        .value_kind:     by_value
      - .offset:         28
        .size:           4
        .value_kind:     by_value
      - .offset:         32
        .size:           12
        .value_kind:     by_value
      - .offset:         44
        .size:           12
        .value_kind:     by_value
      - .offset:         56
        .size:           12
        .value_kind:     by_value
      - .offset:         68
        .size:           12
        .value_kind:     by_value
      - .offset:         80
        .size:           4
        .value_kind:     hidden_block_count_x
      - .offset:         84
        .size:           4
        .value_kind:     hidden_block_count_y
      - .offset:         88
        .size:           4
        .value_kind:     hidden_block_count_z
      - .offset:         92
        .size:           2
        .value_kind:     hidden_group_size_x
      - .offset:         94
        .size:           2
        .value_kind:     hidden_group_size_y
      - .offset:         96
        .size:           2
        .value_kind:     hidden_group_size_z
      - .offset:         98
        .size:           2
        .value_kind:     hidden_remainder_x
      - .offset:         100
        .size:           2
        .value_kind:     hidden_remainder_y
      - .offset:         102
        .size:           2
        .value_kind:     hidden_remainder_z
      - .offset:         120
        .size:           8
        .value_kind:     hidden_global_offset_x
      - .offset:         128
        .size:           8
        .value_kind:     hidden_global_offset_y
      - .offset:         136
        .size:           8
        .value_kind:     hidden_global_offset_z
      - .offset:         144
        .size:           2
        .value_kind:     hidden_grid_dims
    .group_segment_fixed_size: 0
    .kernarg_segment_align: 8
    .kernarg_segment_size: 336
    .language:       OpenCL C
    .language_version:
      - 2
      - 0
    .max_flat_workgroup_size: 64
    .name:           _ZL33flash_attn_stream_k_fixup_generalILi64ELi1ELi8EEvPfPK15HIP_vector_typeIfLj2EEiiiiS1_IjLj3EES5_S5_S5_
    .private_segment_fixed_size: 0
    .sgpr_count:     46
    .sgpr_spill_count: 0
    .symbol:         _ZL33flash_attn_stream_k_fixup_generalILi64ELi1ELi8EEvPfPK15HIP_vector_typeIfLj2EEiiiiS1_IjLj3EES5_S5_S5_.kd
    .uniform_work_group_size: 1
    .uses_dynamic_stack: false
    .vgpr_count:     9
    .vgpr_spill_count: 0
    .wavefront_size: 32
    .workgroup_processor_mode: 1
  - .args:
      - .address_space:  global
        .offset:         0
        .size:           8
        .value_kind:     global_buffer
      - .address_space:  global
        .offset:         8
        .size:           8
        .value_kind:     global_buffer
      - .address_space:  global
        .offset:         16
        .size:           8
        .value_kind:     global_buffer
      - .address_space:  global
        .offset:         24
        .size:           8
        .value_kind:     global_buffer
      - .address_space:  global
        .offset:         32
        .size:           8
        .value_kind:     global_buffer
      - .address_space:  global
        .offset:         40
        .size:           8
        .value_kind:     global_buffer
      - .address_space:  global
        .offset:         48
        .size:           8
        .value_kind:     global_buffer
      - .address_space:  global
        .offset:         56
        .size:           8
        .value_kind:     global_buffer
      - .offset:         64
        .size:           4
        .value_kind:     by_value
      - .offset:         68
        .size:           4
        .value_kind:     by_value
      - .offset:         72
        .size:           4
        .value_kind:     by_value
      - .offset:         76
        .size:           4
        .value_kind:     by_value
      - .offset:         80
        .size:           4
        .value_kind:     by_value
      - .offset:         84
        .size:           4
        .value_kind:     by_value
      - .offset:         88
        .size:           4
        .value_kind:     by_value
      - .offset:         92
        .size:           12
        .value_kind:     by_value
      - .offset:         104
        .size:           4
        .value_kind:     by_value
      - .offset:         108
        .size:           4
        .value_kind:     by_value
      - .offset:         112
        .size:           4
        .value_kind:     by_value
      - .offset:         116
        .size:           4
        .value_kind:     by_value
      - .offset:         120
        .size:           4
        .value_kind:     by_value
      - .offset:         124
        .size:           4
        .value_kind:     by_value
      - .offset:         128
        .size:           4
        .value_kind:     by_value
      - .offset:         132
        .size:           4
        .value_kind:     by_value
      - .offset:         136
        .size:           4
        .value_kind:     by_value
      - .offset:         140
        .size:           4
        .value_kind:     by_value
      - .offset:         144
        .size:           4
        .value_kind:     by_value
      - .offset:         152
        .size:           8
        .value_kind:     by_value
      - .offset:         160
        .size:           4
        .value_kind:     by_value
      - .offset:         164
        .size:           4
        .value_kind:     by_value
      - .offset:         168
        .size:           8
        .value_kind:     by_value
      - .offset:         176
        .size:           4
        .value_kind:     by_value
      - .offset:         180
        .size:           4
        .value_kind:     by_value
      - .offset:         184
        .size:           4
        .value_kind:     by_value
      - .offset:         188
        .size:           4
        .value_kind:     by_value
      - .offset:         192
        .size:           4
        .value_kind:     by_value
      - .offset:         200
        .size:           8
        .value_kind:     by_value
      - .offset:         208
        .size:           4
        .value_kind:     hidden_block_count_x
      - .offset:         212
        .size:           4
        .value_kind:     hidden_block_count_y
      - .offset:         216
        .size:           4
        .value_kind:     hidden_block_count_z
      - .offset:         220
        .size:           2
        .value_kind:     hidden_group_size_x
      - .offset:         222
        .size:           2
        .value_kind:     hidden_group_size_y
      - .offset:         224
        .size:           2
        .value_kind:     hidden_group_size_z
      - .offset:         226
        .size:           2
        .value_kind:     hidden_remainder_x
      - .offset:         228
        .size:           2
        .value_kind:     hidden_remainder_y
      - .offset:         230
        .size:           2
        .value_kind:     hidden_remainder_z
      - .offset:         248
        .size:           8
        .value_kind:     hidden_global_offset_x
      - .offset:         256
        .size:           8
        .value_kind:     hidden_global_offset_y
      - .offset:         264
        .size:           8
        .value_kind:     hidden_global_offset_z
      - .offset:         272
        .size:           2
        .value_kind:     hidden_grid_dims
    .group_segment_fixed_size: 25600
    .kernarg_segment_align: 8
    .kernarg_segment_size: 464
    .language:       OpenCL C
    .language_version:
      - 2
      - 0
    .max_flat_workgroup_size: 128
    .name:           _ZL15flash_attn_tileILi64ELi64ELi16ELi4ELb0EEvPKcS1_S1_S1_S1_PKiPfP15HIP_vector_typeIfLj2EEffffjfiS5_IjLj3EEiiiiiiiiiiiliiliiiiil
    .private_segment_fixed_size: 40
    .sgpr_count:     50
    .sgpr_spill_count: 0
    .symbol:         _ZL15flash_attn_tileILi64ELi64ELi16ELi4ELb0EEvPKcS1_S1_S1_S1_PKiPfP15HIP_vector_typeIfLj2EEffffjfiS5_IjLj3EEiiiiiiiiiiiliiliiiiil.kd
    .uniform_work_group_size: 1
    .uses_dynamic_stack: false
    .vgpr_count:     256
    .vgpr_spill_count: 9
    .wavefront_size: 32
    .workgroup_processor_mode: 1
  - .args:
      - .actual_access:  read_only
        .address_space:  global
        .offset:         0
        .size:           8
        .value_kind:     global_buffer
      - .actual_access:  write_only
        .address_space:  global
        .offset:         8
        .size:           8
        .value_kind:     global_buffer
      - .offset:         16
        .size:           4
        .value_kind:     by_value
      - .offset:         20
        .size:           4
        .value_kind:     by_value
      - .offset:         24
        .size:           4
        .value_kind:     by_value
      - .offset:         32
        .size:           4
        .value_kind:     hidden_block_count_x
      - .offset:         36
        .size:           4
        .value_kind:     hidden_block_count_y
      - .offset:         40
        .size:           4
        .value_kind:     hidden_block_count_z
      - .offset:         44
        .size:           2
        .value_kind:     hidden_group_size_x
      - .offset:         46
        .size:           2
        .value_kind:     hidden_group_size_y
      - .offset:         48
        .size:           2
        .value_kind:     hidden_group_size_z
      - .offset:         50
        .size:           2
        .value_kind:     hidden_remainder_x
      - .offset:         52
        .size:           2
        .value_kind:     hidden_remainder_y
      - .offset:         54
        .size:           2
        .value_kind:     hidden_remainder_z
      - .offset:         72
        .size:           8
        .value_kind:     hidden_global_offset_x
      - .offset:         80
        .size:           8
        .value_kind:     hidden_global_offset_y
      - .offset:         88
        .size:           8
        .value_kind:     hidden_global_offset_z
      - .offset:         96
        .size:           2
        .value_kind:     hidden_grid_dims
    .group_segment_fixed_size: 128
    .kernarg_segment_align: 8
    .kernarg_segment_size: 288
    .language:       OpenCL C
    .language_version:
      - 2
      - 0
    .max_flat_workgroup_size: 128
    .name:           _ZL25flash_attn_mask_to_KV_maxILi16EEvPK7__half2Piiii
    .private_segment_fixed_size: 0
    .sgpr_count:     44
    .sgpr_spill_count: 0
    .symbol:         _ZL25flash_attn_mask_to_KV_maxILi16EEvPK7__half2Piiii.kd
    .uniform_work_group_size: 1
    .uses_dynamic_stack: false
    .vgpr_count:     9
    .vgpr_spill_count: 0
    .wavefront_size: 32
    .workgroup_processor_mode: 1
  - .args:
      - .address_space:  global
        .offset:         0
        .size:           8
        .value_kind:     global_buffer
      - .address_space:  global
        .offset:         8
        .size:           8
        .value_kind:     global_buffer
      - .offset:         16
        .size:           4
        .value_kind:     by_value
      - .offset:         20
        .size:           4
        .value_kind:     by_value
      - .offset:         24
        .size:           4
        .value_kind:     by_value
      - .offset:         28
        .size:           4
        .value_kind:     by_value
      - .offset:         32
        .size:           4
        .value_kind:     by_value
      - .offset:         36
        .size:           4
        .value_kind:     by_value
      - .offset:         40
        .size:           12
        .value_kind:     by_value
      - .offset:         52
        .size:           12
        .value_kind:     by_value
      - .offset:         64
        .size:           12
        .value_kind:     by_value
    .group_segment_fixed_size: 0
    .kernarg_segment_align: 8
    .kernarg_segment_size: 76
    .language:       OpenCL C
    .language_version:
      - 2
      - 0
    .max_flat_workgroup_size: 64
    .name:           _ZL33flash_attn_stream_k_fixup_uniformILi64ELi16ELi4EEvPfPK15HIP_vector_typeIfLj2EEiiiiiiS1_IjLj3EES5_S5_
    .private_segment_fixed_size: 0
    .sgpr_count:     18
    .sgpr_spill_count: 0
    .symbol:         _ZL33flash_attn_stream_k_fixup_uniformILi64ELi16ELi4EEvPfPK15HIP_vector_typeIfLj2EEiiiiiiS1_IjLj3EES5_S5_.kd
    .uniform_work_group_size: 1
    .uses_dynamic_stack: false
    .vgpr_count:     11
    .vgpr_spill_count: 0
    .wavefront_size: 32
    .workgroup_processor_mode: 1
  - .args:
      - .address_space:  global
        .offset:         0
        .size:           8
        .value_kind:     global_buffer
      - .address_space:  global
        .offset:         8
        .size:           8
        .value_kind:     global_buffer
      - .offset:         16
        .size:           4
        .value_kind:     by_value
      - .offset:         20
        .size:           4
        .value_kind:     by_value
      - .offset:         24
        .size:           4
        .value_kind:     by_value
      - .offset:         28
        .size:           4
        .value_kind:     by_value
      - .offset:         32
        .size:           12
        .value_kind:     by_value
      - .offset:         44
        .size:           12
        .value_kind:     by_value
      - .offset:         56
        .size:           12
        .value_kind:     by_value
      - .offset:         68
        .size:           12
        .value_kind:     by_value
      - .offset:         80
        .size:           4
        .value_kind:     hidden_block_count_x
      - .offset:         84
        .size:           4
        .value_kind:     hidden_block_count_y
      - .offset:         88
        .size:           4
        .value_kind:     hidden_block_count_z
      - .offset:         92
        .size:           2
        .value_kind:     hidden_group_size_x
      - .offset:         94
        .size:           2
        .value_kind:     hidden_group_size_y
      - .offset:         96
        .size:           2
        .value_kind:     hidden_group_size_z
      - .offset:         98
        .size:           2
        .value_kind:     hidden_remainder_x
      - .offset:         100
        .size:           2
        .value_kind:     hidden_remainder_y
      - .offset:         102
        .size:           2
        .value_kind:     hidden_remainder_z
      - .offset:         120
        .size:           8
        .value_kind:     hidden_global_offset_x
      - .offset:         128
        .size:           8
        .value_kind:     hidden_global_offset_y
      - .offset:         136
        .size:           8
        .value_kind:     hidden_global_offset_z
      - .offset:         144
        .size:           2
        .value_kind:     hidden_grid_dims
    .group_segment_fixed_size: 0
    .kernarg_segment_align: 8
    .kernarg_segment_size: 336
    .language:       OpenCL C
    .language_version:
      - 2
      - 0
    .max_flat_workgroup_size: 64
    .name:           _ZL33flash_attn_stream_k_fixup_generalILi64ELi16ELi4EEvPfPK15HIP_vector_typeIfLj2EEiiiiS1_IjLj3EES5_S5_S5_
    .private_segment_fixed_size: 0
    .sgpr_count:     46
    .sgpr_spill_count: 0
    .symbol:         _ZL33flash_attn_stream_k_fixup_generalILi64ELi16ELi4EEvPfPK15HIP_vector_typeIfLj2EEiiiiS1_IjLj3EES5_S5_S5_.kd
    .uniform_work_group_size: 1
    .uses_dynamic_stack: false
    .vgpr_count:     9
    .vgpr_spill_count: 0
    .wavefront_size: 32
    .workgroup_processor_mode: 1
  - .args:
      - .address_space:  global
        .offset:         0
        .size:           8
        .value_kind:     global_buffer
      - .address_space:  global
        .offset:         8
        .size:           8
        .value_kind:     global_buffer
      - .address_space:  global
        .offset:         16
        .size:           8
        .value_kind:     global_buffer
      - .address_space:  global
        .offset:         24
        .size:           8
        .value_kind:     global_buffer
      - .address_space:  global
        .offset:         32
        .size:           8
        .value_kind:     global_buffer
      - .address_space:  global
        .offset:         40
        .size:           8
        .value_kind:     global_buffer
      - .address_space:  global
        .offset:         48
        .size:           8
        .value_kind:     global_buffer
      - .address_space:  global
        .offset:         56
        .size:           8
        .value_kind:     global_buffer
      - .offset:         64
        .size:           4
        .value_kind:     by_value
      - .offset:         68
        .size:           4
        .value_kind:     by_value
      - .offset:         72
        .size:           4
        .value_kind:     by_value
      - .offset:         76
        .size:           4
        .value_kind:     by_value
      - .offset:         80
        .size:           4
        .value_kind:     by_value
      - .offset:         84
        .size:           4
        .value_kind:     by_value
      - .offset:         88
        .size:           4
        .value_kind:     by_value
      - .offset:         92
        .size:           12
        .value_kind:     by_value
      - .offset:         104
        .size:           4
        .value_kind:     by_value
      - .offset:         108
        .size:           4
        .value_kind:     by_value
      - .offset:         112
        .size:           4
        .value_kind:     by_value
      - .offset:         116
        .size:           4
        .value_kind:     by_value
      - .offset:         120
        .size:           4
        .value_kind:     by_value
      - .offset:         124
        .size:           4
        .value_kind:     by_value
      - .offset:         128
        .size:           4
        .value_kind:     by_value
      - .offset:         132
        .size:           4
        .value_kind:     by_value
      - .offset:         136
        .size:           4
        .value_kind:     by_value
      - .offset:         140
        .size:           4
        .value_kind:     by_value
      - .offset:         144
        .size:           4
        .value_kind:     by_value
      - .offset:         152
        .size:           8
        .value_kind:     by_value
      - .offset:         160
        .size:           4
        .value_kind:     by_value
      - .offset:         164
        .size:           4
        .value_kind:     by_value
      - .offset:         168
        .size:           8
        .value_kind:     by_value
      - .offset:         176
        .size:           4
        .value_kind:     by_value
      - .offset:         180
        .size:           4
        .value_kind:     by_value
      - .offset:         184
        .size:           4
        .value_kind:     by_value
      - .offset:         188
        .size:           4
        .value_kind:     by_value
      - .offset:         192
        .size:           4
        .value_kind:     by_value
      - .offset:         200
        .size:           8
        .value_kind:     by_value
      - .offset:         208
        .size:           4
        .value_kind:     hidden_block_count_x
      - .offset:         212
        .size:           4
        .value_kind:     hidden_block_count_y
      - .offset:         216
        .size:           4
        .value_kind:     hidden_block_count_z
      - .offset:         220
        .size:           2
        .value_kind:     hidden_group_size_x
      - .offset:         222
        .size:           2
        .value_kind:     hidden_group_size_y
      - .offset:         224
        .size:           2
        .value_kind:     hidden_group_size_z
      - .offset:         226
        .size:           2
        .value_kind:     hidden_remainder_x
      - .offset:         228
        .size:           2
        .value_kind:     hidden_remainder_y
      - .offset:         230
        .size:           2
        .value_kind:     hidden_remainder_z
      - .offset:         248
        .size:           8
        .value_kind:     hidden_global_offset_x
      - .offset:         256
        .size:           8
        .value_kind:     hidden_global_offset_y
      - .offset:         264
        .size:           8
        .value_kind:     hidden_global_offset_z
      - .offset:         272
        .size:           2
        .value_kind:     hidden_grid_dims
    .group_segment_fixed_size: 17408
    .kernarg_segment_align: 8
    .kernarg_segment_size: 464
    .language:       OpenCL C
    .language_version:
      - 2
      - 0
    .max_flat_workgroup_size: 128
    .name:           _ZL15flash_attn_tileILi64ELi64ELi8ELi4ELb0EEvPKcS1_S1_S1_S1_PKiPfP15HIP_vector_typeIfLj2EEffffjfiS5_IjLj3EEiiiiiiiiiiiliiliiiiil
    .private_segment_fixed_size: 0
    .sgpr_count:     52
    .sgpr_spill_count: 0
    .symbol:         _ZL15flash_attn_tileILi64ELi64ELi8ELi4ELb0EEvPKcS1_S1_S1_S1_PKiPfP15HIP_vector_typeIfLj2EEffffjfiS5_IjLj3EEiiiiiiiiiiiliiliiiiil.kd
    .uniform_work_group_size: 1
    .uses_dynamic_stack: false
    .vgpr_count:     137
    .vgpr_spill_count: 0
    .wavefront_size: 32
    .workgroup_processor_mode: 1
  - .args:
      - .address_space:  global
        .offset:         0
        .size:           8
        .value_kind:     global_buffer
      - .address_space:  global
        .offset:         8
        .size:           8
        .value_kind:     global_buffer
      - .offset:         16
        .size:           4
        .value_kind:     by_value
      - .offset:         20
        .size:           4
        .value_kind:     by_value
      - .offset:         24
        .size:           4
        .value_kind:     by_value
      - .offset:         28
        .size:           4
        .value_kind:     by_value
      - .offset:         32
        .size:           4
        .value_kind:     by_value
      - .offset:         36
        .size:           4
        .value_kind:     by_value
      - .offset:         40
        .size:           12
        .value_kind:     by_value
      - .offset:         52
        .size:           12
        .value_kind:     by_value
      - .offset:         64
        .size:           12
        .value_kind:     by_value
    .group_segment_fixed_size: 0
    .kernarg_segment_align: 8
    .kernarg_segment_size: 76
    .language:       OpenCL C
    .language_version:
      - 2
      - 0
    .max_flat_workgroup_size: 64
    .name:           _ZL33flash_attn_stream_k_fixup_uniformILi64ELi8ELi4EEvPfPK15HIP_vector_typeIfLj2EEiiiiiiS1_IjLj3EES5_S5_
    .private_segment_fixed_size: 0
    .sgpr_count:     18
    .sgpr_spill_count: 0
    .symbol:         _ZL33flash_attn_stream_k_fixup_uniformILi64ELi8ELi4EEvPfPK15HIP_vector_typeIfLj2EEiiiiiiS1_IjLj3EES5_S5_.kd
    .uniform_work_group_size: 1
    .uses_dynamic_stack: false
    .vgpr_count:     11
    .vgpr_spill_count: 0
    .wavefront_size: 32
    .workgroup_processor_mode: 1
  - .args:
      - .address_space:  global
        .offset:         0
        .size:           8
        .value_kind:     global_buffer
      - .address_space:  global
        .offset:         8
        .size:           8
        .value_kind:     global_buffer
      - .offset:         16
        .size:           4
        .value_kind:     by_value
      - .offset:         20
        .size:           4
        .value_kind:     by_value
      - .offset:         24
        .size:           4
        .value_kind:     by_value
      - .offset:         28
        .size:           4
        .value_kind:     by_value
      - .offset:         32
        .size:           12
        .value_kind:     by_value
      - .offset:         44
        .size:           12
        .value_kind:     by_value
      - .offset:         56
        .size:           12
        .value_kind:     by_value
      - .offset:         68
        .size:           12
        .value_kind:     by_value
      - .offset:         80
        .size:           4
        .value_kind:     hidden_block_count_x
      - .offset:         84
        .size:           4
        .value_kind:     hidden_block_count_y
      - .offset:         88
        .size:           4
        .value_kind:     hidden_block_count_z
      - .offset:         92
        .size:           2
        .value_kind:     hidden_group_size_x
      - .offset:         94
        .size:           2
        .value_kind:     hidden_group_size_y
      - .offset:         96
        .size:           2
        .value_kind:     hidden_group_size_z
      - .offset:         98
        .size:           2
        .value_kind:     hidden_remainder_x
      - .offset:         100
        .size:           2
        .value_kind:     hidden_remainder_y
      - .offset:         102
        .size:           2
        .value_kind:     hidden_remainder_z
      - .offset:         120
        .size:           8
        .value_kind:     hidden_global_offset_x
      - .offset:         128
        .size:           8
        .value_kind:     hidden_global_offset_y
      - .offset:         136
        .size:           8
        .value_kind:     hidden_global_offset_z
      - .offset:         144
        .size:           2
        .value_kind:     hidden_grid_dims
    .group_segment_fixed_size: 0
    .kernarg_segment_align: 8
    .kernarg_segment_size: 336
    .language:       OpenCL C
    .language_version:
      - 2
      - 0
    .max_flat_workgroup_size: 64
    .name:           _ZL33flash_attn_stream_k_fixup_generalILi64ELi8ELi4EEvPfPK15HIP_vector_typeIfLj2EEiiiiS1_IjLj3EES5_S5_S5_
    .private_segment_fixed_size: 0
    .sgpr_count:     46
    .sgpr_spill_count: 0
    .symbol:         _ZL33flash_attn_stream_k_fixup_generalILi64ELi8ELi4EEvPfPK15HIP_vector_typeIfLj2EEiiiiS1_IjLj3EES5_S5_S5_.kd
    .uniform_work_group_size: 1
    .uses_dynamic_stack: false
    .vgpr_count:     9
    .vgpr_spill_count: 0
    .wavefront_size: 32
    .workgroup_processor_mode: 1
  - .args:
      - .address_space:  global
        .offset:         0
        .size:           8
        .value_kind:     global_buffer
      - .address_space:  global
        .offset:         8
        .size:           8
        .value_kind:     global_buffer
      - .address_space:  global
        .offset:         16
        .size:           8
        .value_kind:     global_buffer
      - .address_space:  global
        .offset:         24
        .size:           8
        .value_kind:     global_buffer
      - .address_space:  global
        .offset:         32
        .size:           8
        .value_kind:     global_buffer
      - .address_space:  global
        .offset:         40
        .size:           8
        .value_kind:     global_buffer
      - .address_space:  global
        .offset:         48
        .size:           8
        .value_kind:     global_buffer
      - .address_space:  global
        .offset:         56
        .size:           8
        .value_kind:     global_buffer
      - .offset:         64
        .size:           4
        .value_kind:     by_value
      - .offset:         68
        .size:           4
        .value_kind:     by_value
      - .offset:         72
        .size:           4
        .value_kind:     by_value
      - .offset:         76
        .size:           4
        .value_kind:     by_value
      - .offset:         80
        .size:           4
        .value_kind:     by_value
      - .offset:         84
        .size:           4
        .value_kind:     by_value
      - .offset:         88
        .size:           4
        .value_kind:     by_value
      - .offset:         92
        .size:           12
        .value_kind:     by_value
      - .offset:         104
        .size:           4
        .value_kind:     by_value
      - .offset:         108
        .size:           4
        .value_kind:     by_value
      - .offset:         112
        .size:           4
        .value_kind:     by_value
      - .offset:         116
        .size:           4
        .value_kind:     by_value
      - .offset:         120
        .size:           4
        .value_kind:     by_value
      - .offset:         124
        .size:           4
        .value_kind:     by_value
      - .offset:         128
        .size:           4
        .value_kind:     by_value
      - .offset:         132
        .size:           4
        .value_kind:     by_value
      - .offset:         136
        .size:           4
        .value_kind:     by_value
      - .offset:         140
        .size:           4
        .value_kind:     by_value
      - .offset:         144
        .size:           4
        .value_kind:     by_value
      - .offset:         152
        .size:           8
        .value_kind:     by_value
      - .offset:         160
        .size:           4
        .value_kind:     by_value
      - .offset:         164
        .size:           4
        .value_kind:     by_value
      - .offset:         168
        .size:           8
        .value_kind:     by_value
      - .offset:         176
        .size:           4
        .value_kind:     by_value
      - .offset:         180
        .size:           4
        .value_kind:     by_value
      - .offset:         184
        .size:           4
        .value_kind:     by_value
      - .offset:         188
        .size:           4
        .value_kind:     by_value
      - .offset:         192
        .size:           4
        .value_kind:     by_value
      - .offset:         200
        .size:           8
        .value_kind:     by_value
      - .offset:         208
        .size:           4
        .value_kind:     hidden_block_count_x
      - .offset:         212
        .size:           4
        .value_kind:     hidden_block_count_y
      - .offset:         216
        .size:           4
        .value_kind:     hidden_block_count_z
      - .offset:         220
        .size:           2
        .value_kind:     hidden_group_size_x
      - .offset:         222
        .size:           2
        .value_kind:     hidden_group_size_y
      - .offset:         224
        .size:           2
        .value_kind:     hidden_group_size_z
      - .offset:         226
        .size:           2
        .value_kind:     hidden_remainder_x
      - .offset:         228
        .size:           2
        .value_kind:     hidden_remainder_y
      - .offset:         230
        .size:           2
        .value_kind:     hidden_remainder_z
      - .offset:         248
        .size:           8
        .value_kind:     hidden_global_offset_x
      - .offset:         256
        .size:           8
        .value_kind:     hidden_global_offset_y
      - .offset:         264
        .size:           8
        .value_kind:     hidden_global_offset_z
      - .offset:         272
        .size:           2
        .value_kind:     hidden_grid_dims
    .group_segment_fixed_size: 24576
    .kernarg_segment_align: 8
    .kernarg_segment_size: 464
    .language:       OpenCL C
    .language_version:
      - 2
      - 0
    .max_flat_workgroup_size: 128
    .name:           _ZL15flash_attn_tileILi64ELi64ELi4ELi4ELb0EEvPKcS1_S1_S1_S1_PKiPfP15HIP_vector_typeIfLj2EEffffjfiS5_IjLj3EEiiiiiiiiiiiliiliiiiil
    .private_segment_fixed_size: 0
    .sgpr_count:     44
    .sgpr_spill_count: 0
    .symbol:         _ZL15flash_attn_tileILi64ELi64ELi4ELi4ELb0EEvPKcS1_S1_S1_S1_PKiPfP15HIP_vector_typeIfLj2EEffffjfiS5_IjLj3EEiiiiiiiiiiiliiliiiiil.kd
    .uniform_work_group_size: 1
    .uses_dynamic_stack: false
    .vgpr_count:     139
    .vgpr_spill_count: 0
    .wavefront_size: 32
    .workgroup_processor_mode: 1
  - .args:
      - .address_space:  global
        .offset:         0
        .size:           8
        .value_kind:     global_buffer
      - .address_space:  global
        .offset:         8
        .size:           8
        .value_kind:     global_buffer
      - .offset:         16
        .size:           4
        .value_kind:     by_value
      - .offset:         20
        .size:           4
        .value_kind:     by_value
      - .offset:         24
        .size:           4
        .value_kind:     by_value
      - .offset:         28
        .size:           4
        .value_kind:     by_value
      - .offset:         32
        .size:           4
        .value_kind:     by_value
      - .offset:         36
        .size:           4
        .value_kind:     by_value
      - .offset:         40
        .size:           12
        .value_kind:     by_value
      - .offset:         52
        .size:           12
        .value_kind:     by_value
      - .offset:         64
        .size:           12
        .value_kind:     by_value
    .group_segment_fixed_size: 0
    .kernarg_segment_align: 8
    .kernarg_segment_size: 76
    .language:       OpenCL C
    .language_version:
      - 2
      - 0
    .max_flat_workgroup_size: 64
    .name:           _ZL33flash_attn_stream_k_fixup_uniformILi64ELi4ELi4EEvPfPK15HIP_vector_typeIfLj2EEiiiiiiS1_IjLj3EES5_S5_
    .private_segment_fixed_size: 0
    .sgpr_count:     18
    .sgpr_spill_count: 0
    .symbol:         _ZL33flash_attn_stream_k_fixup_uniformILi64ELi4ELi4EEvPfPK15HIP_vector_typeIfLj2EEiiiiiiS1_IjLj3EES5_S5_.kd
    .uniform_work_group_size: 1
    .uses_dynamic_stack: false
    .vgpr_count:     11
    .vgpr_spill_count: 0
    .wavefront_size: 32
    .workgroup_processor_mode: 1
  - .args:
      - .address_space:  global
        .offset:         0
        .size:           8
        .value_kind:     global_buffer
      - .address_space:  global
        .offset:         8
        .size:           8
        .value_kind:     global_buffer
      - .offset:         16
        .size:           4
        .value_kind:     by_value
      - .offset:         20
        .size:           4
        .value_kind:     by_value
      - .offset:         24
        .size:           4
        .value_kind:     by_value
      - .offset:         28
        .size:           4
        .value_kind:     by_value
      - .offset:         32
        .size:           12
        .value_kind:     by_value
      - .offset:         44
        .size:           12
        .value_kind:     by_value
      - .offset:         56
        .size:           12
        .value_kind:     by_value
      - .offset:         68
        .size:           12
        .value_kind:     by_value
      - .offset:         80
        .size:           4
        .value_kind:     hidden_block_count_x
      - .offset:         84
        .size:           4
        .value_kind:     hidden_block_count_y
      - .offset:         88
        .size:           4
        .value_kind:     hidden_block_count_z
      - .offset:         92
        .size:           2
        .value_kind:     hidden_group_size_x
      - .offset:         94
        .size:           2
        .value_kind:     hidden_group_size_y
      - .offset:         96
        .size:           2
        .value_kind:     hidden_group_size_z
      - .offset:         98
        .size:           2
        .value_kind:     hidden_remainder_x
      - .offset:         100
        .size:           2
        .value_kind:     hidden_remainder_y
      - .offset:         102
        .size:           2
        .value_kind:     hidden_remainder_z
      - .offset:         120
        .size:           8
        .value_kind:     hidden_global_offset_x
      - .offset:         128
        .size:           8
        .value_kind:     hidden_global_offset_y
      - .offset:         136
        .size:           8
        .value_kind:     hidden_global_offset_z
      - .offset:         144
        .size:           2
        .value_kind:     hidden_grid_dims
    .group_segment_fixed_size: 0
    .kernarg_segment_align: 8
    .kernarg_segment_size: 336
    .language:       OpenCL C
    .language_version:
      - 2
      - 0
    .max_flat_workgroup_size: 64
    .name:           _ZL33flash_attn_stream_k_fixup_generalILi64ELi4ELi4EEvPfPK15HIP_vector_typeIfLj2EEiiiiS1_IjLj3EES5_S5_S5_
    .private_segment_fixed_size: 0
    .sgpr_count:     46
    .sgpr_spill_count: 0
    .symbol:         _ZL33flash_attn_stream_k_fixup_generalILi64ELi4ELi4EEvPfPK15HIP_vector_typeIfLj2EEiiiiS1_IjLj3EES5_S5_S5_.kd
    .uniform_work_group_size: 1
    .uses_dynamic_stack: false
    .vgpr_count:     9
    .vgpr_spill_count: 0
    .wavefront_size: 32
    .workgroup_processor_mode: 1
  - .args:
      - .address_space:  global
        .offset:         0
        .size:           8
        .value_kind:     global_buffer
      - .address_space:  global
        .offset:         8
        .size:           8
        .value_kind:     global_buffer
      - .address_space:  global
        .offset:         16
        .size:           8
        .value_kind:     global_buffer
      - .address_space:  global
        .offset:         24
        .size:           8
        .value_kind:     global_buffer
      - .address_space:  global
        .offset:         32
        .size:           8
        .value_kind:     global_buffer
      - .address_space:  global
        .offset:         40
        .size:           8
        .value_kind:     global_buffer
      - .address_space:  global
        .offset:         48
        .size:           8
        .value_kind:     global_buffer
      - .address_space:  global
        .offset:         56
        .size:           8
        .value_kind:     global_buffer
      - .offset:         64
        .size:           4
        .value_kind:     by_value
      - .offset:         68
        .size:           4
        .value_kind:     by_value
      - .offset:         72
        .size:           4
        .value_kind:     by_value
      - .offset:         76
        .size:           4
        .value_kind:     by_value
      - .offset:         80
        .size:           4
        .value_kind:     by_value
      - .offset:         84
        .size:           4
        .value_kind:     by_value
      - .offset:         88
        .size:           4
        .value_kind:     by_value
      - .offset:         92
        .size:           12
        .value_kind:     by_value
      - .offset:         104
        .size:           4
        .value_kind:     by_value
      - .offset:         108
        .size:           4
        .value_kind:     by_value
      - .offset:         112
        .size:           4
        .value_kind:     by_value
      - .offset:         116
        .size:           4
        .value_kind:     by_value
      - .offset:         120
        .size:           4
        .value_kind:     by_value
      - .offset:         124
        .size:           4
        .value_kind:     by_value
      - .offset:         128
        .size:           4
        .value_kind:     by_value
      - .offset:         132
        .size:           4
        .value_kind:     by_value
      - .offset:         136
        .size:           4
        .value_kind:     by_value
      - .offset:         140
        .size:           4
        .value_kind:     by_value
      - .offset:         144
        .size:           4
        .value_kind:     by_value
      - .offset:         152
        .size:           8
        .value_kind:     by_value
      - .offset:         160
        .size:           4
        .value_kind:     by_value
      - .offset:         164
        .size:           4
        .value_kind:     by_value
      - .offset:         168
        .size:           8
        .value_kind:     by_value
      - .offset:         176
        .size:           4
        .value_kind:     by_value
      - .offset:         180
        .size:           4
        .value_kind:     by_value
      - .offset:         184
        .size:           4
        .value_kind:     by_value
      - .offset:         188
        .size:           4
        .value_kind:     by_value
      - .offset:         192
        .size:           4
        .value_kind:     by_value
      - .offset:         200
        .size:           8
        .value_kind:     by_value
      - .offset:         208
        .size:           4
        .value_kind:     hidden_block_count_x
      - .offset:         212
        .size:           4
        .value_kind:     hidden_block_count_y
      - .offset:         216
        .size:           4
        .value_kind:     hidden_block_count_z
      - .offset:         220
        .size:           2
        .value_kind:     hidden_group_size_x
      - .offset:         222
        .size:           2
        .value_kind:     hidden_group_size_y
      - .offset:         224
        .size:           2
        .value_kind:     hidden_group_size_z
      - .offset:         226
        .size:           2
        .value_kind:     hidden_remainder_x
      - .offset:         228
        .size:           2
        .value_kind:     hidden_remainder_y
      - .offset:         230
        .size:           2
        .value_kind:     hidden_remainder_z
      - .offset:         248
        .size:           8
        .value_kind:     hidden_global_offset_x
      - .offset:         256
        .size:           8
        .value_kind:     hidden_global_offset_y
      - .offset:         264
        .size:           8
        .value_kind:     hidden_global_offset_z
      - .offset:         272
        .size:           2
        .value_kind:     hidden_grid_dims
    .group_segment_fixed_size: 21504
    .kernarg_segment_align: 8
    .kernarg_segment_size: 464
    .language:       OpenCL C
    .language_version:
      - 2
      - 0
    .max_flat_workgroup_size: 128
    .name:           _ZL15flash_attn_tileILi64ELi64ELi2ELi4ELb0EEvPKcS1_S1_S1_S1_PKiPfP15HIP_vector_typeIfLj2EEffffjfiS5_IjLj3EEiiiiiiiiiiiliiliiiiil
    .private_segment_fixed_size: 0
    .sgpr_count:     44
    .sgpr_spill_count: 0
    .symbol:         _ZL15flash_attn_tileILi64ELi64ELi2ELi4ELb0EEvPKcS1_S1_S1_S1_PKiPfP15HIP_vector_typeIfLj2EEffffjfiS5_IjLj3EEiiiiiiiiiiiliiliiiiil.kd
    .uniform_work_group_size: 1
    .uses_dynamic_stack: false
    .vgpr_count:     118
    .vgpr_spill_count: 0
    .wavefront_size: 32
    .workgroup_processor_mode: 1
  - .args:
      - .address_space:  global
        .offset:         0
        .size:           8
        .value_kind:     global_buffer
      - .address_space:  global
        .offset:         8
        .size:           8
        .value_kind:     global_buffer
      - .offset:         16
        .size:           4
        .value_kind:     by_value
      - .offset:         20
        .size:           4
        .value_kind:     by_value
      - .offset:         24
        .size:           4
        .value_kind:     by_value
      - .offset:         28
        .size:           4
        .value_kind:     by_value
      - .offset:         32
        .size:           4
        .value_kind:     by_value
      - .offset:         36
        .size:           4
        .value_kind:     by_value
      - .offset:         40
        .size:           12
        .value_kind:     by_value
      - .offset:         52
        .size:           12
        .value_kind:     by_value
      - .offset:         64
        .size:           12
        .value_kind:     by_value
    .group_segment_fixed_size: 0
    .kernarg_segment_align: 8
    .kernarg_segment_size: 76
    .language:       OpenCL C
    .language_version:
      - 2
      - 0
    .max_flat_workgroup_size: 64
    .name:           _ZL33flash_attn_stream_k_fixup_uniformILi64ELi2ELi4EEvPfPK15HIP_vector_typeIfLj2EEiiiiiiS1_IjLj3EES5_S5_
    .private_segment_fixed_size: 0
    .sgpr_count:     18
    .sgpr_spill_count: 0
    .symbol:         _ZL33flash_attn_stream_k_fixup_uniformILi64ELi2ELi4EEvPfPK15HIP_vector_typeIfLj2EEiiiiiiS1_IjLj3EES5_S5_.kd
    .uniform_work_group_size: 1
    .uses_dynamic_stack: false
    .vgpr_count:     11
    .vgpr_spill_count: 0
    .wavefront_size: 32
    .workgroup_processor_mode: 1
  - .args:
      - .address_space:  global
        .offset:         0
        .size:           8
        .value_kind:     global_buffer
      - .address_space:  global
        .offset:         8
        .size:           8
        .value_kind:     global_buffer
      - .offset:         16
        .size:           4
        .value_kind:     by_value
      - .offset:         20
        .size:           4
        .value_kind:     by_value
      - .offset:         24
        .size:           4
        .value_kind:     by_value
      - .offset:         28
        .size:           4
        .value_kind:     by_value
      - .offset:         32
        .size:           12
        .value_kind:     by_value
      - .offset:         44
        .size:           12
        .value_kind:     by_value
      - .offset:         56
        .size:           12
        .value_kind:     by_value
      - .offset:         68
        .size:           12
        .value_kind:     by_value
      - .offset:         80
        .size:           4
        .value_kind:     hidden_block_count_x
      - .offset:         84
        .size:           4
        .value_kind:     hidden_block_count_y
      - .offset:         88
        .size:           4
        .value_kind:     hidden_block_count_z
      - .offset:         92
        .size:           2
        .value_kind:     hidden_group_size_x
      - .offset:         94
        .size:           2
        .value_kind:     hidden_group_size_y
      - .offset:         96
        .size:           2
        .value_kind:     hidden_group_size_z
      - .offset:         98
        .size:           2
        .value_kind:     hidden_remainder_x
      - .offset:         100
        .size:           2
        .value_kind:     hidden_remainder_y
      - .offset:         102
        .size:           2
        .value_kind:     hidden_remainder_z
      - .offset:         120
        .size:           8
        .value_kind:     hidden_global_offset_x
      - .offset:         128
        .size:           8
        .value_kind:     hidden_global_offset_y
      - .offset:         136
        .size:           8
        .value_kind:     hidden_global_offset_z
      - .offset:         144
        .size:           2
        .value_kind:     hidden_grid_dims
    .group_segment_fixed_size: 0
    .kernarg_segment_align: 8
    .kernarg_segment_size: 336
    .language:       OpenCL C
    .language_version:
      - 2
      - 0
    .max_flat_workgroup_size: 64
    .name:           _ZL33flash_attn_stream_k_fixup_generalILi64ELi2ELi4EEvPfPK15HIP_vector_typeIfLj2EEiiiiS1_IjLj3EES5_S5_S5_
    .private_segment_fixed_size: 0
    .sgpr_count:     46
    .sgpr_spill_count: 0
    .symbol:         _ZL33flash_attn_stream_k_fixup_generalILi64ELi2ELi4EEvPfPK15HIP_vector_typeIfLj2EEiiiiS1_IjLj3EES5_S5_S5_.kd
    .uniform_work_group_size: 1
    .uses_dynamic_stack: false
    .vgpr_count:     9
    .vgpr_spill_count: 0
    .wavefront_size: 32
    .workgroup_processor_mode: 1
  - .args:
      - .address_space:  global
        .offset:         0
        .size:           8
        .value_kind:     global_buffer
      - .address_space:  global
        .offset:         8
        .size:           8
        .value_kind:     global_buffer
      - .address_space:  global
        .offset:         16
        .size:           8
        .value_kind:     global_buffer
      - .address_space:  global
        .offset:         24
        .size:           8
        .value_kind:     global_buffer
      - .address_space:  global
        .offset:         32
        .size:           8
        .value_kind:     global_buffer
      - .address_space:  global
        .offset:         40
        .size:           8
        .value_kind:     global_buffer
      - .address_space:  global
        .offset:         48
        .size:           8
        .value_kind:     global_buffer
      - .address_space:  global
        .offset:         56
        .size:           8
        .value_kind:     global_buffer
      - .offset:         64
        .size:           4
        .value_kind:     by_value
      - .offset:         68
        .size:           4
        .value_kind:     by_value
      - .offset:         72
        .size:           4
        .value_kind:     by_value
      - .offset:         76
        .size:           4
        .value_kind:     by_value
      - .offset:         80
        .size:           4
        .value_kind:     by_value
      - .offset:         84
        .size:           4
        .value_kind:     by_value
      - .offset:         88
        .size:           4
        .value_kind:     by_value
      - .offset:         92
        .size:           12
        .value_kind:     by_value
      - .offset:         104
        .size:           4
        .value_kind:     by_value
      - .offset:         108
        .size:           4
        .value_kind:     by_value
      - .offset:         112
        .size:           4
        .value_kind:     by_value
      - .offset:         116
        .size:           4
        .value_kind:     by_value
      - .offset:         120
        .size:           4
        .value_kind:     by_value
      - .offset:         124
        .size:           4
        .value_kind:     by_value
      - .offset:         128
        .size:           4
        .value_kind:     by_value
      - .offset:         132
        .size:           4
        .value_kind:     by_value
      - .offset:         136
        .size:           4
        .value_kind:     by_value
      - .offset:         140
        .size:           4
        .value_kind:     by_value
      - .offset:         144
        .size:           4
        .value_kind:     by_value
      - .offset:         152
        .size:           8
        .value_kind:     by_value
      - .offset:         160
        .size:           4
        .value_kind:     by_value
      - .offset:         164
        .size:           4
        .value_kind:     by_value
      - .offset:         168
        .size:           8
        .value_kind:     by_value
      - .offset:         176
        .size:           4
        .value_kind:     by_value
      - .offset:         180
        .size:           4
        .value_kind:     by_value
      - .offset:         184
        .size:           4
        .value_kind:     by_value
      - .offset:         188
        .size:           4
        .value_kind:     by_value
      - .offset:         192
        .size:           4
        .value_kind:     by_value
      - .offset:         200
        .size:           8
        .value_kind:     by_value
      - .offset:         208
        .size:           4
        .value_kind:     hidden_block_count_x
      - .offset:         212
        .size:           4
        .value_kind:     hidden_block_count_y
      - .offset:         216
        .size:           4
        .value_kind:     hidden_block_count_z
      - .offset:         220
        .size:           2
        .value_kind:     hidden_group_size_x
      - .offset:         222
        .size:           2
        .value_kind:     hidden_group_size_y
      - .offset:         224
        .size:           2
        .value_kind:     hidden_group_size_z
      - .offset:         226
        .size:           2
        .value_kind:     hidden_remainder_x
      - .offset:         228
        .size:           2
        .value_kind:     hidden_remainder_y
      - .offset:         230
        .size:           2
        .value_kind:     hidden_remainder_z
      - .offset:         248
        .size:           8
        .value_kind:     hidden_global_offset_x
      - .offset:         256
        .size:           8
        .value_kind:     hidden_global_offset_y
      - .offset:         264
        .size:           8
        .value_kind:     hidden_global_offset_z
      - .offset:         272
        .size:           2
        .value_kind:     hidden_grid_dims
    .group_segment_fixed_size: 5376
    .kernarg_segment_align: 8
    .kernarg_segment_size: 464
    .language:       OpenCL C
    .language_version:
      - 2
      - 0
    .max_flat_workgroup_size: 64
    .name:           _ZL15flash_attn_tileILi64ELi64ELi1ELi4ELb0EEvPKcS1_S1_S1_S1_PKiPfP15HIP_vector_typeIfLj2EEffffjfiS5_IjLj3EEiiiiiiiiiiiliiliiiiil
    .private_segment_fixed_size: 0
    .sgpr_count:     44
    .sgpr_spill_count: 0
    .symbol:         _ZL15flash_attn_tileILi64ELi64ELi1ELi4ELb0EEvPKcS1_S1_S1_S1_PKiPfP15HIP_vector_typeIfLj2EEffffjfiS5_IjLj3EEiiiiiiiiiiiliiliiiiil.kd
    .uniform_work_group_size: 1
    .uses_dynamic_stack: false
    .vgpr_count:     131
    .vgpr_spill_count: 0
    .wavefront_size: 32
    .workgroup_processor_mode: 1
  - .args:
      - .address_space:  global
        .offset:         0
        .size:           8
        .value_kind:     global_buffer
      - .address_space:  global
        .offset:         8
        .size:           8
        .value_kind:     global_buffer
      - .offset:         16
        .size:           4
        .value_kind:     by_value
      - .offset:         20
        .size:           4
        .value_kind:     by_value
      - .offset:         24
        .size:           4
        .value_kind:     by_value
      - .offset:         28
        .size:           4
        .value_kind:     by_value
      - .offset:         32
        .size:           4
        .value_kind:     by_value
      - .offset:         36
        .size:           4
        .value_kind:     by_value
      - .offset:         40
        .size:           12
        .value_kind:     by_value
      - .offset:         52
        .size:           12
        .value_kind:     by_value
      - .offset:         64
        .size:           12
        .value_kind:     by_value
    .group_segment_fixed_size: 0
    .kernarg_segment_align: 8
    .kernarg_segment_size: 76
    .language:       OpenCL C
    .language_version:
      - 2
      - 0
    .max_flat_workgroup_size: 64
    .name:           _ZL33flash_attn_stream_k_fixup_uniformILi64ELi1ELi4EEvPfPK15HIP_vector_typeIfLj2EEiiiiiiS1_IjLj3EES5_S5_
    .private_segment_fixed_size: 0
    .sgpr_count:     22
    .sgpr_spill_count: 0
    .symbol:         _ZL33flash_attn_stream_k_fixup_uniformILi64ELi1ELi4EEvPfPK15HIP_vector_typeIfLj2EEiiiiiiS1_IjLj3EES5_S5_.kd
    .uniform_work_group_size: 1
    .uses_dynamic_stack: false
    .vgpr_count:     11
    .vgpr_spill_count: 0
    .wavefront_size: 32
    .workgroup_processor_mode: 1
  - .args:
      - .address_space:  global
        .offset:         0
        .size:           8
        .value_kind:     global_buffer
      - .address_space:  global
        .offset:         8
        .size:           8
        .value_kind:     global_buffer
      - .offset:         16
        .size:           4
        .value_kind:     by_value
      - .offset:         20
        .size:           4
        .value_kind:     by_value
      - .offset:         24
        .size:           4
        .value_kind:     by_value
      - .offset:         28
        .size:           4
        .value_kind:     by_value
      - .offset:         32
        .size:           12
        .value_kind:     by_value
      - .offset:         44
        .size:           12
        .value_kind:     by_value
      - .offset:         56
        .size:           12
        .value_kind:     by_value
      - .offset:         68
        .size:           12
        .value_kind:     by_value
      - .offset:         80
        .size:           4
        .value_kind:     hidden_block_count_x
      - .offset:         84
        .size:           4
        .value_kind:     hidden_block_count_y
      - .offset:         88
        .size:           4
        .value_kind:     hidden_block_count_z
      - .offset:         92
        .size:           2
        .value_kind:     hidden_group_size_x
      - .offset:         94
        .size:           2
        .value_kind:     hidden_group_size_y
      - .offset:         96
        .size:           2
        .value_kind:     hidden_group_size_z
      - .offset:         98
        .size:           2
        .value_kind:     hidden_remainder_x
      - .offset:         100
        .size:           2
        .value_kind:     hidden_remainder_y
      - .offset:         102
        .size:           2
        .value_kind:     hidden_remainder_z
      - .offset:         120
        .size:           8
        .value_kind:     hidden_global_offset_x
      - .offset:         128
        .size:           8
        .value_kind:     hidden_global_offset_y
      - .offset:         136
        .size:           8
        .value_kind:     hidden_global_offset_z
      - .offset:         144
        .size:           2
        .value_kind:     hidden_grid_dims
    .group_segment_fixed_size: 0
    .kernarg_segment_align: 8
    .kernarg_segment_size: 336
    .language:       OpenCL C
    .language_version:
      - 2
      - 0
    .max_flat_workgroup_size: 64
    .name:           _ZL33flash_attn_stream_k_fixup_generalILi64ELi1ELi4EEvPfPK15HIP_vector_typeIfLj2EEiiiiS1_IjLj3EES5_S5_S5_
    .private_segment_fixed_size: 0
    .sgpr_count:     46
    .sgpr_spill_count: 0
    .symbol:         _ZL33flash_attn_stream_k_fixup_generalILi64ELi1ELi4EEvPfPK15HIP_vector_typeIfLj2EEiiiiS1_IjLj3EES5_S5_S5_.kd
    .uniform_work_group_size: 1
    .uses_dynamic_stack: false
    .vgpr_count:     9
    .vgpr_spill_count: 0
    .wavefront_size: 32
    .workgroup_processor_mode: 1
  - .args:
      - .address_space:  global
        .offset:         0
        .size:           8
        .value_kind:     global_buffer
      - .address_space:  global
        .offset:         8
        .size:           8
        .value_kind:     global_buffer
      - .address_space:  global
        .offset:         16
        .size:           8
        .value_kind:     global_buffer
      - .address_space:  global
        .offset:         24
        .size:           8
        .value_kind:     global_buffer
      - .address_space:  global
        .offset:         32
        .size:           8
        .value_kind:     global_buffer
      - .address_space:  global
        .offset:         40
        .size:           8
        .value_kind:     global_buffer
      - .address_space:  global
        .offset:         48
        .size:           8
        .value_kind:     global_buffer
      - .address_space:  global
        .offset:         56
        .size:           8
        .value_kind:     global_buffer
      - .offset:         64
        .size:           4
        .value_kind:     by_value
      - .offset:         68
        .size:           4
        .value_kind:     by_value
      - .offset:         72
        .size:           4
        .value_kind:     by_value
      - .offset:         76
        .size:           4
        .value_kind:     by_value
      - .offset:         80
        .size:           4
        .value_kind:     by_value
      - .offset:         84
        .size:           4
        .value_kind:     by_value
      - .offset:         88
        .size:           4
        .value_kind:     by_value
      - .offset:         92
        .size:           12
        .value_kind:     by_value
      - .offset:         104
        .size:           4
        .value_kind:     by_value
      - .offset:         108
        .size:           4
        .value_kind:     by_value
      - .offset:         112
        .size:           4
        .value_kind:     by_value
      - .offset:         116
        .size:           4
        .value_kind:     by_value
      - .offset:         120
        .size:           4
        .value_kind:     by_value
      - .offset:         124
        .size:           4
        .value_kind:     by_value
      - .offset:         128
        .size:           4
        .value_kind:     by_value
      - .offset:         132
        .size:           4
        .value_kind:     by_value
      - .offset:         136
        .size:           4
        .value_kind:     by_value
      - .offset:         140
        .size:           4
        .value_kind:     by_value
      - .offset:         144
        .size:           4
        .value_kind:     by_value
      - .offset:         152
        .size:           8
        .value_kind:     by_value
      - .offset:         160
        .size:           4
        .value_kind:     by_value
      - .offset:         164
        .size:           4
        .value_kind:     by_value
      - .offset:         168
        .size:           8
        .value_kind:     by_value
      - .offset:         176
        .size:           4
        .value_kind:     by_value
      - .offset:         180
        .size:           4
        .value_kind:     by_value
      - .offset:         184
        .size:           4
        .value_kind:     by_value
      - .offset:         188
        .size:           4
        .value_kind:     by_value
      - .offset:         192
        .size:           4
        .value_kind:     by_value
      - .offset:         200
        .size:           8
        .value_kind:     by_value
      - .offset:         208
        .size:           4
        .value_kind:     hidden_block_count_x
      - .offset:         212
        .size:           4
        .value_kind:     hidden_block_count_y
      - .offset:         216
        .size:           4
        .value_kind:     hidden_block_count_z
      - .offset:         220
        .size:           2
        .value_kind:     hidden_group_size_x
      - .offset:         222
        .size:           2
        .value_kind:     hidden_group_size_y
      - .offset:         224
        .size:           2
        .value_kind:     hidden_group_size_z
      - .offset:         226
        .size:           2
        .value_kind:     hidden_remainder_x
      - .offset:         228
        .size:           2
        .value_kind:     hidden_remainder_y
      - .offset:         230
        .size:           2
        .value_kind:     hidden_remainder_z
      - .offset:         248
        .size:           8
        .value_kind:     hidden_global_offset_x
      - .offset:         256
        .size:           8
        .value_kind:     hidden_global_offset_y
      - .offset:         264
        .size:           8
        .value_kind:     hidden_global_offset_z
      - .offset:         272
        .size:           2
        .value_kind:     hidden_grid_dims
    .group_segment_fixed_size: 25600
    .kernarg_segment_align: 8
    .kernarg_segment_size: 464
    .language:       OpenCL C
    .language_version:
      - 2
      - 0
    .max_flat_workgroup_size: 128
    .name:           _ZL15flash_attn_tileILi64ELi64ELi32ELi2ELb0EEvPKcS1_S1_S1_S1_PKiPfP15HIP_vector_typeIfLj2EEffffjfiS5_IjLj3EEiiiiiiiiiiiliiliiiiil
    .private_segment_fixed_size: 72
    .sgpr_count:     50
    .sgpr_spill_count: 0
    .symbol:         _ZL15flash_attn_tileILi64ELi64ELi32ELi2ELb0EEvPKcS1_S1_S1_S1_PKiPfP15HIP_vector_typeIfLj2EEffffjfiS5_IjLj3EEiiiiiiiiiiiliiliiiiil.kd
    .uniform_work_group_size: 1
    .uses_dynamic_stack: false
    .vgpr_count:     256
    .vgpr_spill_count: 17
    .wavefront_size: 32
    .workgroup_processor_mode: 1
  - .args:
      - .actual_access:  read_only
        .address_space:  global
        .offset:         0
        .size:           8
        .value_kind:     global_buffer
      - .actual_access:  write_only
        .address_space:  global
        .offset:         8
        .size:           8
        .value_kind:     global_buffer
      - .offset:         16
        .size:           4
        .value_kind:     by_value
      - .offset:         20
        .size:           4
        .value_kind:     by_value
      - .offset:         24
        .size:           4
        .value_kind:     by_value
      - .offset:         32
        .size:           4
        .value_kind:     hidden_block_count_x
      - .offset:         36
        .size:           4
        .value_kind:     hidden_block_count_y
      - .offset:         40
        .size:           4
        .value_kind:     hidden_block_count_z
      - .offset:         44
        .size:           2
        .value_kind:     hidden_group_size_x
      - .offset:         46
        .size:           2
        .value_kind:     hidden_group_size_y
      - .offset:         48
        .size:           2
        .value_kind:     hidden_group_size_z
      - .offset:         50
        .size:           2
        .value_kind:     hidden_remainder_x
      - .offset:         52
        .size:           2
        .value_kind:     hidden_remainder_y
      - .offset:         54
        .size:           2
        .value_kind:     hidden_remainder_z
      - .offset:         72
        .size:           8
        .value_kind:     hidden_global_offset_x
      - .offset:         80
        .size:           8
        .value_kind:     hidden_global_offset_y
      - .offset:         88
        .size:           8
        .value_kind:     hidden_global_offset_z
      - .offset:         96
        .size:           2
        .value_kind:     hidden_grid_dims
    .group_segment_fixed_size: 128
    .kernarg_segment_align: 8
    .kernarg_segment_size: 288
    .language:       OpenCL C
    .language_version:
      - 2
      - 0
    .max_flat_workgroup_size: 128
    .name:           _ZL25flash_attn_mask_to_KV_maxILi32EEvPK7__half2Piiii
    .private_segment_fixed_size: 0
    .sgpr_count:     76
    .sgpr_spill_count: 0
    .symbol:         _ZL25flash_attn_mask_to_KV_maxILi32EEvPK7__half2Piiii.kd
    .uniform_work_group_size: 1
    .uses_dynamic_stack: false
    .vgpr_count:     9
    .vgpr_spill_count: 0
    .wavefront_size: 32
    .workgroup_processor_mode: 1
  - .args:
      - .address_space:  global
        .offset:         0
        .size:           8
        .value_kind:     global_buffer
      - .address_space:  global
        .offset:         8
        .size:           8
        .value_kind:     global_buffer
      - .offset:         16
        .size:           4
        .value_kind:     by_value
      - .offset:         20
        .size:           4
        .value_kind:     by_value
      - .offset:         24
        .size:           4
        .value_kind:     by_value
      - .offset:         28
        .size:           4
        .value_kind:     by_value
      - .offset:         32
        .size:           4
        .value_kind:     by_value
      - .offset:         36
        .size:           4
        .value_kind:     by_value
      - .offset:         40
        .size:           12
        .value_kind:     by_value
      - .offset:         52
        .size:           12
        .value_kind:     by_value
      - .offset:         64
        .size:           12
        .value_kind:     by_value
    .group_segment_fixed_size: 0
    .kernarg_segment_align: 8
    .kernarg_segment_size: 76
    .language:       OpenCL C
    .language_version:
      - 2
      - 0
    .max_flat_workgroup_size: 64
    .name:           _ZL33flash_attn_stream_k_fixup_uniformILi64ELi32ELi2EEvPfPK15HIP_vector_typeIfLj2EEiiiiiiS1_IjLj3EES5_S5_
    .private_segment_fixed_size: 0
    .sgpr_count:     18
    .sgpr_spill_count: 0
    .symbol:         _ZL33flash_attn_stream_k_fixup_uniformILi64ELi32ELi2EEvPfPK15HIP_vector_typeIfLj2EEiiiiiiS1_IjLj3EES5_S5_.kd
    .uniform_work_group_size: 1
    .uses_dynamic_stack: false
    .vgpr_count:     11
    .vgpr_spill_count: 0
    .wavefront_size: 32
    .workgroup_processor_mode: 1
  - .args:
      - .address_space:  global
        .offset:         0
        .size:           8
        .value_kind:     global_buffer
      - .address_space:  global
        .offset:         8
        .size:           8
        .value_kind:     global_buffer
      - .offset:         16
        .size:           4
        .value_kind:     by_value
      - .offset:         20
        .size:           4
        .value_kind:     by_value
      - .offset:         24
        .size:           4
        .value_kind:     by_value
      - .offset:         28
        .size:           4
        .value_kind:     by_value
      - .offset:         32
        .size:           12
        .value_kind:     by_value
      - .offset:         44
        .size:           12
        .value_kind:     by_value
      - .offset:         56
        .size:           12
        .value_kind:     by_value
      - .offset:         68
        .size:           12
        .value_kind:     by_value
      - .offset:         80
        .size:           4
        .value_kind:     hidden_block_count_x
      - .offset:         84
        .size:           4
        .value_kind:     hidden_block_count_y
      - .offset:         88
        .size:           4
        .value_kind:     hidden_block_count_z
      - .offset:         92
        .size:           2
        .value_kind:     hidden_group_size_x
      - .offset:         94
        .size:           2
        .value_kind:     hidden_group_size_y
      - .offset:         96
        .size:           2
        .value_kind:     hidden_group_size_z
      - .offset:         98
        .size:           2
        .value_kind:     hidden_remainder_x
      - .offset:         100
        .size:           2
        .value_kind:     hidden_remainder_y
      - .offset:         102
        .size:           2
        .value_kind:     hidden_remainder_z
      - .offset:         120
        .size:           8
        .value_kind:     hidden_global_offset_x
      - .offset:         128
        .size:           8
        .value_kind:     hidden_global_offset_y
      - .offset:         136
        .size:           8
        .value_kind:     hidden_global_offset_z
      - .offset:         144
        .size:           2
        .value_kind:     hidden_grid_dims
    .group_segment_fixed_size: 0
    .kernarg_segment_align: 8
    .kernarg_segment_size: 336
    .language:       OpenCL C
    .language_version:
      - 2
      - 0
    .max_flat_workgroup_size: 64
    .name:           _ZL33flash_attn_stream_k_fixup_generalILi64ELi32ELi2EEvPfPK15HIP_vector_typeIfLj2EEiiiiS1_IjLj3EES5_S5_S5_
    .private_segment_fixed_size: 0
    .sgpr_count:     46
    .sgpr_spill_count: 0
    .symbol:         _ZL33flash_attn_stream_k_fixup_generalILi64ELi32ELi2EEvPfPK15HIP_vector_typeIfLj2EEiiiiS1_IjLj3EES5_S5_S5_.kd
    .uniform_work_group_size: 1
    .uses_dynamic_stack: false
    .vgpr_count:     9
    .vgpr_spill_count: 0
    .wavefront_size: 32
    .workgroup_processor_mode: 1
  - .args:
      - .address_space:  global
        .offset:         0
        .size:           8
        .value_kind:     global_buffer
      - .address_space:  global
        .offset:         8
        .size:           8
        .value_kind:     global_buffer
      - .address_space:  global
        .offset:         16
        .size:           8
        .value_kind:     global_buffer
      - .address_space:  global
        .offset:         24
        .size:           8
        .value_kind:     global_buffer
      - .address_space:  global
        .offset:         32
        .size:           8
        .value_kind:     global_buffer
      - .address_space:  global
        .offset:         40
        .size:           8
        .value_kind:     global_buffer
      - .address_space:  global
        .offset:         48
        .size:           8
        .value_kind:     global_buffer
      - .address_space:  global
        .offset:         56
        .size:           8
        .value_kind:     global_buffer
      - .offset:         64
        .size:           4
        .value_kind:     by_value
      - .offset:         68
        .size:           4
        .value_kind:     by_value
      - .offset:         72
        .size:           4
        .value_kind:     by_value
      - .offset:         76
        .size:           4
        .value_kind:     by_value
      - .offset:         80
        .size:           4
        .value_kind:     by_value
      - .offset:         84
        .size:           4
        .value_kind:     by_value
      - .offset:         88
        .size:           4
        .value_kind:     by_value
      - .offset:         92
        .size:           12
        .value_kind:     by_value
      - .offset:         104
        .size:           4
        .value_kind:     by_value
      - .offset:         108
        .size:           4
        .value_kind:     by_value
      - .offset:         112
        .size:           4
        .value_kind:     by_value
      - .offset:         116
        .size:           4
        .value_kind:     by_value
      - .offset:         120
        .size:           4
        .value_kind:     by_value
      - .offset:         124
        .size:           4
        .value_kind:     by_value
      - .offset:         128
        .size:           4
        .value_kind:     by_value
      - .offset:         132
        .size:           4
        .value_kind:     by_value
      - .offset:         136
        .size:           4
        .value_kind:     by_value
      - .offset:         140
        .size:           4
        .value_kind:     by_value
      - .offset:         144
        .size:           4
        .value_kind:     by_value
      - .offset:         152
        .size:           8
        .value_kind:     by_value
      - .offset:         160
        .size:           4
        .value_kind:     by_value
      - .offset:         164
        .size:           4
        .value_kind:     by_value
      - .offset:         168
        .size:           8
        .value_kind:     by_value
      - .offset:         176
        .size:           4
        .value_kind:     by_value
      - .offset:         180
        .size:           4
        .value_kind:     by_value
      - .offset:         184
        .size:           4
        .value_kind:     by_value
      - .offset:         188
        .size:           4
        .value_kind:     by_value
      - .offset:         192
        .size:           4
        .value_kind:     by_value
      - .offset:         200
        .size:           8
        .value_kind:     by_value
      - .offset:         208
        .size:           4
        .value_kind:     hidden_block_count_x
      - .offset:         212
        .size:           4
        .value_kind:     hidden_block_count_y
      - .offset:         216
        .size:           4
        .value_kind:     hidden_block_count_z
      - .offset:         220
        .size:           2
        .value_kind:     hidden_group_size_x
      - .offset:         222
        .size:           2
        .value_kind:     hidden_group_size_y
      - .offset:         224
        .size:           2
        .value_kind:     hidden_group_size_z
      - .offset:         226
        .size:           2
        .value_kind:     hidden_remainder_x
      - .offset:         228
        .size:           2
        .value_kind:     hidden_remainder_y
      - .offset:         230
        .size:           2
        .value_kind:     hidden_remainder_z
      - .offset:         248
        .size:           8
        .value_kind:     hidden_global_offset_x
      - .offset:         256
        .size:           8
        .value_kind:     hidden_global_offset_y
      - .offset:         264
        .size:           8
        .value_kind:     hidden_global_offset_z
      - .offset:         272
        .size:           2
        .value_kind:     hidden_grid_dims
    .group_segment_fixed_size: 17408
    .kernarg_segment_align: 8
    .kernarg_segment_size: 464
    .language:       OpenCL C
    .language_version:
      - 2
      - 0
    .max_flat_workgroup_size: 128
    .name:           _ZL15flash_attn_tileILi64ELi64ELi16ELi2ELb0EEvPKcS1_S1_S1_S1_PKiPfP15HIP_vector_typeIfLj2EEffffjfiS5_IjLj3EEiiiiiiiiiiiliiliiiiil
    .private_segment_fixed_size: 0
    .sgpr_count:     50
    .sgpr_spill_count: 0
    .symbol:         _ZL15flash_attn_tileILi64ELi64ELi16ELi2ELb0EEvPKcS1_S1_S1_S1_PKiPfP15HIP_vector_typeIfLj2EEffffjfiS5_IjLj3EEiiiiiiiiiiiliiliiiiil.kd
    .uniform_work_group_size: 1
    .uses_dynamic_stack: false
    .vgpr_count:     143
    .vgpr_spill_count: 0
    .wavefront_size: 32
    .workgroup_processor_mode: 1
  - .args:
      - .address_space:  global
        .offset:         0
        .size:           8
        .value_kind:     global_buffer
      - .address_space:  global
        .offset:         8
        .size:           8
        .value_kind:     global_buffer
      - .offset:         16
        .size:           4
        .value_kind:     by_value
      - .offset:         20
        .size:           4
        .value_kind:     by_value
      - .offset:         24
        .size:           4
        .value_kind:     by_value
      - .offset:         28
        .size:           4
        .value_kind:     by_value
      - .offset:         32
        .size:           4
        .value_kind:     by_value
      - .offset:         36
        .size:           4
        .value_kind:     by_value
      - .offset:         40
        .size:           12
        .value_kind:     by_value
      - .offset:         52
        .size:           12
        .value_kind:     by_value
      - .offset:         64
        .size:           12
        .value_kind:     by_value
    .group_segment_fixed_size: 0
    .kernarg_segment_align: 8
    .kernarg_segment_size: 76
    .language:       OpenCL C
    .language_version:
      - 2
      - 0
    .max_flat_workgroup_size: 64
    .name:           _ZL33flash_attn_stream_k_fixup_uniformILi64ELi16ELi2EEvPfPK15HIP_vector_typeIfLj2EEiiiiiiS1_IjLj3EES5_S5_
    .private_segment_fixed_size: 0
    .sgpr_count:     18
    .sgpr_spill_count: 0
    .symbol:         _ZL33flash_attn_stream_k_fixup_uniformILi64ELi16ELi2EEvPfPK15HIP_vector_typeIfLj2EEiiiiiiS1_IjLj3EES5_S5_.kd
    .uniform_work_group_size: 1
    .uses_dynamic_stack: false
    .vgpr_count:     11
    .vgpr_spill_count: 0
    .wavefront_size: 32
    .workgroup_processor_mode: 1
  - .args:
      - .address_space:  global
        .offset:         0
        .size:           8
        .value_kind:     global_buffer
      - .address_space:  global
        .offset:         8
        .size:           8
        .value_kind:     global_buffer
      - .offset:         16
        .size:           4
        .value_kind:     by_value
      - .offset:         20
        .size:           4
        .value_kind:     by_value
      - .offset:         24
        .size:           4
        .value_kind:     by_value
      - .offset:         28
        .size:           4
        .value_kind:     by_value
      - .offset:         32
        .size:           12
        .value_kind:     by_value
      - .offset:         44
        .size:           12
        .value_kind:     by_value
      - .offset:         56
        .size:           12
        .value_kind:     by_value
      - .offset:         68
        .size:           12
        .value_kind:     by_value
      - .offset:         80
        .size:           4
        .value_kind:     hidden_block_count_x
      - .offset:         84
        .size:           4
        .value_kind:     hidden_block_count_y
      - .offset:         88
        .size:           4
        .value_kind:     hidden_block_count_z
      - .offset:         92
        .size:           2
        .value_kind:     hidden_group_size_x
      - .offset:         94
        .size:           2
        .value_kind:     hidden_group_size_y
      - .offset:         96
        .size:           2
        .value_kind:     hidden_group_size_z
      - .offset:         98
        .size:           2
        .value_kind:     hidden_remainder_x
      - .offset:         100
        .size:           2
        .value_kind:     hidden_remainder_y
      - .offset:         102
        .size:           2
        .value_kind:     hidden_remainder_z
      - .offset:         120
        .size:           8
        .value_kind:     hidden_global_offset_x
      - .offset:         128
        .size:           8
        .value_kind:     hidden_global_offset_y
      - .offset:         136
        .size:           8
        .value_kind:     hidden_global_offset_z
      - .offset:         144
        .size:           2
        .value_kind:     hidden_grid_dims
    .group_segment_fixed_size: 0
    .kernarg_segment_align: 8
    .kernarg_segment_size: 336
    .language:       OpenCL C
    .language_version:
      - 2
      - 0
    .max_flat_workgroup_size: 64
    .name:           _ZL33flash_attn_stream_k_fixup_generalILi64ELi16ELi2EEvPfPK15HIP_vector_typeIfLj2EEiiiiS1_IjLj3EES5_S5_S5_
    .private_segment_fixed_size: 0
    .sgpr_count:     46
    .sgpr_spill_count: 0
    .symbol:         _ZL33flash_attn_stream_k_fixup_generalILi64ELi16ELi2EEvPfPK15HIP_vector_typeIfLj2EEiiiiS1_IjLj3EES5_S5_S5_.kd
    .uniform_work_group_size: 1
    .uses_dynamic_stack: false
    .vgpr_count:     9
    .vgpr_spill_count: 0
    .wavefront_size: 32
    .workgroup_processor_mode: 1
  - .args:
      - .address_space:  global
        .offset:         0
        .size:           8
        .value_kind:     global_buffer
      - .address_space:  global
        .offset:         8
        .size:           8
        .value_kind:     global_buffer
      - .address_space:  global
        .offset:         16
        .size:           8
        .value_kind:     global_buffer
      - .address_space:  global
        .offset:         24
        .size:           8
        .value_kind:     global_buffer
      - .address_space:  global
        .offset:         32
        .size:           8
        .value_kind:     global_buffer
      - .address_space:  global
        .offset:         40
        .size:           8
        .value_kind:     global_buffer
      - .address_space:  global
        .offset:         48
        .size:           8
        .value_kind:     global_buffer
      - .address_space:  global
        .offset:         56
        .size:           8
        .value_kind:     global_buffer
      - .offset:         64
        .size:           4
        .value_kind:     by_value
      - .offset:         68
        .size:           4
        .value_kind:     by_value
      - .offset:         72
        .size:           4
        .value_kind:     by_value
      - .offset:         76
        .size:           4
        .value_kind:     by_value
      - .offset:         80
        .size:           4
        .value_kind:     by_value
      - .offset:         84
        .size:           4
        .value_kind:     by_value
      - .offset:         88
        .size:           4
        .value_kind:     by_value
      - .offset:         92
        .size:           12
        .value_kind:     by_value
      - .offset:         104
        .size:           4
        .value_kind:     by_value
      - .offset:         108
        .size:           4
        .value_kind:     by_value
      - .offset:         112
        .size:           4
        .value_kind:     by_value
      - .offset:         116
        .size:           4
        .value_kind:     by_value
      - .offset:         120
        .size:           4
        .value_kind:     by_value
      - .offset:         124
        .size:           4
        .value_kind:     by_value
      - .offset:         128
        .size:           4
        .value_kind:     by_value
      - .offset:         132
        .size:           4
        .value_kind:     by_value
      - .offset:         136
        .size:           4
        .value_kind:     by_value
      - .offset:         140
        .size:           4
        .value_kind:     by_value
      - .offset:         144
        .size:           4
        .value_kind:     by_value
      - .offset:         152
        .size:           8
        .value_kind:     by_value
      - .offset:         160
        .size:           4
        .value_kind:     by_value
      - .offset:         164
        .size:           4
        .value_kind:     by_value
      - .offset:         168
        .size:           8
        .value_kind:     by_value
      - .offset:         176
        .size:           4
        .value_kind:     by_value
      - .offset:         180
        .size:           4
        .value_kind:     by_value
      - .offset:         184
        .size:           4
        .value_kind:     by_value
      - .offset:         188
        .size:           4
        .value_kind:     by_value
      - .offset:         192
        .size:           4
        .value_kind:     by_value
      - .offset:         200
        .size:           8
        .value_kind:     by_value
      - .offset:         208
        .size:           4
        .value_kind:     hidden_block_count_x
      - .offset:         212
        .size:           4
        .value_kind:     hidden_block_count_y
      - .offset:         216
        .size:           4
        .value_kind:     hidden_block_count_z
      - .offset:         220
        .size:           2
        .value_kind:     hidden_group_size_x
      - .offset:         222
        .size:           2
        .value_kind:     hidden_group_size_y
      - .offset:         224
        .size:           2
        .value_kind:     hidden_group_size_z
      - .offset:         226
        .size:           2
        .value_kind:     hidden_remainder_x
      - .offset:         228
        .size:           2
        .value_kind:     hidden_remainder_y
      - .offset:         230
        .size:           2
        .value_kind:     hidden_remainder_z
      - .offset:         248
        .size:           8
        .value_kind:     hidden_global_offset_x
      - .offset:         256
        .size:           8
        .value_kind:     hidden_global_offset_y
      - .offset:         264
        .size:           8
        .value_kind:     hidden_global_offset_z
      - .offset:         272
        .size:           2
        .value_kind:     hidden_grid_dims
    .group_segment_fixed_size: 24576
    .kernarg_segment_align: 8
    .kernarg_segment_size: 464
    .language:       OpenCL C
    .language_version:
      - 2
      - 0
    .max_flat_workgroup_size: 128
    .name:           _ZL15flash_attn_tileILi64ELi64ELi8ELi2ELb0EEvPKcS1_S1_S1_S1_PKiPfP15HIP_vector_typeIfLj2EEffffjfiS5_IjLj3EEiiiiiiiiiiiliiliiiiil
    .private_segment_fixed_size: 0
    .sgpr_count:     46
    .sgpr_spill_count: 0
    .symbol:         _ZL15flash_attn_tileILi64ELi64ELi8ELi2ELb0EEvPKcS1_S1_S1_S1_PKiPfP15HIP_vector_typeIfLj2EEffffjfiS5_IjLj3EEiiiiiiiiiiiliiliiiiil.kd
    .uniform_work_group_size: 1
    .uses_dynamic_stack: false
    .vgpr_count:     145
    .vgpr_spill_count: 0
    .wavefront_size: 32
    .workgroup_processor_mode: 1
  - .args:
      - .address_space:  global
        .offset:         0
        .size:           8
        .value_kind:     global_buffer
      - .address_space:  global
        .offset:         8
        .size:           8
        .value_kind:     global_buffer
      - .offset:         16
        .size:           4
        .value_kind:     by_value
      - .offset:         20
        .size:           4
        .value_kind:     by_value
      - .offset:         24
        .size:           4
        .value_kind:     by_value
      - .offset:         28
        .size:           4
        .value_kind:     by_value
      - .offset:         32
        .size:           4
        .value_kind:     by_value
      - .offset:         36
        .size:           4
        .value_kind:     by_value
      - .offset:         40
        .size:           12
        .value_kind:     by_value
      - .offset:         52
        .size:           12
        .value_kind:     by_value
      - .offset:         64
        .size:           12
        .value_kind:     by_value
    .group_segment_fixed_size: 0
    .kernarg_segment_align: 8
    .kernarg_segment_size: 76
    .language:       OpenCL C
    .language_version:
      - 2
      - 0
    .max_flat_workgroup_size: 64
    .name:           _ZL33flash_attn_stream_k_fixup_uniformILi64ELi8ELi2EEvPfPK15HIP_vector_typeIfLj2EEiiiiiiS1_IjLj3EES5_S5_
    .private_segment_fixed_size: 0
    .sgpr_count:     18
    .sgpr_spill_count: 0
    .symbol:         _ZL33flash_attn_stream_k_fixup_uniformILi64ELi8ELi2EEvPfPK15HIP_vector_typeIfLj2EEiiiiiiS1_IjLj3EES5_S5_.kd
    .uniform_work_group_size: 1
    .uses_dynamic_stack: false
    .vgpr_count:     11
    .vgpr_spill_count: 0
    .wavefront_size: 32
    .workgroup_processor_mode: 1
  - .args:
      - .address_space:  global
        .offset:         0
        .size:           8
        .value_kind:     global_buffer
      - .address_space:  global
        .offset:         8
        .size:           8
        .value_kind:     global_buffer
      - .offset:         16
        .size:           4
        .value_kind:     by_value
      - .offset:         20
        .size:           4
        .value_kind:     by_value
      - .offset:         24
        .size:           4
        .value_kind:     by_value
      - .offset:         28
        .size:           4
        .value_kind:     by_value
      - .offset:         32
        .size:           12
        .value_kind:     by_value
      - .offset:         44
        .size:           12
        .value_kind:     by_value
      - .offset:         56
        .size:           12
        .value_kind:     by_value
      - .offset:         68
        .size:           12
        .value_kind:     by_value
      - .offset:         80
        .size:           4
        .value_kind:     hidden_block_count_x
      - .offset:         84
        .size:           4
        .value_kind:     hidden_block_count_y
      - .offset:         88
        .size:           4
        .value_kind:     hidden_block_count_z
      - .offset:         92
        .size:           2
        .value_kind:     hidden_group_size_x
      - .offset:         94
        .size:           2
        .value_kind:     hidden_group_size_y
      - .offset:         96
        .size:           2
        .value_kind:     hidden_group_size_z
      - .offset:         98
        .size:           2
        .value_kind:     hidden_remainder_x
      - .offset:         100
        .size:           2
        .value_kind:     hidden_remainder_y
      - .offset:         102
        .size:           2
        .value_kind:     hidden_remainder_z
      - .offset:         120
        .size:           8
        .value_kind:     hidden_global_offset_x
      - .offset:         128
        .size:           8
        .value_kind:     hidden_global_offset_y
      - .offset:         136
        .size:           8
        .value_kind:     hidden_global_offset_z
      - .offset:         144
        .size:           2
        .value_kind:     hidden_grid_dims
    .group_segment_fixed_size: 0
    .kernarg_segment_align: 8
    .kernarg_segment_size: 336
    .language:       OpenCL C
    .language_version:
      - 2
      - 0
    .max_flat_workgroup_size: 64
    .name:           _ZL33flash_attn_stream_k_fixup_generalILi64ELi8ELi2EEvPfPK15HIP_vector_typeIfLj2EEiiiiS1_IjLj3EES5_S5_S5_
    .private_segment_fixed_size: 0
    .sgpr_count:     46
    .sgpr_spill_count: 0
    .symbol:         _ZL33flash_attn_stream_k_fixup_generalILi64ELi8ELi2EEvPfPK15HIP_vector_typeIfLj2EEiiiiS1_IjLj3EES5_S5_S5_.kd
    .uniform_work_group_size: 1
    .uses_dynamic_stack: false
    .vgpr_count:     9
    .vgpr_spill_count: 0
    .wavefront_size: 32
    .workgroup_processor_mode: 1
  - .args:
      - .address_space:  global
        .offset:         0
        .size:           8
        .value_kind:     global_buffer
      - .address_space:  global
        .offset:         8
        .size:           8
        .value_kind:     global_buffer
      - .address_space:  global
        .offset:         16
        .size:           8
        .value_kind:     global_buffer
      - .address_space:  global
        .offset:         24
        .size:           8
        .value_kind:     global_buffer
      - .address_space:  global
        .offset:         32
        .size:           8
        .value_kind:     global_buffer
      - .address_space:  global
        .offset:         40
        .size:           8
        .value_kind:     global_buffer
      - .address_space:  global
        .offset:         48
        .size:           8
        .value_kind:     global_buffer
      - .address_space:  global
        .offset:         56
        .size:           8
        .value_kind:     global_buffer
      - .offset:         64
        .size:           4
        .value_kind:     by_value
      - .offset:         68
        .size:           4
        .value_kind:     by_value
      - .offset:         72
        .size:           4
        .value_kind:     by_value
      - .offset:         76
        .size:           4
        .value_kind:     by_value
      - .offset:         80
        .size:           4
        .value_kind:     by_value
      - .offset:         84
        .size:           4
        .value_kind:     by_value
      - .offset:         88
        .size:           4
        .value_kind:     by_value
      - .offset:         92
        .size:           12
        .value_kind:     by_value
      - .offset:         104
        .size:           4
        .value_kind:     by_value
      - .offset:         108
        .size:           4
        .value_kind:     by_value
      - .offset:         112
        .size:           4
        .value_kind:     by_value
      - .offset:         116
        .size:           4
        .value_kind:     by_value
      - .offset:         120
        .size:           4
        .value_kind:     by_value
      - .offset:         124
        .size:           4
        .value_kind:     by_value
      - .offset:         128
        .size:           4
        .value_kind:     by_value
      - .offset:         132
        .size:           4
        .value_kind:     by_value
      - .offset:         136
        .size:           4
        .value_kind:     by_value
      - .offset:         140
        .size:           4
        .value_kind:     by_value
      - .offset:         144
        .size:           4
        .value_kind:     by_value
      - .offset:         152
        .size:           8
        .value_kind:     by_value
      - .offset:         160
        .size:           4
        .value_kind:     by_value
      - .offset:         164
        .size:           4
        .value_kind:     by_value
      - .offset:         168
        .size:           8
        .value_kind:     by_value
      - .offset:         176
        .size:           4
        .value_kind:     by_value
      - .offset:         180
        .size:           4
        .value_kind:     by_value
      - .offset:         184
        .size:           4
        .value_kind:     by_value
      - .offset:         188
        .size:           4
        .value_kind:     by_value
      - .offset:         192
        .size:           4
        .value_kind:     by_value
      - .offset:         200
        .size:           8
        .value_kind:     by_value
      - .offset:         208
        .size:           4
        .value_kind:     hidden_block_count_x
      - .offset:         212
        .size:           4
        .value_kind:     hidden_block_count_y
      - .offset:         216
        .size:           4
        .value_kind:     hidden_block_count_z
      - .offset:         220
        .size:           2
        .value_kind:     hidden_group_size_x
      - .offset:         222
        .size:           2
        .value_kind:     hidden_group_size_y
      - .offset:         224
        .size:           2
        .value_kind:     hidden_group_size_z
      - .offset:         226
        .size:           2
        .value_kind:     hidden_remainder_x
      - .offset:         228
        .size:           2
        .value_kind:     hidden_remainder_y
      - .offset:         230
        .size:           2
        .value_kind:     hidden_remainder_z
      - .offset:         248
        .size:           8
        .value_kind:     hidden_global_offset_x
      - .offset:         256
        .size:           8
        .value_kind:     hidden_global_offset_y
      - .offset:         264
        .size:           8
        .value_kind:     hidden_global_offset_z
      - .offset:         272
        .size:           2
        .value_kind:     hidden_grid_dims
    .group_segment_fixed_size: 21504
    .kernarg_segment_align: 8
    .kernarg_segment_size: 464
    .language:       OpenCL C
    .language_version:
      - 2
      - 0
    .max_flat_workgroup_size: 128
    .name:           _ZL15flash_attn_tileILi64ELi64ELi4ELi2ELb0EEvPKcS1_S1_S1_S1_PKiPfP15HIP_vector_typeIfLj2EEffffjfiS5_IjLj3EEiiiiiiiiiiiliiliiiiil
    .private_segment_fixed_size: 0
    .sgpr_count:     45
    .sgpr_spill_count: 0
    .symbol:         _ZL15flash_attn_tileILi64ELi64ELi4ELi2ELb0EEvPKcS1_S1_S1_S1_PKiPfP15HIP_vector_typeIfLj2EEffffjfiS5_IjLj3EEiiiiiiiiiiiliiliiiiil.kd
    .uniform_work_group_size: 1
    .uses_dynamic_stack: false
    .vgpr_count:     117
    .vgpr_spill_count: 0
    .wavefront_size: 32
    .workgroup_processor_mode: 1
  - .args:
      - .address_space:  global
        .offset:         0
        .size:           8
        .value_kind:     global_buffer
      - .address_space:  global
        .offset:         8
        .size:           8
        .value_kind:     global_buffer
      - .offset:         16
        .size:           4
        .value_kind:     by_value
      - .offset:         20
        .size:           4
        .value_kind:     by_value
      - .offset:         24
        .size:           4
        .value_kind:     by_value
      - .offset:         28
        .size:           4
        .value_kind:     by_value
      - .offset:         32
        .size:           4
        .value_kind:     by_value
      - .offset:         36
        .size:           4
        .value_kind:     by_value
      - .offset:         40
        .size:           12
        .value_kind:     by_value
      - .offset:         52
        .size:           12
        .value_kind:     by_value
      - .offset:         64
        .size:           12
        .value_kind:     by_value
    .group_segment_fixed_size: 0
    .kernarg_segment_align: 8
    .kernarg_segment_size: 76
    .language:       OpenCL C
    .language_version:
      - 2
      - 0
    .max_flat_workgroup_size: 64
    .name:           _ZL33flash_attn_stream_k_fixup_uniformILi64ELi4ELi2EEvPfPK15HIP_vector_typeIfLj2EEiiiiiiS1_IjLj3EES5_S5_
    .private_segment_fixed_size: 0
    .sgpr_count:     18
    .sgpr_spill_count: 0
    .symbol:         _ZL33flash_attn_stream_k_fixup_uniformILi64ELi4ELi2EEvPfPK15HIP_vector_typeIfLj2EEiiiiiiS1_IjLj3EES5_S5_.kd
    .uniform_work_group_size: 1
    .uses_dynamic_stack: false
    .vgpr_count:     11
    .vgpr_spill_count: 0
    .wavefront_size: 32
    .workgroup_processor_mode: 1
  - .args:
      - .address_space:  global
        .offset:         0
        .size:           8
        .value_kind:     global_buffer
      - .address_space:  global
        .offset:         8
        .size:           8
        .value_kind:     global_buffer
      - .offset:         16
        .size:           4
        .value_kind:     by_value
      - .offset:         20
        .size:           4
        .value_kind:     by_value
      - .offset:         24
        .size:           4
        .value_kind:     by_value
      - .offset:         28
        .size:           4
        .value_kind:     by_value
      - .offset:         32
        .size:           12
        .value_kind:     by_value
      - .offset:         44
        .size:           12
        .value_kind:     by_value
      - .offset:         56
        .size:           12
        .value_kind:     by_value
      - .offset:         68
        .size:           12
        .value_kind:     by_value
      - .offset:         80
        .size:           4
        .value_kind:     hidden_block_count_x
      - .offset:         84
        .size:           4
        .value_kind:     hidden_block_count_y
      - .offset:         88
        .size:           4
        .value_kind:     hidden_block_count_z
      - .offset:         92
        .size:           2
        .value_kind:     hidden_group_size_x
      - .offset:         94
        .size:           2
        .value_kind:     hidden_group_size_y
      - .offset:         96
        .size:           2
        .value_kind:     hidden_group_size_z
      - .offset:         98
        .size:           2
        .value_kind:     hidden_remainder_x
      - .offset:         100
        .size:           2
        .value_kind:     hidden_remainder_y
      - .offset:         102
        .size:           2
        .value_kind:     hidden_remainder_z
      - .offset:         120
        .size:           8
        .value_kind:     hidden_global_offset_x
      - .offset:         128
        .size:           8
        .value_kind:     hidden_global_offset_y
      - .offset:         136
        .size:           8
        .value_kind:     hidden_global_offset_z
      - .offset:         144
        .size:           2
        .value_kind:     hidden_grid_dims
    .group_segment_fixed_size: 0
    .kernarg_segment_align: 8
    .kernarg_segment_size: 336
    .language:       OpenCL C
    .language_version:
      - 2
      - 0
    .max_flat_workgroup_size: 64
    .name:           _ZL33flash_attn_stream_k_fixup_generalILi64ELi4ELi2EEvPfPK15HIP_vector_typeIfLj2EEiiiiS1_IjLj3EES5_S5_S5_
    .private_segment_fixed_size: 0
    .sgpr_count:     46
    .sgpr_spill_count: 0
    .symbol:         _ZL33flash_attn_stream_k_fixup_generalILi64ELi4ELi2EEvPfPK15HIP_vector_typeIfLj2EEiiiiS1_IjLj3EES5_S5_S5_.kd
    .uniform_work_group_size: 1
    .uses_dynamic_stack: false
    .vgpr_count:     9
    .vgpr_spill_count: 0
    .wavefront_size: 32
    .workgroup_processor_mode: 1
  - .args:
      - .address_space:  global
        .offset:         0
        .size:           8
        .value_kind:     global_buffer
      - .address_space:  global
        .offset:         8
        .size:           8
        .value_kind:     global_buffer
      - .address_space:  global
        .offset:         16
        .size:           8
        .value_kind:     global_buffer
      - .address_space:  global
        .offset:         24
        .size:           8
        .value_kind:     global_buffer
      - .address_space:  global
        .offset:         32
        .size:           8
        .value_kind:     global_buffer
      - .address_space:  global
        .offset:         40
        .size:           8
        .value_kind:     global_buffer
      - .address_space:  global
        .offset:         48
        .size:           8
        .value_kind:     global_buffer
      - .address_space:  global
        .offset:         56
        .size:           8
        .value_kind:     global_buffer
      - .offset:         64
        .size:           4
        .value_kind:     by_value
      - .offset:         68
        .size:           4
        .value_kind:     by_value
      - .offset:         72
        .size:           4
        .value_kind:     by_value
      - .offset:         76
        .size:           4
        .value_kind:     by_value
      - .offset:         80
        .size:           4
        .value_kind:     by_value
      - .offset:         84
        .size:           4
        .value_kind:     by_value
      - .offset:         88
        .size:           4
        .value_kind:     by_value
      - .offset:         92
        .size:           12
        .value_kind:     by_value
      - .offset:         104
        .size:           4
        .value_kind:     by_value
      - .offset:         108
        .size:           4
        .value_kind:     by_value
      - .offset:         112
        .size:           4
        .value_kind:     by_value
      - .offset:         116
        .size:           4
        .value_kind:     by_value
      - .offset:         120
        .size:           4
        .value_kind:     by_value
      - .offset:         124
        .size:           4
        .value_kind:     by_value
      - .offset:         128
        .size:           4
        .value_kind:     by_value
      - .offset:         132
        .size:           4
        .value_kind:     by_value
      - .offset:         136
        .size:           4
        .value_kind:     by_value
      - .offset:         140
        .size:           4
        .value_kind:     by_value
      - .offset:         144
        .size:           4
        .value_kind:     by_value
      - .offset:         152
        .size:           8
        .value_kind:     by_value
      - .offset:         160
        .size:           4
        .value_kind:     by_value
      - .offset:         164
        .size:           4
        .value_kind:     by_value
      - .offset:         168
        .size:           8
        .value_kind:     by_value
      - .offset:         176
        .size:           4
        .value_kind:     by_value
      - .offset:         180
        .size:           4
        .value_kind:     by_value
      - .offset:         184
        .size:           4
        .value_kind:     by_value
      - .offset:         188
        .size:           4
        .value_kind:     by_value
      - .offset:         192
        .size:           4
        .value_kind:     by_value
      - .offset:         200
        .size:           8
        .value_kind:     by_value
      - .offset:         208
        .size:           4
        .value_kind:     hidden_block_count_x
      - .offset:         212
        .size:           4
        .value_kind:     hidden_block_count_y
      - .offset:         216
        .size:           4
        .value_kind:     hidden_block_count_z
      - .offset:         220
        .size:           2
        .value_kind:     hidden_group_size_x
      - .offset:         222
        .size:           2
        .value_kind:     hidden_group_size_y
      - .offset:         224
        .size:           2
        .value_kind:     hidden_group_size_z
      - .offset:         226
        .size:           2
        .value_kind:     hidden_remainder_x
      - .offset:         228
        .size:           2
        .value_kind:     hidden_remainder_y
      - .offset:         230
        .size:           2
        .value_kind:     hidden_remainder_z
      - .offset:         248
        .size:           8
        .value_kind:     hidden_global_offset_x
      - .offset:         256
        .size:           8
        .value_kind:     hidden_global_offset_y
      - .offset:         264
        .size:           8
        .value_kind:     hidden_global_offset_z
      - .offset:         272
        .size:           2
        .value_kind:     hidden_grid_dims
    .group_segment_fixed_size: 5376
    .kernarg_segment_align: 8
    .kernarg_segment_size: 464
    .language:       OpenCL C
    .language_version:
      - 2
      - 0
    .max_flat_workgroup_size: 64
    .name:           _ZL15flash_attn_tileILi64ELi64ELi2ELi2ELb0EEvPKcS1_S1_S1_S1_PKiPfP15HIP_vector_typeIfLj2EEffffjfiS5_IjLj3EEiiiiiiiiiiiliiliiiiil
    .private_segment_fixed_size: 0
    .sgpr_count:     44
    .sgpr_spill_count: 0
    .symbol:         _ZL15flash_attn_tileILi64ELi64ELi2ELi2ELb0EEvPKcS1_S1_S1_S1_PKiPfP15HIP_vector_typeIfLj2EEffffjfiS5_IjLj3EEiiiiiiiiiiiliiliiiiil.kd
    .uniform_work_group_size: 1
    .uses_dynamic_stack: false
    .vgpr_count:     130
    .vgpr_spill_count: 0
    .wavefront_size: 32
    .workgroup_processor_mode: 1
  - .args:
      - .address_space:  global
        .offset:         0
        .size:           8
        .value_kind:     global_buffer
      - .address_space:  global
        .offset:         8
        .size:           8
        .value_kind:     global_buffer
      - .offset:         16
        .size:           4
        .value_kind:     by_value
      - .offset:         20
        .size:           4
        .value_kind:     by_value
      - .offset:         24
        .size:           4
        .value_kind:     by_value
      - .offset:         28
        .size:           4
        .value_kind:     by_value
      - .offset:         32
        .size:           4
        .value_kind:     by_value
      - .offset:         36
        .size:           4
        .value_kind:     by_value
      - .offset:         40
        .size:           12
        .value_kind:     by_value
      - .offset:         52
        .size:           12
        .value_kind:     by_value
      - .offset:         64
        .size:           12
        .value_kind:     by_value
    .group_segment_fixed_size: 0
    .kernarg_segment_align: 8
    .kernarg_segment_size: 76
    .language:       OpenCL C
    .language_version:
      - 2
      - 0
    .max_flat_workgroup_size: 64
    .name:           _ZL33flash_attn_stream_k_fixup_uniformILi64ELi2ELi2EEvPfPK15HIP_vector_typeIfLj2EEiiiiiiS1_IjLj3EES5_S5_
    .private_segment_fixed_size: 0
    .sgpr_count:     18
    .sgpr_spill_count: 0
    .symbol:         _ZL33flash_attn_stream_k_fixup_uniformILi64ELi2ELi2EEvPfPK15HIP_vector_typeIfLj2EEiiiiiiS1_IjLj3EES5_S5_.kd
    .uniform_work_group_size: 1
    .uses_dynamic_stack: false
    .vgpr_count:     11
    .vgpr_spill_count: 0
    .wavefront_size: 32
    .workgroup_processor_mode: 1
  - .args:
      - .address_space:  global
        .offset:         0
        .size:           8
        .value_kind:     global_buffer
      - .address_space:  global
        .offset:         8
        .size:           8
        .value_kind:     global_buffer
      - .offset:         16
        .size:           4
        .value_kind:     by_value
      - .offset:         20
        .size:           4
        .value_kind:     by_value
      - .offset:         24
        .size:           4
        .value_kind:     by_value
      - .offset:         28
        .size:           4
        .value_kind:     by_value
      - .offset:         32
        .size:           12
        .value_kind:     by_value
      - .offset:         44
        .size:           12
        .value_kind:     by_value
      - .offset:         56
        .size:           12
        .value_kind:     by_value
      - .offset:         68
        .size:           12
        .value_kind:     by_value
      - .offset:         80
        .size:           4
        .value_kind:     hidden_block_count_x
      - .offset:         84
        .size:           4
        .value_kind:     hidden_block_count_y
      - .offset:         88
        .size:           4
        .value_kind:     hidden_block_count_z
      - .offset:         92
        .size:           2
        .value_kind:     hidden_group_size_x
      - .offset:         94
        .size:           2
        .value_kind:     hidden_group_size_y
      - .offset:         96
        .size:           2
        .value_kind:     hidden_group_size_z
      - .offset:         98
        .size:           2
        .value_kind:     hidden_remainder_x
      - .offset:         100
        .size:           2
        .value_kind:     hidden_remainder_y
      - .offset:         102
        .size:           2
        .value_kind:     hidden_remainder_z
      - .offset:         120
        .size:           8
        .value_kind:     hidden_global_offset_x
      - .offset:         128
        .size:           8
        .value_kind:     hidden_global_offset_y
      - .offset:         136
        .size:           8
        .value_kind:     hidden_global_offset_z
      - .offset:         144
        .size:           2
        .value_kind:     hidden_grid_dims
    .group_segment_fixed_size: 0
    .kernarg_segment_align: 8
    .kernarg_segment_size: 336
    .language:       OpenCL C
    .language_version:
      - 2
      - 0
    .max_flat_workgroup_size: 64
    .name:           _ZL33flash_attn_stream_k_fixup_generalILi64ELi2ELi2EEvPfPK15HIP_vector_typeIfLj2EEiiiiS1_IjLj3EES5_S5_S5_
    .private_segment_fixed_size: 0
    .sgpr_count:     46
    .sgpr_spill_count: 0
    .symbol:         _ZL33flash_attn_stream_k_fixup_generalILi64ELi2ELi2EEvPfPK15HIP_vector_typeIfLj2EEiiiiS1_IjLj3EES5_S5_S5_.kd
    .uniform_work_group_size: 1
    .uses_dynamic_stack: false
    .vgpr_count:     9
    .vgpr_spill_count: 0
    .wavefront_size: 32
    .workgroup_processor_mode: 1
  - .args:
      - .address_space:  global
        .offset:         0
        .size:           8
        .value_kind:     global_buffer
      - .address_space:  global
        .offset:         8
        .size:           8
        .value_kind:     global_buffer
      - .address_space:  global
        .offset:         16
        .size:           8
        .value_kind:     global_buffer
      - .address_space:  global
        .offset:         24
        .size:           8
        .value_kind:     global_buffer
      - .address_space:  global
        .offset:         32
        .size:           8
        .value_kind:     global_buffer
      - .address_space:  global
        .offset:         40
        .size:           8
        .value_kind:     global_buffer
      - .address_space:  global
        .offset:         48
        .size:           8
        .value_kind:     global_buffer
      - .address_space:  global
        .offset:         56
        .size:           8
        .value_kind:     global_buffer
      - .offset:         64
        .size:           4
        .value_kind:     by_value
      - .offset:         68
        .size:           4
        .value_kind:     by_value
      - .offset:         72
        .size:           4
        .value_kind:     by_value
      - .offset:         76
        .size:           4
        .value_kind:     by_value
      - .offset:         80
        .size:           4
        .value_kind:     by_value
      - .offset:         84
        .size:           4
        .value_kind:     by_value
      - .offset:         88
        .size:           4
        .value_kind:     by_value
      - .offset:         92
        .size:           12
        .value_kind:     by_value
      - .offset:         104
        .size:           4
        .value_kind:     by_value
      - .offset:         108
        .size:           4
        .value_kind:     by_value
      - .offset:         112
        .size:           4
        .value_kind:     by_value
      - .offset:         116
        .size:           4
        .value_kind:     by_value
      - .offset:         120
        .size:           4
        .value_kind:     by_value
      - .offset:         124
        .size:           4
        .value_kind:     by_value
      - .offset:         128
        .size:           4
        .value_kind:     by_value
      - .offset:         132
        .size:           4
        .value_kind:     by_value
      - .offset:         136
        .size:           4
        .value_kind:     by_value
      - .offset:         140
        .size:           4
        .value_kind:     by_value
      - .offset:         144
        .size:           4
        .value_kind:     by_value
      - .offset:         152
        .size:           8
        .value_kind:     by_value
      - .offset:         160
        .size:           4
        .value_kind:     by_value
      - .offset:         164
        .size:           4
        .value_kind:     by_value
      - .offset:         168
        .size:           8
        .value_kind:     by_value
      - .offset:         176
        .size:           4
        .value_kind:     by_value
      - .offset:         180
        .size:           4
        .value_kind:     by_value
      - .offset:         184
        .size:           4
        .value_kind:     by_value
      - .offset:         188
        .size:           4
        .value_kind:     by_value
      - .offset:         192
        .size:           4
        .value_kind:     by_value
      - .offset:         200
        .size:           8
        .value_kind:     by_value
      - .offset:         208
        .size:           4
        .value_kind:     hidden_block_count_x
      - .offset:         212
        .size:           4
        .value_kind:     hidden_block_count_y
      - .offset:         216
        .size:           4
        .value_kind:     hidden_block_count_z
      - .offset:         220
        .size:           2
        .value_kind:     hidden_group_size_x
      - .offset:         222
        .size:           2
        .value_kind:     hidden_group_size_y
      - .offset:         224
        .size:           2
        .value_kind:     hidden_group_size_z
      - .offset:         226
        .size:           2
        .value_kind:     hidden_remainder_x
      - .offset:         228
        .size:           2
        .value_kind:     hidden_remainder_y
      - .offset:         230
        .size:           2
        .value_kind:     hidden_remainder_z
      - .offset:         248
        .size:           8
        .value_kind:     hidden_global_offset_x
      - .offset:         256
        .size:           8
        .value_kind:     hidden_global_offset_y
      - .offset:         264
        .size:           8
        .value_kind:     hidden_global_offset_z
      - .offset:         272
        .size:           2
        .value_kind:     hidden_grid_dims
    .group_segment_fixed_size: 4992
    .kernarg_segment_align: 8
    .kernarg_segment_size: 464
    .language:       OpenCL C
    .language_version:
      - 2
      - 0
    .max_flat_workgroup_size: 64
    .name:           _ZL15flash_attn_tileILi64ELi64ELi1ELi2ELb0EEvPKcS1_S1_S1_S1_PKiPfP15HIP_vector_typeIfLj2EEffffjfiS5_IjLj3EEiiiiiiiiiiiliiliiiiil
    .private_segment_fixed_size: 0
    .sgpr_count:     45
    .sgpr_spill_count: 0
    .symbol:         _ZL15flash_attn_tileILi64ELi64ELi1ELi2ELb0EEvPKcS1_S1_S1_S1_PKiPfP15HIP_vector_typeIfLj2EEffffjfiS5_IjLj3EEiiiiiiiiiiiliiliiiiil.kd
    .uniform_work_group_size: 1
    .uses_dynamic_stack: false
    .vgpr_count:     71
    .vgpr_spill_count: 0
    .wavefront_size: 32
    .workgroup_processor_mode: 1
  - .args:
      - .address_space:  global
        .offset:         0
        .size:           8
        .value_kind:     global_buffer
      - .address_space:  global
        .offset:         8
        .size:           8
        .value_kind:     global_buffer
      - .offset:         16
        .size:           4
        .value_kind:     by_value
      - .offset:         20
        .size:           4
        .value_kind:     by_value
      - .offset:         24
        .size:           4
        .value_kind:     by_value
      - .offset:         28
        .size:           4
        .value_kind:     by_value
      - .offset:         32
        .size:           4
        .value_kind:     by_value
      - .offset:         36
        .size:           4
        .value_kind:     by_value
      - .offset:         40
        .size:           12
        .value_kind:     by_value
      - .offset:         52
        .size:           12
        .value_kind:     by_value
      - .offset:         64
        .size:           12
        .value_kind:     by_value
    .group_segment_fixed_size: 0
    .kernarg_segment_align: 8
    .kernarg_segment_size: 76
    .language:       OpenCL C
    .language_version:
      - 2
      - 0
    .max_flat_workgroup_size: 64
    .name:           _ZL33flash_attn_stream_k_fixup_uniformILi64ELi1ELi2EEvPfPK15HIP_vector_typeIfLj2EEiiiiiiS1_IjLj3EES5_S5_
    .private_segment_fixed_size: 0
    .sgpr_count:     22
    .sgpr_spill_count: 0
    .symbol:         _ZL33flash_attn_stream_k_fixup_uniformILi64ELi1ELi2EEvPfPK15HIP_vector_typeIfLj2EEiiiiiiS1_IjLj3EES5_S5_.kd
    .uniform_work_group_size: 1
    .uses_dynamic_stack: false
    .vgpr_count:     11
    .vgpr_spill_count: 0
    .wavefront_size: 32
    .workgroup_processor_mode: 1
  - .args:
      - .address_space:  global
        .offset:         0
        .size:           8
        .value_kind:     global_buffer
      - .address_space:  global
        .offset:         8
        .size:           8
        .value_kind:     global_buffer
      - .offset:         16
        .size:           4
        .value_kind:     by_value
      - .offset:         20
        .size:           4
        .value_kind:     by_value
      - .offset:         24
        .size:           4
        .value_kind:     by_value
      - .offset:         28
        .size:           4
        .value_kind:     by_value
      - .offset:         32
        .size:           12
        .value_kind:     by_value
      - .offset:         44
        .size:           12
        .value_kind:     by_value
      - .offset:         56
        .size:           12
        .value_kind:     by_value
      - .offset:         68
        .size:           12
        .value_kind:     by_value
      - .offset:         80
        .size:           4
        .value_kind:     hidden_block_count_x
      - .offset:         84
        .size:           4
        .value_kind:     hidden_block_count_y
      - .offset:         88
        .size:           4
        .value_kind:     hidden_block_count_z
      - .offset:         92
        .size:           2
        .value_kind:     hidden_group_size_x
      - .offset:         94
        .size:           2
        .value_kind:     hidden_group_size_y
      - .offset:         96
        .size:           2
        .value_kind:     hidden_group_size_z
      - .offset:         98
        .size:           2
        .value_kind:     hidden_remainder_x
      - .offset:         100
        .size:           2
        .value_kind:     hidden_remainder_y
      - .offset:         102
        .size:           2
        .value_kind:     hidden_remainder_z
      - .offset:         120
        .size:           8
        .value_kind:     hidden_global_offset_x
      - .offset:         128
        .size:           8
        .value_kind:     hidden_global_offset_y
      - .offset:         136
        .size:           8
        .value_kind:     hidden_global_offset_z
      - .offset:         144
        .size:           2
        .value_kind:     hidden_grid_dims
    .group_segment_fixed_size: 0
    .kernarg_segment_align: 8
    .kernarg_segment_size: 336
    .language:       OpenCL C
    .language_version:
      - 2
      - 0
    .max_flat_workgroup_size: 64
    .name:           _ZL33flash_attn_stream_k_fixup_generalILi64ELi1ELi2EEvPfPK15HIP_vector_typeIfLj2EEiiiiS1_IjLj3EES5_S5_S5_
    .private_segment_fixed_size: 0
    .sgpr_count:     46
    .sgpr_spill_count: 0
    .symbol:         _ZL33flash_attn_stream_k_fixup_generalILi64ELi1ELi2EEvPfPK15HIP_vector_typeIfLj2EEiiiiS1_IjLj3EES5_S5_S5_.kd
    .uniform_work_group_size: 1
    .uses_dynamic_stack: false
    .vgpr_count:     9
    .vgpr_spill_count: 0
    .wavefront_size: 32
    .workgroup_processor_mode: 1
  - .args:
      - .address_space:  global
        .offset:         0
        .size:           8
        .value_kind:     global_buffer
      - .address_space:  global
        .offset:         8
        .size:           8
        .value_kind:     global_buffer
      - .address_space:  global
        .offset:         16
        .size:           8
        .value_kind:     global_buffer
      - .address_space:  global
        .offset:         24
        .size:           8
        .value_kind:     global_buffer
      - .address_space:  global
        .offset:         32
        .size:           8
        .value_kind:     global_buffer
      - .address_space:  global
        .offset:         40
        .size:           8
        .value_kind:     global_buffer
      - .address_space:  global
        .offset:         48
        .size:           8
        .value_kind:     global_buffer
      - .address_space:  global
        .offset:         56
        .size:           8
        .value_kind:     global_buffer
      - .offset:         64
        .size:           4
        .value_kind:     by_value
      - .offset:         68
        .size:           4
        .value_kind:     by_value
      - .offset:         72
        .size:           4
        .value_kind:     by_value
      - .offset:         76
        .size:           4
        .value_kind:     by_value
      - .offset:         80
        .size:           4
        .value_kind:     by_value
      - .offset:         84
        .size:           4
        .value_kind:     by_value
      - .offset:         88
        .size:           4
        .value_kind:     by_value
      - .offset:         92
        .size:           12
        .value_kind:     by_value
      - .offset:         104
        .size:           4
        .value_kind:     by_value
      - .offset:         108
        .size:           4
        .value_kind:     by_value
      - .offset:         112
        .size:           4
        .value_kind:     by_value
      - .offset:         116
        .size:           4
        .value_kind:     by_value
      - .offset:         120
        .size:           4
        .value_kind:     by_value
      - .offset:         124
        .size:           4
        .value_kind:     by_value
      - .offset:         128
        .size:           4
        .value_kind:     by_value
      - .offset:         132
        .size:           4
        .value_kind:     by_value
      - .offset:         136
        .size:           4
        .value_kind:     by_value
      - .offset:         140
        .size:           4
        .value_kind:     by_value
      - .offset:         144
        .size:           4
        .value_kind:     by_value
      - .offset:         152
        .size:           8
        .value_kind:     by_value
      - .offset:         160
        .size:           4
        .value_kind:     by_value
      - .offset:         164
        .size:           4
        .value_kind:     by_value
      - .offset:         168
        .size:           8
        .value_kind:     by_value
      - .offset:         176
        .size:           4
        .value_kind:     by_value
      - .offset:         180
        .size:           4
        .value_kind:     by_value
      - .offset:         184
        .size:           4
        .value_kind:     by_value
      - .offset:         188
        .size:           4
        .value_kind:     by_value
      - .offset:         192
        .size:           4
        .value_kind:     by_value
      - .offset:         200
        .size:           8
        .value_kind:     by_value
      - .offset:         208
        .size:           4
        .value_kind:     hidden_block_count_x
      - .offset:         212
        .size:           4
        .value_kind:     hidden_block_count_y
      - .offset:         216
        .size:           4
        .value_kind:     hidden_block_count_z
      - .offset:         220
        .size:           2
        .value_kind:     hidden_group_size_x
      - .offset:         222
        .size:           2
        .value_kind:     hidden_group_size_y
      - .offset:         224
        .size:           2
        .value_kind:     hidden_group_size_z
      - .offset:         226
        .size:           2
        .value_kind:     hidden_remainder_x
      - .offset:         228
        .size:           2
        .value_kind:     hidden_remainder_y
      - .offset:         230
        .size:           2
        .value_kind:     hidden_remainder_z
      - .offset:         248
        .size:           8
        .value_kind:     hidden_global_offset_x
      - .offset:         256
        .size:           8
        .value_kind:     hidden_global_offset_y
      - .offset:         264
        .size:           8
        .value_kind:     hidden_global_offset_z
      - .offset:         272
        .size:           2
        .value_kind:     hidden_grid_dims
    .group_segment_fixed_size: 25600
    .kernarg_segment_align: 8
    .kernarg_segment_size: 464
    .language:       OpenCL C
    .language_version:
      - 2
      - 0
    .max_flat_workgroup_size: 128
    .name:           _ZL15flash_attn_tileILi64ELi64ELi64ELi1ELb0EEvPKcS1_S1_S1_S1_PKiPfP15HIP_vector_typeIfLj2EEffffjfiS5_IjLj3EEiiiiiiiiiiiliiliiiiil
    .private_segment_fixed_size: 64
    .sgpr_count:     49
    .sgpr_spill_count: 0
    .symbol:         _ZL15flash_attn_tileILi64ELi64ELi64ELi1ELb0EEvPKcS1_S1_S1_S1_PKiPfP15HIP_vector_typeIfLj2EEffffjfiS5_IjLj3EEiiiiiiiiiiiliiliiiiil.kd
    .uniform_work_group_size: 1
    .uses_dynamic_stack: false
    .vgpr_count:     256
    .vgpr_spill_count: 10
    .wavefront_size: 32
    .workgroup_processor_mode: 1
  - .args:
      - .actual_access:  read_only
        .address_space:  global
        .offset:         0
        .size:           8
        .value_kind:     global_buffer
      - .actual_access:  write_only
        .address_space:  global
        .offset:         8
        .size:           8
        .value_kind:     global_buffer
      - .offset:         16
        .size:           4
        .value_kind:     by_value
      - .offset:         20
        .size:           4
        .value_kind:     by_value
      - .offset:         24
        .size:           4
        .value_kind:     by_value
      - .offset:         32
        .size:           4
        .value_kind:     hidden_block_count_x
      - .offset:         36
        .size:           4
        .value_kind:     hidden_block_count_y
      - .offset:         40
        .size:           4
        .value_kind:     hidden_block_count_z
      - .offset:         44
        .size:           2
        .value_kind:     hidden_group_size_x
      - .offset:         46
        .size:           2
        .value_kind:     hidden_group_size_y
      - .offset:         48
        .size:           2
        .value_kind:     hidden_group_size_z
      - .offset:         50
        .size:           2
        .value_kind:     hidden_remainder_x
      - .offset:         52
        .size:           2
        .value_kind:     hidden_remainder_y
      - .offset:         54
        .size:           2
        .value_kind:     hidden_remainder_z
      - .offset:         72
        .size:           8
        .value_kind:     hidden_global_offset_x
      - .offset:         80
        .size:           8
        .value_kind:     hidden_global_offset_y
      - .offset:         88
        .size:           8
        .value_kind:     hidden_global_offset_z
      - .offset:         96
        .size:           2
        .value_kind:     hidden_grid_dims
    .group_segment_fixed_size: 128
    .kernarg_segment_align: 8
    .kernarg_segment_size: 288
    .language:       OpenCL C
    .language_version:
      - 2
      - 0
    .max_flat_workgroup_size: 128
    .name:           _ZL25flash_attn_mask_to_KV_maxILi64EEvPK7__half2Piiii
    .private_segment_fixed_size: 0
    .sgpr_count:     107
    .sgpr_spill_count: 31
    .symbol:         _ZL25flash_attn_mask_to_KV_maxILi64EEvPK7__half2Piiii.kd
    .uniform_work_group_size: 1
    .uses_dynamic_stack: false
    .vgpr_count:     10
    .vgpr_spill_count: 0
    .wavefront_size: 32
    .workgroup_processor_mode: 1
  - .args:
      - .address_space:  global
        .offset:         0
        .size:           8
        .value_kind:     global_buffer
      - .address_space:  global
        .offset:         8
        .size:           8
        .value_kind:     global_buffer
      - .offset:         16
        .size:           4
        .value_kind:     by_value
      - .offset:         20
        .size:           4
        .value_kind:     by_value
      - .offset:         24
        .size:           4
        .value_kind:     by_value
      - .offset:         28
        .size:           4
        .value_kind:     by_value
      - .offset:         32
        .size:           4
        .value_kind:     by_value
      - .offset:         36
        .size:           4
        .value_kind:     by_value
      - .offset:         40
        .size:           12
        .value_kind:     by_value
      - .offset:         52
        .size:           12
        .value_kind:     by_value
      - .offset:         64
        .size:           12
        .value_kind:     by_value
    .group_segment_fixed_size: 0
    .kernarg_segment_align: 8
    .kernarg_segment_size: 76
    .language:       OpenCL C
    .language_version:
      - 2
      - 0
    .max_flat_workgroup_size: 64
    .name:           _ZL33flash_attn_stream_k_fixup_uniformILi64ELi64ELi1EEvPfPK15HIP_vector_typeIfLj2EEiiiiiiS1_IjLj3EES5_S5_
    .private_segment_fixed_size: 0
    .sgpr_count:     18
    .sgpr_spill_count: 0
    .symbol:         _ZL33flash_attn_stream_k_fixup_uniformILi64ELi64ELi1EEvPfPK15HIP_vector_typeIfLj2EEiiiiiiS1_IjLj3EES5_S5_.kd
    .uniform_work_group_size: 1
    .uses_dynamic_stack: false
    .vgpr_count:     11
    .vgpr_spill_count: 0
    .wavefront_size: 32
    .workgroup_processor_mode: 1
  - .args:
      - .address_space:  global
        .offset:         0
        .size:           8
        .value_kind:     global_buffer
      - .address_space:  global
        .offset:         8
        .size:           8
        .value_kind:     global_buffer
      - .offset:         16
        .size:           4
        .value_kind:     by_value
      - .offset:         20
        .size:           4
        .value_kind:     by_value
      - .offset:         24
        .size:           4
        .value_kind:     by_value
      - .offset:         28
        .size:           4
        .value_kind:     by_value
      - .offset:         32
        .size:           12
        .value_kind:     by_value
      - .offset:         44
        .size:           12
        .value_kind:     by_value
      - .offset:         56
        .size:           12
        .value_kind:     by_value
      - .offset:         68
        .size:           12
        .value_kind:     by_value
      - .offset:         80
        .size:           4
        .value_kind:     hidden_block_count_x
      - .offset:         84
        .size:           4
        .value_kind:     hidden_block_count_y
      - .offset:         88
        .size:           4
        .value_kind:     hidden_block_count_z
      - .offset:         92
        .size:           2
        .value_kind:     hidden_group_size_x
      - .offset:         94
        .size:           2
        .value_kind:     hidden_group_size_y
      - .offset:         96
        .size:           2
        .value_kind:     hidden_group_size_z
      - .offset:         98
        .size:           2
        .value_kind:     hidden_remainder_x
      - .offset:         100
        .size:           2
        .value_kind:     hidden_remainder_y
      - .offset:         102
        .size:           2
        .value_kind:     hidden_remainder_z
      - .offset:         120
        .size:           8
        .value_kind:     hidden_global_offset_x
      - .offset:         128
        .size:           8
        .value_kind:     hidden_global_offset_y
      - .offset:         136
        .size:           8
        .value_kind:     hidden_global_offset_z
      - .offset:         144
        .size:           2
        .value_kind:     hidden_grid_dims
    .group_segment_fixed_size: 0
    .kernarg_segment_align: 8
    .kernarg_segment_size: 336
    .language:       OpenCL C
    .language_version:
      - 2
      - 0
    .max_flat_workgroup_size: 64
    .name:           _ZL33flash_attn_stream_k_fixup_generalILi64ELi64ELi1EEvPfPK15HIP_vector_typeIfLj2EEiiiiS1_IjLj3EES5_S5_S5_
    .private_segment_fixed_size: 0
    .sgpr_count:     46
    .sgpr_spill_count: 0
    .symbol:         _ZL33flash_attn_stream_k_fixup_generalILi64ELi64ELi1EEvPfPK15HIP_vector_typeIfLj2EEiiiiS1_IjLj3EES5_S5_S5_.kd
    .uniform_work_group_size: 1
    .uses_dynamic_stack: false
    .vgpr_count:     9
    .vgpr_spill_count: 0
    .wavefront_size: 32
    .workgroup_processor_mode: 1
  - .args:
      - .address_space:  global
        .offset:         0
        .size:           8
        .value_kind:     global_buffer
      - .address_space:  global
        .offset:         8
        .size:           8
        .value_kind:     global_buffer
      - .address_space:  global
        .offset:         16
        .size:           8
        .value_kind:     global_buffer
      - .address_space:  global
        .offset:         24
        .size:           8
        .value_kind:     global_buffer
      - .address_space:  global
        .offset:         32
        .size:           8
        .value_kind:     global_buffer
      - .address_space:  global
        .offset:         40
        .size:           8
        .value_kind:     global_buffer
      - .address_space:  global
        .offset:         48
        .size:           8
        .value_kind:     global_buffer
      - .address_space:  global
        .offset:         56
        .size:           8
        .value_kind:     global_buffer
      - .offset:         64
        .size:           4
        .value_kind:     by_value
      - .offset:         68
        .size:           4
        .value_kind:     by_value
      - .offset:         72
        .size:           4
        .value_kind:     by_value
      - .offset:         76
        .size:           4
        .value_kind:     by_value
      - .offset:         80
        .size:           4
        .value_kind:     by_value
      - .offset:         84
        .size:           4
        .value_kind:     by_value
      - .offset:         88
        .size:           4
        .value_kind:     by_value
      - .offset:         92
        .size:           12
        .value_kind:     by_value
      - .offset:         104
        .size:           4
        .value_kind:     by_value
      - .offset:         108
        .size:           4
        .value_kind:     by_value
      - .offset:         112
        .size:           4
        .value_kind:     by_value
      - .offset:         116
        .size:           4
        .value_kind:     by_value
      - .offset:         120
        .size:           4
        .value_kind:     by_value
      - .offset:         124
        .size:           4
        .value_kind:     by_value
      - .offset:         128
        .size:           4
        .value_kind:     by_value
      - .offset:         132
        .size:           4
        .value_kind:     by_value
      - .offset:         136
        .size:           4
        .value_kind:     by_value
      - .offset:         140
        .size:           4
        .value_kind:     by_value
      - .offset:         144
        .size:           4
        .value_kind:     by_value
      - .offset:         152
        .size:           8
        .value_kind:     by_value
      - .offset:         160
        .size:           4
        .value_kind:     by_value
      - .offset:         164
        .size:           4
        .value_kind:     by_value
      - .offset:         168
        .size:           8
        .value_kind:     by_value
      - .offset:         176
        .size:           4
        .value_kind:     by_value
      - .offset:         180
        .size:           4
        .value_kind:     by_value
      - .offset:         184
        .size:           4
        .value_kind:     by_value
      - .offset:         188
        .size:           4
        .value_kind:     by_value
      - .offset:         192
        .size:           4
        .value_kind:     by_value
      - .offset:         200
        .size:           8
        .value_kind:     by_value
      - .offset:         208
        .size:           4
        .value_kind:     hidden_block_count_x
      - .offset:         212
        .size:           4
        .value_kind:     hidden_block_count_y
      - .offset:         216
        .size:           4
        .value_kind:     hidden_block_count_z
      - .offset:         220
        .size:           2
        .value_kind:     hidden_group_size_x
      - .offset:         222
        .size:           2
        .value_kind:     hidden_group_size_y
      - .offset:         224
        .size:           2
        .value_kind:     hidden_group_size_z
      - .offset:         226
        .size:           2
        .value_kind:     hidden_remainder_x
      - .offset:         228
        .size:           2
        .value_kind:     hidden_remainder_y
      - .offset:         230
        .size:           2
        .value_kind:     hidden_remainder_z
      - .offset:         248
        .size:           8
        .value_kind:     hidden_global_offset_x
      - .offset:         256
        .size:           8
        .value_kind:     hidden_global_offset_y
      - .offset:         264
        .size:           8
        .value_kind:     hidden_global_offset_z
      - .offset:         272
        .size:           2
        .value_kind:     hidden_grid_dims
    .group_segment_fixed_size: 17408
    .kernarg_segment_align: 8
    .kernarg_segment_size: 464
    .language:       OpenCL C
    .language_version:
      - 2
      - 0
    .max_flat_workgroup_size: 128
    .name:           _ZL15flash_attn_tileILi64ELi64ELi32ELi1ELb0EEvPKcS1_S1_S1_S1_PKiPfP15HIP_vector_typeIfLj2EEffffjfiS5_IjLj3EEiiiiiiiiiiiliiliiiiil
    .private_segment_fixed_size: 32
    .sgpr_count:     49
    .sgpr_spill_count: 0
    .symbol:         _ZL15flash_attn_tileILi64ELi64ELi32ELi1ELb0EEvPKcS1_S1_S1_S1_PKiPfP15HIP_vector_typeIfLj2EEffffjfiS5_IjLj3EEiiiiiiiiiiiliiliiiiil.kd
    .uniform_work_group_size: 1
    .uses_dynamic_stack: false
    .vgpr_count:     155
    .vgpr_spill_count: 0
    .wavefront_size: 32
    .workgroup_processor_mode: 1
  - .args:
      - .address_space:  global
        .offset:         0
        .size:           8
        .value_kind:     global_buffer
      - .address_space:  global
        .offset:         8
        .size:           8
        .value_kind:     global_buffer
      - .offset:         16
        .size:           4
        .value_kind:     by_value
      - .offset:         20
        .size:           4
        .value_kind:     by_value
      - .offset:         24
        .size:           4
        .value_kind:     by_value
      - .offset:         28
        .size:           4
        .value_kind:     by_value
      - .offset:         32
        .size:           4
        .value_kind:     by_value
      - .offset:         36
        .size:           4
        .value_kind:     by_value
      - .offset:         40
        .size:           12
        .value_kind:     by_value
      - .offset:         52
        .size:           12
        .value_kind:     by_value
      - .offset:         64
        .size:           12
        .value_kind:     by_value
    .group_segment_fixed_size: 0
    .kernarg_segment_align: 8
    .kernarg_segment_size: 76
    .language:       OpenCL C
    .language_version:
      - 2
      - 0
    .max_flat_workgroup_size: 64
    .name:           _ZL33flash_attn_stream_k_fixup_uniformILi64ELi32ELi1EEvPfPK15HIP_vector_typeIfLj2EEiiiiiiS1_IjLj3EES5_S5_
    .private_segment_fixed_size: 0
    .sgpr_count:     18
    .sgpr_spill_count: 0
    .symbol:         _ZL33flash_attn_stream_k_fixup_uniformILi64ELi32ELi1EEvPfPK15HIP_vector_typeIfLj2EEiiiiiiS1_IjLj3EES5_S5_.kd
    .uniform_work_group_size: 1
    .uses_dynamic_stack: false
    .vgpr_count:     11
    .vgpr_spill_count: 0
    .wavefront_size: 32
    .workgroup_processor_mode: 1
  - .args:
      - .address_space:  global
        .offset:         0
        .size:           8
        .value_kind:     global_buffer
      - .address_space:  global
        .offset:         8
        .size:           8
        .value_kind:     global_buffer
      - .offset:         16
        .size:           4
        .value_kind:     by_value
      - .offset:         20
        .size:           4
        .value_kind:     by_value
      - .offset:         24
        .size:           4
        .value_kind:     by_value
      - .offset:         28
        .size:           4
        .value_kind:     by_value
      - .offset:         32
        .size:           12
        .value_kind:     by_value
      - .offset:         44
        .size:           12
        .value_kind:     by_value
      - .offset:         56
        .size:           12
        .value_kind:     by_value
      - .offset:         68
        .size:           12
        .value_kind:     by_value
      - .offset:         80
        .size:           4
        .value_kind:     hidden_block_count_x
      - .offset:         84
        .size:           4
        .value_kind:     hidden_block_count_y
      - .offset:         88
        .size:           4
        .value_kind:     hidden_block_count_z
      - .offset:         92
        .size:           2
        .value_kind:     hidden_group_size_x
      - .offset:         94
        .size:           2
        .value_kind:     hidden_group_size_y
      - .offset:         96
        .size:           2
        .value_kind:     hidden_group_size_z
      - .offset:         98
        .size:           2
        .value_kind:     hidden_remainder_x
      - .offset:         100
        .size:           2
        .value_kind:     hidden_remainder_y
      - .offset:         102
        .size:           2
        .value_kind:     hidden_remainder_z
      - .offset:         120
        .size:           8
        .value_kind:     hidden_global_offset_x
      - .offset:         128
        .size:           8
        .value_kind:     hidden_global_offset_y
      - .offset:         136
        .size:           8
        .value_kind:     hidden_global_offset_z
      - .offset:         144
        .size:           2
        .value_kind:     hidden_grid_dims
    .group_segment_fixed_size: 0
    .kernarg_segment_align: 8
    .kernarg_segment_size: 336
    .language:       OpenCL C
    .language_version:
      - 2
      - 0
    .max_flat_workgroup_size: 64
    .name:           _ZL33flash_attn_stream_k_fixup_generalILi64ELi32ELi1EEvPfPK15HIP_vector_typeIfLj2EEiiiiS1_IjLj3EES5_S5_S5_
    .private_segment_fixed_size: 0
    .sgpr_count:     46
    .sgpr_spill_count: 0
    .symbol:         _ZL33flash_attn_stream_k_fixup_generalILi64ELi32ELi1EEvPfPK15HIP_vector_typeIfLj2EEiiiiS1_IjLj3EES5_S5_S5_.kd
    .uniform_work_group_size: 1
    .uses_dynamic_stack: false
    .vgpr_count:     9
    .vgpr_spill_count: 0
    .wavefront_size: 32
    .workgroup_processor_mode: 1
  - .args:
      - .address_space:  global
        .offset:         0
        .size:           8
        .value_kind:     global_buffer
      - .address_space:  global
        .offset:         8
        .size:           8
        .value_kind:     global_buffer
      - .address_space:  global
        .offset:         16
        .size:           8
        .value_kind:     global_buffer
      - .address_space:  global
        .offset:         24
        .size:           8
        .value_kind:     global_buffer
      - .address_space:  global
        .offset:         32
        .size:           8
        .value_kind:     global_buffer
      - .address_space:  global
        .offset:         40
        .size:           8
        .value_kind:     global_buffer
      - .address_space:  global
        .offset:         48
        .size:           8
        .value_kind:     global_buffer
      - .address_space:  global
        .offset:         56
        .size:           8
        .value_kind:     global_buffer
      - .offset:         64
        .size:           4
        .value_kind:     by_value
      - .offset:         68
        .size:           4
        .value_kind:     by_value
      - .offset:         72
        .size:           4
        .value_kind:     by_value
      - .offset:         76
        .size:           4
        .value_kind:     by_value
      - .offset:         80
        .size:           4
        .value_kind:     by_value
      - .offset:         84
        .size:           4
        .value_kind:     by_value
      - .offset:         88
        .size:           4
        .value_kind:     by_value
      - .offset:         92
        .size:           12
        .value_kind:     by_value
      - .offset:         104
        .size:           4
        .value_kind:     by_value
      - .offset:         108
        .size:           4
        .value_kind:     by_value
      - .offset:         112
        .size:           4
        .value_kind:     by_value
      - .offset:         116
        .size:           4
        .value_kind:     by_value
      - .offset:         120
        .size:           4
        .value_kind:     by_value
      - .offset:         124
        .size:           4
        .value_kind:     by_value
      - .offset:         128
        .size:           4
        .value_kind:     by_value
      - .offset:         132
        .size:           4
        .value_kind:     by_value
      - .offset:         136
        .size:           4
        .value_kind:     by_value
      - .offset:         140
        .size:           4
        .value_kind:     by_value
      - .offset:         144
        .size:           4
        .value_kind:     by_value
      - .offset:         152
        .size:           8
        .value_kind:     by_value
      - .offset:         160
        .size:           4
        .value_kind:     by_value
      - .offset:         164
        .size:           4
        .value_kind:     by_value
      - .offset:         168
        .size:           8
        .value_kind:     by_value
      - .offset:         176
        .size:           4
        .value_kind:     by_value
      - .offset:         180
        .size:           4
        .value_kind:     by_value
      - .offset:         184
        .size:           4
        .value_kind:     by_value
      - .offset:         188
        .size:           4
        .value_kind:     by_value
      - .offset:         192
        .size:           4
        .value_kind:     by_value
      - .offset:         200
        .size:           8
        .value_kind:     by_value
      - .offset:         208
        .size:           4
        .value_kind:     hidden_block_count_x
      - .offset:         212
        .size:           4
        .value_kind:     hidden_block_count_y
      - .offset:         216
        .size:           4
        .value_kind:     hidden_block_count_z
      - .offset:         220
        .size:           2
        .value_kind:     hidden_group_size_x
      - .offset:         222
        .size:           2
        .value_kind:     hidden_group_size_y
      - .offset:         224
        .size:           2
        .value_kind:     hidden_group_size_z
      - .offset:         226
        .size:           2
        .value_kind:     hidden_remainder_x
      - .offset:         228
        .size:           2
        .value_kind:     hidden_remainder_y
      - .offset:         230
        .size:           2
        .value_kind:     hidden_remainder_z
      - .offset:         248
        .size:           8
        .value_kind:     hidden_global_offset_x
      - .offset:         256
        .size:           8
        .value_kind:     hidden_global_offset_y
      - .offset:         264
        .size:           8
        .value_kind:     hidden_global_offset_z
      - .offset:         272
        .size:           2
        .value_kind:     hidden_grid_dims
    .group_segment_fixed_size: 24576
    .kernarg_segment_align: 8
    .kernarg_segment_size: 464
    .language:       OpenCL C
    .language_version:
      - 2
      - 0
    .max_flat_workgroup_size: 128
    .name:           _ZL15flash_attn_tileILi64ELi64ELi16ELi1ELb0EEvPKcS1_S1_S1_S1_PKiPfP15HIP_vector_typeIfLj2EEffffjfiS5_IjLj3EEiiiiiiiiiiiliiliiiiil
    .private_segment_fixed_size: 32
    .sgpr_count:     50
    .sgpr_spill_count: 0
    .symbol:         _ZL15flash_attn_tileILi64ELi64ELi16ELi1ELb0EEvPKcS1_S1_S1_S1_PKiPfP15HIP_vector_typeIfLj2EEffffjfiS5_IjLj3EEiiiiiiiiiiiliiliiiiil.kd
    .uniform_work_group_size: 1
    .uses_dynamic_stack: false
    .vgpr_count:     157
    .vgpr_spill_count: 0
    .wavefront_size: 32
    .workgroup_processor_mode: 1
  - .args:
      - .address_space:  global
        .offset:         0
        .size:           8
        .value_kind:     global_buffer
      - .address_space:  global
        .offset:         8
        .size:           8
        .value_kind:     global_buffer
      - .offset:         16
        .size:           4
        .value_kind:     by_value
      - .offset:         20
        .size:           4
        .value_kind:     by_value
      - .offset:         24
        .size:           4
        .value_kind:     by_value
      - .offset:         28
        .size:           4
        .value_kind:     by_value
      - .offset:         32
        .size:           4
        .value_kind:     by_value
      - .offset:         36
        .size:           4
        .value_kind:     by_value
      - .offset:         40
        .size:           12
        .value_kind:     by_value
      - .offset:         52
        .size:           12
        .value_kind:     by_value
      - .offset:         64
        .size:           12
        .value_kind:     by_value
    .group_segment_fixed_size: 0
    .kernarg_segment_align: 8
    .kernarg_segment_size: 76
    .language:       OpenCL C
    .language_version:
      - 2
      - 0
    .max_flat_workgroup_size: 64
    .name:           _ZL33flash_attn_stream_k_fixup_uniformILi64ELi16ELi1EEvPfPK15HIP_vector_typeIfLj2EEiiiiiiS1_IjLj3EES5_S5_
    .private_segment_fixed_size: 0
    .sgpr_count:     18
    .sgpr_spill_count: 0
    .symbol:         _ZL33flash_attn_stream_k_fixup_uniformILi64ELi16ELi1EEvPfPK15HIP_vector_typeIfLj2EEiiiiiiS1_IjLj3EES5_S5_.kd
    .uniform_work_group_size: 1
    .uses_dynamic_stack: false
    .vgpr_count:     11
    .vgpr_spill_count: 0
    .wavefront_size: 32
    .workgroup_processor_mode: 1
  - .args:
      - .address_space:  global
        .offset:         0
        .size:           8
        .value_kind:     global_buffer
      - .address_space:  global
        .offset:         8
        .size:           8
        .value_kind:     global_buffer
      - .offset:         16
        .size:           4
        .value_kind:     by_value
      - .offset:         20
        .size:           4
        .value_kind:     by_value
      - .offset:         24
        .size:           4
        .value_kind:     by_value
      - .offset:         28
        .size:           4
        .value_kind:     by_value
      - .offset:         32
        .size:           12
        .value_kind:     by_value
      - .offset:         44
        .size:           12
        .value_kind:     by_value
      - .offset:         56
        .size:           12
        .value_kind:     by_value
      - .offset:         68
        .size:           12
        .value_kind:     by_value
      - .offset:         80
        .size:           4
        .value_kind:     hidden_block_count_x
      - .offset:         84
        .size:           4
        .value_kind:     hidden_block_count_y
      - .offset:         88
        .size:           4
        .value_kind:     hidden_block_count_z
      - .offset:         92
        .size:           2
        .value_kind:     hidden_group_size_x
      - .offset:         94
        .size:           2
        .value_kind:     hidden_group_size_y
      - .offset:         96
        .size:           2
        .value_kind:     hidden_group_size_z
      - .offset:         98
        .size:           2
        .value_kind:     hidden_remainder_x
      - .offset:         100
        .size:           2
        .value_kind:     hidden_remainder_y
      - .offset:         102
        .size:           2
        .value_kind:     hidden_remainder_z
      - .offset:         120
        .size:           8
        .value_kind:     hidden_global_offset_x
      - .offset:         128
        .size:           8
        .value_kind:     hidden_global_offset_y
      - .offset:         136
        .size:           8
        .value_kind:     hidden_global_offset_z
      - .offset:         144
        .size:           2
        .value_kind:     hidden_grid_dims
    .group_segment_fixed_size: 0
    .kernarg_segment_align: 8
    .kernarg_segment_size: 336
    .language:       OpenCL C
    .language_version:
      - 2
      - 0
    .max_flat_workgroup_size: 64
    .name:           _ZL33flash_attn_stream_k_fixup_generalILi64ELi16ELi1EEvPfPK15HIP_vector_typeIfLj2EEiiiiS1_IjLj3EES5_S5_S5_
    .private_segment_fixed_size: 0
    .sgpr_count:     46
    .sgpr_spill_count: 0
    .symbol:         _ZL33flash_attn_stream_k_fixup_generalILi64ELi16ELi1EEvPfPK15HIP_vector_typeIfLj2EEiiiiS1_IjLj3EES5_S5_S5_.kd
    .uniform_work_group_size: 1
    .uses_dynamic_stack: false
    .vgpr_count:     9
    .vgpr_spill_count: 0
    .wavefront_size: 32
    .workgroup_processor_mode: 1
  - .args:
      - .address_space:  global
        .offset:         0
        .size:           8
        .value_kind:     global_buffer
      - .address_space:  global
        .offset:         8
        .size:           8
        .value_kind:     global_buffer
      - .address_space:  global
        .offset:         16
        .size:           8
        .value_kind:     global_buffer
      - .address_space:  global
        .offset:         24
        .size:           8
        .value_kind:     global_buffer
      - .address_space:  global
        .offset:         32
        .size:           8
        .value_kind:     global_buffer
      - .address_space:  global
        .offset:         40
        .size:           8
        .value_kind:     global_buffer
      - .address_space:  global
        .offset:         48
        .size:           8
        .value_kind:     global_buffer
      - .address_space:  global
        .offset:         56
        .size:           8
        .value_kind:     global_buffer
      - .offset:         64
        .size:           4
        .value_kind:     by_value
      - .offset:         68
        .size:           4
        .value_kind:     by_value
      - .offset:         72
        .size:           4
        .value_kind:     by_value
      - .offset:         76
        .size:           4
        .value_kind:     by_value
      - .offset:         80
        .size:           4
        .value_kind:     by_value
      - .offset:         84
        .size:           4
        .value_kind:     by_value
      - .offset:         88
        .size:           4
        .value_kind:     by_value
      - .offset:         92
        .size:           12
        .value_kind:     by_value
      - .offset:         104
        .size:           4
        .value_kind:     by_value
      - .offset:         108
        .size:           4
        .value_kind:     by_value
      - .offset:         112
        .size:           4
        .value_kind:     by_value
      - .offset:         116
        .size:           4
        .value_kind:     by_value
      - .offset:         120
        .size:           4
        .value_kind:     by_value
      - .offset:         124
        .size:           4
        .value_kind:     by_value
      - .offset:         128
        .size:           4
        .value_kind:     by_value
      - .offset:         132
        .size:           4
        .value_kind:     by_value
      - .offset:         136
        .size:           4
        .value_kind:     by_value
      - .offset:         140
        .size:           4
        .value_kind:     by_value
      - .offset:         144
        .size:           4
        .value_kind:     by_value
      - .offset:         152
        .size:           8
        .value_kind:     by_value
      - .offset:         160
        .size:           4
        .value_kind:     by_value
      - .offset:         164
        .size:           4
        .value_kind:     by_value
      - .offset:         168
        .size:           8
        .value_kind:     by_value
      - .offset:         176
        .size:           4
        .value_kind:     by_value
      - .offset:         180
        .size:           4
        .value_kind:     by_value
      - .offset:         184
        .size:           4
        .value_kind:     by_value
      - .offset:         188
        .size:           4
        .value_kind:     by_value
      - .offset:         192
        .size:           4
        .value_kind:     by_value
      - .offset:         200
        .size:           8
        .value_kind:     by_value
      - .offset:         208
        .size:           4
        .value_kind:     hidden_block_count_x
      - .offset:         212
        .size:           4
        .value_kind:     hidden_block_count_y
      - .offset:         216
        .size:           4
        .value_kind:     hidden_block_count_z
      - .offset:         220
        .size:           2
        .value_kind:     hidden_group_size_x
      - .offset:         222
        .size:           2
        .value_kind:     hidden_group_size_y
      - .offset:         224
        .size:           2
        .value_kind:     hidden_group_size_z
      - .offset:         226
        .size:           2
        .value_kind:     hidden_remainder_x
      - .offset:         228
        .size:           2
        .value_kind:     hidden_remainder_y
      - .offset:         230
        .size:           2
        .value_kind:     hidden_remainder_z
      - .offset:         248
        .size:           8
        .value_kind:     hidden_global_offset_x
      - .offset:         256
        .size:           8
        .value_kind:     hidden_global_offset_y
      - .offset:         264
        .size:           8
        .value_kind:     hidden_global_offset_z
      - .offset:         272
        .size:           2
        .value_kind:     hidden_grid_dims
    .group_segment_fixed_size: 21504
    .kernarg_segment_align: 8
    .kernarg_segment_size: 464
    .language:       OpenCL C
    .language_version:
      - 2
      - 0
    .max_flat_workgroup_size: 128
    .name:           _ZL15flash_attn_tileILi64ELi64ELi8ELi1ELb0EEvPKcS1_S1_S1_S1_PKiPfP15HIP_vector_typeIfLj2EEffffjfiS5_IjLj3EEiiiiiiiiiiiliiliiiiil
    .private_segment_fixed_size: 48
    .sgpr_count:     49
    .sgpr_spill_count: 0
    .symbol:         _ZL15flash_attn_tileILi64ELi64ELi8ELi1ELb0EEvPKcS1_S1_S1_S1_PKiPfP15HIP_vector_typeIfLj2EEffffjfiS5_IjLj3EEiiiiiiiiiiiliiliiiiil.kd
    .uniform_work_group_size: 1
    .uses_dynamic_stack: false
    .vgpr_count:     256
    .vgpr_spill_count: 6
    .wavefront_size: 32
    .workgroup_processor_mode: 1
  - .args:
      - .address_space:  global
        .offset:         0
        .size:           8
        .value_kind:     global_buffer
      - .address_space:  global
        .offset:         8
        .size:           8
        .value_kind:     global_buffer
      - .offset:         16
        .size:           4
        .value_kind:     by_value
      - .offset:         20
        .size:           4
        .value_kind:     by_value
      - .offset:         24
        .size:           4
        .value_kind:     by_value
      - .offset:         28
        .size:           4
        .value_kind:     by_value
      - .offset:         32
        .size:           4
        .value_kind:     by_value
      - .offset:         36
        .size:           4
        .value_kind:     by_value
      - .offset:         40
        .size:           12
        .value_kind:     by_value
      - .offset:         52
        .size:           12
        .value_kind:     by_value
      - .offset:         64
        .size:           12
        .value_kind:     by_value
    .group_segment_fixed_size: 0
    .kernarg_segment_align: 8
    .kernarg_segment_size: 76
    .language:       OpenCL C
    .language_version:
      - 2
      - 0
    .max_flat_workgroup_size: 64
    .name:           _ZL33flash_attn_stream_k_fixup_uniformILi64ELi8ELi1EEvPfPK15HIP_vector_typeIfLj2EEiiiiiiS1_IjLj3EES5_S5_
    .private_segment_fixed_size: 0
    .sgpr_count:     18
    .sgpr_spill_count: 0
    .symbol:         _ZL33flash_attn_stream_k_fixup_uniformILi64ELi8ELi1EEvPfPK15HIP_vector_typeIfLj2EEiiiiiiS1_IjLj3EES5_S5_.kd
    .uniform_work_group_size: 1
    .uses_dynamic_stack: false
    .vgpr_count:     11
    .vgpr_spill_count: 0
    .wavefront_size: 32
    .workgroup_processor_mode: 1
  - .args:
      - .address_space:  global
        .offset:         0
        .size:           8
        .value_kind:     global_buffer
      - .address_space:  global
        .offset:         8
        .size:           8
        .value_kind:     global_buffer
      - .offset:         16
        .size:           4
        .value_kind:     by_value
      - .offset:         20
        .size:           4
        .value_kind:     by_value
      - .offset:         24
        .size:           4
        .value_kind:     by_value
      - .offset:         28
        .size:           4
        .value_kind:     by_value
      - .offset:         32
        .size:           12
        .value_kind:     by_value
      - .offset:         44
        .size:           12
        .value_kind:     by_value
      - .offset:         56
        .size:           12
        .value_kind:     by_value
      - .offset:         68
        .size:           12
        .value_kind:     by_value
      - .offset:         80
        .size:           4
        .value_kind:     hidden_block_count_x
      - .offset:         84
        .size:           4
        .value_kind:     hidden_block_count_y
      - .offset:         88
        .size:           4
        .value_kind:     hidden_block_count_z
      - .offset:         92
        .size:           2
        .value_kind:     hidden_group_size_x
      - .offset:         94
        .size:           2
        .value_kind:     hidden_group_size_y
      - .offset:         96
        .size:           2
        .value_kind:     hidden_group_size_z
      - .offset:         98
        .size:           2
        .value_kind:     hidden_remainder_x
      - .offset:         100
        .size:           2
        .value_kind:     hidden_remainder_y
      - .offset:         102
        .size:           2
        .value_kind:     hidden_remainder_z
      - .offset:         120
        .size:           8
        .value_kind:     hidden_global_offset_x
      - .offset:         128
        .size:           8
        .value_kind:     hidden_global_offset_y
      - .offset:         136
        .size:           8
        .value_kind:     hidden_global_offset_z
      - .offset:         144
        .size:           2
        .value_kind:     hidden_grid_dims
    .group_segment_fixed_size: 0
    .kernarg_segment_align: 8
    .kernarg_segment_size: 336
    .language:       OpenCL C
    .language_version:
      - 2
      - 0
    .max_flat_workgroup_size: 64
    .name:           _ZL33flash_attn_stream_k_fixup_generalILi64ELi8ELi1EEvPfPK15HIP_vector_typeIfLj2EEiiiiS1_IjLj3EES5_S5_S5_
    .private_segment_fixed_size: 0
    .sgpr_count:     46
    .sgpr_spill_count: 0
    .symbol:         _ZL33flash_attn_stream_k_fixup_generalILi64ELi8ELi1EEvPfPK15HIP_vector_typeIfLj2EEiiiiS1_IjLj3EES5_S5_S5_.kd
    .uniform_work_group_size: 1
    .uses_dynamic_stack: false
    .vgpr_count:     9
    .vgpr_spill_count: 0
    .wavefront_size: 32
    .workgroup_processor_mode: 1
  - .args:
      - .address_space:  global
        .offset:         0
        .size:           8
        .value_kind:     global_buffer
      - .address_space:  global
        .offset:         8
        .size:           8
        .value_kind:     global_buffer
      - .address_space:  global
        .offset:         16
        .size:           8
        .value_kind:     global_buffer
      - .address_space:  global
        .offset:         24
        .size:           8
        .value_kind:     global_buffer
      - .address_space:  global
        .offset:         32
        .size:           8
        .value_kind:     global_buffer
      - .address_space:  global
        .offset:         40
        .size:           8
        .value_kind:     global_buffer
      - .address_space:  global
        .offset:         48
        .size:           8
        .value_kind:     global_buffer
      - .address_space:  global
        .offset:         56
        .size:           8
        .value_kind:     global_buffer
      - .offset:         64
        .size:           4
        .value_kind:     by_value
      - .offset:         68
        .size:           4
        .value_kind:     by_value
      - .offset:         72
        .size:           4
        .value_kind:     by_value
      - .offset:         76
        .size:           4
        .value_kind:     by_value
      - .offset:         80
        .size:           4
        .value_kind:     by_value
      - .offset:         84
        .size:           4
        .value_kind:     by_value
      - .offset:         88
        .size:           4
        .value_kind:     by_value
      - .offset:         92
        .size:           12
        .value_kind:     by_value
      - .offset:         104
        .size:           4
        .value_kind:     by_value
      - .offset:         108
        .size:           4
        .value_kind:     by_value
      - .offset:         112
        .size:           4
        .value_kind:     by_value
      - .offset:         116
        .size:           4
        .value_kind:     by_value
      - .offset:         120
        .size:           4
        .value_kind:     by_value
      - .offset:         124
        .size:           4
        .value_kind:     by_value
      - .offset:         128
        .size:           4
        .value_kind:     by_value
      - .offset:         132
        .size:           4
        .value_kind:     by_value
      - .offset:         136
        .size:           4
        .value_kind:     by_value
      - .offset:         140
        .size:           4
        .value_kind:     by_value
      - .offset:         144
        .size:           4
        .value_kind:     by_value
      - .offset:         152
        .size:           8
        .value_kind:     by_value
      - .offset:         160
        .size:           4
        .value_kind:     by_value
      - .offset:         164
        .size:           4
        .value_kind:     by_value
      - .offset:         168
        .size:           8
        .value_kind:     by_value
      - .offset:         176
        .size:           4
        .value_kind:     by_value
      - .offset:         180
        .size:           4
        .value_kind:     by_value
      - .offset:         184
        .size:           4
        .value_kind:     by_value
      - .offset:         188
        .size:           4
        .value_kind:     by_value
      - .offset:         192
        .size:           4
        .value_kind:     by_value
      - .offset:         200
        .size:           8
        .value_kind:     by_value
      - .offset:         208
        .size:           4
        .value_kind:     hidden_block_count_x
      - .offset:         212
        .size:           4
        .value_kind:     hidden_block_count_y
      - .offset:         216
        .size:           4
        .value_kind:     hidden_block_count_z
      - .offset:         220
        .size:           2
        .value_kind:     hidden_group_size_x
      - .offset:         222
        .size:           2
        .value_kind:     hidden_group_size_y
      - .offset:         224
        .size:           2
        .value_kind:     hidden_group_size_z
      - .offset:         226
        .size:           2
        .value_kind:     hidden_remainder_x
      - .offset:         228
        .size:           2
        .value_kind:     hidden_remainder_y
      - .offset:         230
        .size:           2
        .value_kind:     hidden_remainder_z
      - .offset:         248
        .size:           8
        .value_kind:     hidden_global_offset_x
      - .offset:         256
        .size:           8
        .value_kind:     hidden_global_offset_y
      - .offset:         264
        .size:           8
        .value_kind:     hidden_global_offset_z
      - .offset:         272
        .size:           2
        .value_kind:     hidden_grid_dims
    .group_segment_fixed_size: 5376
    .kernarg_segment_align: 8
    .kernarg_segment_size: 464
    .language:       OpenCL C
    .language_version:
      - 2
      - 0
    .max_flat_workgroup_size: 64
    .name:           _ZL15flash_attn_tileILi64ELi64ELi4ELi1ELb0EEvPKcS1_S1_S1_S1_PKiPfP15HIP_vector_typeIfLj2EEffffjfiS5_IjLj3EEiiiiiiiiiiiliiliiiiil
    .private_segment_fixed_size: 32
    .sgpr_count:     49
    .sgpr_spill_count: 0
    .symbol:         _ZL15flash_attn_tileILi64ELi64ELi4ELi1ELb0EEvPKcS1_S1_S1_S1_PKiPfP15HIP_vector_typeIfLj2EEffffjfiS5_IjLj3EEiiiiiiiiiiiliiliiiiil.kd
    .uniform_work_group_size: 1
    .uses_dynamic_stack: false
    .vgpr_count:     137
    .vgpr_spill_count: 0
    .wavefront_size: 32
    .workgroup_processor_mode: 1
  - .args:
      - .address_space:  global
        .offset:         0
        .size:           8
        .value_kind:     global_buffer
      - .address_space:  global
        .offset:         8
        .size:           8
        .value_kind:     global_buffer
      - .offset:         16
        .size:           4
        .value_kind:     by_value
      - .offset:         20
        .size:           4
        .value_kind:     by_value
      - .offset:         24
        .size:           4
        .value_kind:     by_value
      - .offset:         28
        .size:           4
        .value_kind:     by_value
      - .offset:         32
        .size:           4
        .value_kind:     by_value
      - .offset:         36
        .size:           4
        .value_kind:     by_value
      - .offset:         40
        .size:           12
        .value_kind:     by_value
      - .offset:         52
        .size:           12
        .value_kind:     by_value
      - .offset:         64
        .size:           12
        .value_kind:     by_value
    .group_segment_fixed_size: 0
    .kernarg_segment_align: 8
    .kernarg_segment_size: 76
    .language:       OpenCL C
    .language_version:
      - 2
      - 0
    .max_flat_workgroup_size: 64
    .name:           _ZL33flash_attn_stream_k_fixup_uniformILi64ELi4ELi1EEvPfPK15HIP_vector_typeIfLj2EEiiiiiiS1_IjLj3EES5_S5_
    .private_segment_fixed_size: 0
    .sgpr_count:     18
    .sgpr_spill_count: 0
    .symbol:         _ZL33flash_attn_stream_k_fixup_uniformILi64ELi4ELi1EEvPfPK15HIP_vector_typeIfLj2EEiiiiiiS1_IjLj3EES5_S5_.kd
    .uniform_work_group_size: 1
    .uses_dynamic_stack: false
    .vgpr_count:     11
    .vgpr_spill_count: 0
    .wavefront_size: 32
    .workgroup_processor_mode: 1
  - .args:
      - .address_space:  global
        .offset:         0
        .size:           8
        .value_kind:     global_buffer
      - .address_space:  global
        .offset:         8
        .size:           8
        .value_kind:     global_buffer
      - .offset:         16
        .size:           4
        .value_kind:     by_value
      - .offset:         20
        .size:           4
        .value_kind:     by_value
      - .offset:         24
        .size:           4
        .value_kind:     by_value
      - .offset:         28
        .size:           4
        .value_kind:     by_value
      - .offset:         32
        .size:           12
        .value_kind:     by_value
      - .offset:         44
        .size:           12
        .value_kind:     by_value
      - .offset:         56
        .size:           12
        .value_kind:     by_value
      - .offset:         68
        .size:           12
        .value_kind:     by_value
      - .offset:         80
        .size:           4
        .value_kind:     hidden_block_count_x
      - .offset:         84
        .size:           4
        .value_kind:     hidden_block_count_y
      - .offset:         88
        .size:           4
        .value_kind:     hidden_block_count_z
      - .offset:         92
        .size:           2
        .value_kind:     hidden_group_size_x
      - .offset:         94
        .size:           2
        .value_kind:     hidden_group_size_y
      - .offset:         96
        .size:           2
        .value_kind:     hidden_group_size_z
      - .offset:         98
        .size:           2
        .value_kind:     hidden_remainder_x
      - .offset:         100
        .size:           2
        .value_kind:     hidden_remainder_y
      - .offset:         102
        .size:           2
        .value_kind:     hidden_remainder_z
      - .offset:         120
        .size:           8
        .value_kind:     hidden_global_offset_x
      - .offset:         128
        .size:           8
        .value_kind:     hidden_global_offset_y
      - .offset:         136
        .size:           8
        .value_kind:     hidden_global_offset_z
      - .offset:         144
        .size:           2
        .value_kind:     hidden_grid_dims
    .group_segment_fixed_size: 0
    .kernarg_segment_align: 8
    .kernarg_segment_size: 336
    .language:       OpenCL C
    .language_version:
      - 2
      - 0
    .max_flat_workgroup_size: 64
    .name:           _ZL33flash_attn_stream_k_fixup_generalILi64ELi4ELi1EEvPfPK15HIP_vector_typeIfLj2EEiiiiS1_IjLj3EES5_S5_S5_
    .private_segment_fixed_size: 0
    .sgpr_count:     46
    .sgpr_spill_count: 0
    .symbol:         _ZL33flash_attn_stream_k_fixup_generalILi64ELi4ELi1EEvPfPK15HIP_vector_typeIfLj2EEiiiiS1_IjLj3EES5_S5_S5_.kd
    .uniform_work_group_size: 1
    .uses_dynamic_stack: false
    .vgpr_count:     9
    .vgpr_spill_count: 0
    .wavefront_size: 32
    .workgroup_processor_mode: 1
  - .args:
      - .address_space:  global
        .offset:         0
        .size:           8
        .value_kind:     global_buffer
      - .address_space:  global
        .offset:         8
        .size:           8
        .value_kind:     global_buffer
      - .address_space:  global
        .offset:         16
        .size:           8
        .value_kind:     global_buffer
      - .address_space:  global
        .offset:         24
        .size:           8
        .value_kind:     global_buffer
      - .address_space:  global
        .offset:         32
        .size:           8
        .value_kind:     global_buffer
      - .address_space:  global
        .offset:         40
        .size:           8
        .value_kind:     global_buffer
      - .address_space:  global
        .offset:         48
        .size:           8
        .value_kind:     global_buffer
      - .address_space:  global
        .offset:         56
        .size:           8
        .value_kind:     global_buffer
      - .offset:         64
        .size:           4
        .value_kind:     by_value
      - .offset:         68
        .size:           4
        .value_kind:     by_value
      - .offset:         72
        .size:           4
        .value_kind:     by_value
      - .offset:         76
        .size:           4
        .value_kind:     by_value
      - .offset:         80
        .size:           4
        .value_kind:     by_value
      - .offset:         84
        .size:           4
        .value_kind:     by_value
      - .offset:         88
        .size:           4
        .value_kind:     by_value
      - .offset:         92
        .size:           12
        .value_kind:     by_value
      - .offset:         104
        .size:           4
        .value_kind:     by_value
      - .offset:         108
        .size:           4
        .value_kind:     by_value
      - .offset:         112
        .size:           4
        .value_kind:     by_value
      - .offset:         116
        .size:           4
        .value_kind:     by_value
      - .offset:         120
        .size:           4
        .value_kind:     by_value
      - .offset:         124
        .size:           4
        .value_kind:     by_value
      - .offset:         128
        .size:           4
        .value_kind:     by_value
      - .offset:         132
        .size:           4
        .value_kind:     by_value
      - .offset:         136
        .size:           4
        .value_kind:     by_value
      - .offset:         140
        .size:           4
        .value_kind:     by_value
      - .offset:         144
        .size:           4
        .value_kind:     by_value
      - .offset:         152
        .size:           8
        .value_kind:     by_value
      - .offset:         160
        .size:           4
        .value_kind:     by_value
      - .offset:         164
        .size:           4
        .value_kind:     by_value
      - .offset:         168
        .size:           8
        .value_kind:     by_value
      - .offset:         176
        .size:           4
        .value_kind:     by_value
      - .offset:         180
        .size:           4
        .value_kind:     by_value
      - .offset:         184
        .size:           4
        .value_kind:     by_value
      - .offset:         188
        .size:           4
        .value_kind:     by_value
      - .offset:         192
        .size:           4
        .value_kind:     by_value
      - .offset:         200
        .size:           8
        .value_kind:     by_value
      - .offset:         208
        .size:           4
        .value_kind:     hidden_block_count_x
      - .offset:         212
        .size:           4
        .value_kind:     hidden_block_count_y
      - .offset:         216
        .size:           4
        .value_kind:     hidden_block_count_z
      - .offset:         220
        .size:           2
        .value_kind:     hidden_group_size_x
      - .offset:         222
        .size:           2
        .value_kind:     hidden_group_size_y
      - .offset:         224
        .size:           2
        .value_kind:     hidden_group_size_z
      - .offset:         226
        .size:           2
        .value_kind:     hidden_remainder_x
      - .offset:         228
        .size:           2
        .value_kind:     hidden_remainder_y
      - .offset:         230
        .size:           2
        .value_kind:     hidden_remainder_z
      - .offset:         248
        .size:           8
        .value_kind:     hidden_global_offset_x
      - .offset:         256
        .size:           8
        .value_kind:     hidden_global_offset_y
      - .offset:         264
        .size:           8
        .value_kind:     hidden_global_offset_z
      - .offset:         272
        .size:           2
        .value_kind:     hidden_grid_dims
    .group_segment_fixed_size: 4992
    .kernarg_segment_align: 8
    .kernarg_segment_size: 464
    .language:       OpenCL C
    .language_version:
      - 2
      - 0
    .max_flat_workgroup_size: 64
    .name:           _ZL15flash_attn_tileILi64ELi64ELi2ELi1ELb0EEvPKcS1_S1_S1_S1_PKiPfP15HIP_vector_typeIfLj2EEffffjfiS5_IjLj3EEiiiiiiiiiiiliiliiiiil
    .private_segment_fixed_size: 32
    .sgpr_count:     49
    .sgpr_spill_count: 0
    .symbol:         _ZL15flash_attn_tileILi64ELi64ELi2ELi1ELb0EEvPKcS1_S1_S1_S1_PKiPfP15HIP_vector_typeIfLj2EEffffjfiS5_IjLj3EEiiiiiiiiiiiliiliiiiil.kd
    .uniform_work_group_size: 1
    .uses_dynamic_stack: false
    .vgpr_count:     64
    .vgpr_spill_count: 0
    .wavefront_size: 32
    .workgroup_processor_mode: 1
  - .args:
      - .address_space:  global
        .offset:         0
        .size:           8
        .value_kind:     global_buffer
      - .address_space:  global
        .offset:         8
        .size:           8
        .value_kind:     global_buffer
      - .offset:         16
        .size:           4
        .value_kind:     by_value
      - .offset:         20
        .size:           4
        .value_kind:     by_value
      - .offset:         24
        .size:           4
        .value_kind:     by_value
      - .offset:         28
        .size:           4
        .value_kind:     by_value
      - .offset:         32
        .size:           4
        .value_kind:     by_value
      - .offset:         36
        .size:           4
        .value_kind:     by_value
      - .offset:         40
        .size:           12
        .value_kind:     by_value
      - .offset:         52
        .size:           12
        .value_kind:     by_value
      - .offset:         64
        .size:           12
        .value_kind:     by_value
    .group_segment_fixed_size: 0
    .kernarg_segment_align: 8
    .kernarg_segment_size: 76
    .language:       OpenCL C
    .language_version:
      - 2
      - 0
    .max_flat_workgroup_size: 64
    .name:           _ZL33flash_attn_stream_k_fixup_uniformILi64ELi2ELi1EEvPfPK15HIP_vector_typeIfLj2EEiiiiiiS1_IjLj3EES5_S5_
    .private_segment_fixed_size: 0
    .sgpr_count:     18
    .sgpr_spill_count: 0
    .symbol:         _ZL33flash_attn_stream_k_fixup_uniformILi64ELi2ELi1EEvPfPK15HIP_vector_typeIfLj2EEiiiiiiS1_IjLj3EES5_S5_.kd
    .uniform_work_group_size: 1
    .uses_dynamic_stack: false
    .vgpr_count:     11
    .vgpr_spill_count: 0
    .wavefront_size: 32
    .workgroup_processor_mode: 1
  - .args:
      - .address_space:  global
        .offset:         0
        .size:           8
        .value_kind:     global_buffer
      - .address_space:  global
        .offset:         8
        .size:           8
        .value_kind:     global_buffer
      - .offset:         16
        .size:           4
        .value_kind:     by_value
      - .offset:         20
        .size:           4
        .value_kind:     by_value
      - .offset:         24
        .size:           4
        .value_kind:     by_value
      - .offset:         28
        .size:           4
        .value_kind:     by_value
      - .offset:         32
        .size:           12
        .value_kind:     by_value
      - .offset:         44
        .size:           12
        .value_kind:     by_value
      - .offset:         56
        .size:           12
        .value_kind:     by_value
      - .offset:         68
        .size:           12
        .value_kind:     by_value
      - .offset:         80
        .size:           4
        .value_kind:     hidden_block_count_x
      - .offset:         84
        .size:           4
        .value_kind:     hidden_block_count_y
      - .offset:         88
        .size:           4
        .value_kind:     hidden_block_count_z
      - .offset:         92
        .size:           2
        .value_kind:     hidden_group_size_x
      - .offset:         94
        .size:           2
        .value_kind:     hidden_group_size_y
      - .offset:         96
        .size:           2
        .value_kind:     hidden_group_size_z
      - .offset:         98
        .size:           2
        .value_kind:     hidden_remainder_x
      - .offset:         100
        .size:           2
        .value_kind:     hidden_remainder_y
      - .offset:         102
        .size:           2
        .value_kind:     hidden_remainder_z
      - .offset:         120
        .size:           8
        .value_kind:     hidden_global_offset_x
      - .offset:         128
        .size:           8
        .value_kind:     hidden_global_offset_y
      - .offset:         136
        .size:           8
        .value_kind:     hidden_global_offset_z
      - .offset:         144
        .size:           2
        .value_kind:     hidden_grid_dims
    .group_segment_fixed_size: 0
    .kernarg_segment_align: 8
    .kernarg_segment_size: 336
    .language:       OpenCL C
    .language_version:
      - 2
      - 0
    .max_flat_workgroup_size: 64
    .name:           _ZL33flash_attn_stream_k_fixup_generalILi64ELi2ELi1EEvPfPK15HIP_vector_typeIfLj2EEiiiiS1_IjLj3EES5_S5_S5_
    .private_segment_fixed_size: 0
    .sgpr_count:     46
    .sgpr_spill_count: 0
    .symbol:         _ZL33flash_attn_stream_k_fixup_generalILi64ELi2ELi1EEvPfPK15HIP_vector_typeIfLj2EEiiiiS1_IjLj3EES5_S5_S5_.kd
    .uniform_work_group_size: 1
    .uses_dynamic_stack: false
    .vgpr_count:     9
    .vgpr_spill_count: 0
    .wavefront_size: 32
    .workgroup_processor_mode: 1
  - .args:
      - .address_space:  global
        .offset:         0
        .size:           8
        .value_kind:     global_buffer
      - .address_space:  global
        .offset:         8
        .size:           8
        .value_kind:     global_buffer
      - .address_space:  global
        .offset:         16
        .size:           8
        .value_kind:     global_buffer
      - .address_space:  global
        .offset:         24
        .size:           8
        .value_kind:     global_buffer
      - .address_space:  global
        .offset:         32
        .size:           8
        .value_kind:     global_buffer
      - .address_space:  global
        .offset:         40
        .size:           8
        .value_kind:     global_buffer
      - .address_space:  global
        .offset:         48
        .size:           8
        .value_kind:     global_buffer
      - .address_space:  global
        .offset:         56
        .size:           8
        .value_kind:     global_buffer
      - .offset:         64
        .size:           4
        .value_kind:     by_value
      - .offset:         68
        .size:           4
        .value_kind:     by_value
      - .offset:         72
        .size:           4
        .value_kind:     by_value
      - .offset:         76
        .size:           4
        .value_kind:     by_value
      - .offset:         80
        .size:           4
        .value_kind:     by_value
      - .offset:         84
        .size:           4
        .value_kind:     by_value
      - .offset:         88
        .size:           4
        .value_kind:     by_value
      - .offset:         92
        .size:           12
        .value_kind:     by_value
      - .offset:         104
        .size:           4
        .value_kind:     by_value
      - .offset:         108
        .size:           4
        .value_kind:     by_value
      - .offset:         112
        .size:           4
        .value_kind:     by_value
      - .offset:         116
        .size:           4
        .value_kind:     by_value
      - .offset:         120
        .size:           4
        .value_kind:     by_value
      - .offset:         124
        .size:           4
        .value_kind:     by_value
      - .offset:         128
        .size:           4
        .value_kind:     by_value
      - .offset:         132
        .size:           4
        .value_kind:     by_value
      - .offset:         136
        .size:           4
        .value_kind:     by_value
      - .offset:         140
        .size:           4
        .value_kind:     by_value
      - .offset:         144
        .size:           4
        .value_kind:     by_value
      - .offset:         152
        .size:           8
        .value_kind:     by_value
      - .offset:         160
        .size:           4
        .value_kind:     by_value
      - .offset:         164
        .size:           4
        .value_kind:     by_value
      - .offset:         168
        .size:           8
        .value_kind:     by_value
      - .offset:         176
        .size:           4
        .value_kind:     by_value
      - .offset:         180
        .size:           4
        .value_kind:     by_value
      - .offset:         184
        .size:           4
        .value_kind:     by_value
      - .offset:         188
        .size:           4
        .value_kind:     by_value
      - .offset:         192
        .size:           4
        .value_kind:     by_value
      - .offset:         200
        .size:           8
        .value_kind:     by_value
      - .offset:         208
        .size:           4
        .value_kind:     hidden_block_count_x
      - .offset:         212
        .size:           4
        .value_kind:     hidden_block_count_y
      - .offset:         216
        .size:           4
        .value_kind:     hidden_block_count_z
      - .offset:         220
        .size:           2
        .value_kind:     hidden_group_size_x
      - .offset:         222
        .size:           2
        .value_kind:     hidden_group_size_y
      - .offset:         224
        .size:           2
        .value_kind:     hidden_group_size_z
      - .offset:         226
        .size:           2
        .value_kind:     hidden_remainder_x
      - .offset:         228
        .size:           2
        .value_kind:     hidden_remainder_y
      - .offset:         230
        .size:           2
        .value_kind:     hidden_remainder_z
      - .offset:         248
        .size:           8
        .value_kind:     hidden_global_offset_x
      - .offset:         256
        .size:           8
        .value_kind:     hidden_global_offset_y
      - .offset:         264
        .size:           8
        .value_kind:     hidden_global_offset_z
      - .offset:         272
        .size:           2
        .value_kind:     hidden_grid_dims
      - .offset:         288
        .size:           8
        .value_kind:     hidden_hostcall_buffer
    .group_segment_fixed_size: 0
    .kernarg_segment_align: 8
    .kernarg_segment_size: 464
    .language:       OpenCL C
    .language_version:
      - 2
      - 0
    .max_flat_workgroup_size: 128
    .name:           _ZL15flash_attn_tileILi64ELi64ELi8ELi8ELb1EEvPKcS1_S1_S1_S1_PKiPfP15HIP_vector_typeIfLj2EEffffjfiS5_IjLj3EEiiiiiiiiiiiliiliiiiil
    .private_segment_fixed_size: 16
    .sgpr_count:     36
    .sgpr_spill_count: 0
    .symbol:         _ZL15flash_attn_tileILi64ELi64ELi8ELi8ELb1EEvPKcS1_S1_S1_S1_PKiPfP15HIP_vector_typeIfLj2EEffffjfiS5_IjLj3EEiiiiiiiiiiiliiliiiiil.kd
    .uniform_work_group_size: 1
    .uses_dynamic_stack: false
    .vgpr_count:     40
    .vgpr_spill_count: 0
    .wavefront_size: 32
    .workgroup_processor_mode: 1
  - .args:
      - .address_space:  global
        .offset:         0
        .size:           8
        .value_kind:     global_buffer
      - .address_space:  global
        .offset:         8
        .size:           8
        .value_kind:     global_buffer
      - .address_space:  global
        .offset:         16
        .size:           8
        .value_kind:     global_buffer
      - .address_space:  global
        .offset:         24
        .size:           8
        .value_kind:     global_buffer
      - .address_space:  global
        .offset:         32
        .size:           8
        .value_kind:     global_buffer
      - .address_space:  global
        .offset:         40
        .size:           8
        .value_kind:     global_buffer
      - .address_space:  global
        .offset:         48
        .size:           8
        .value_kind:     global_buffer
      - .address_space:  global
        .offset:         56
        .size:           8
        .value_kind:     global_buffer
      - .offset:         64
        .size:           4
        .value_kind:     by_value
      - .offset:         68
        .size:           4
        .value_kind:     by_value
      - .offset:         72
        .size:           4
        .value_kind:     by_value
      - .offset:         76
        .size:           4
        .value_kind:     by_value
      - .offset:         80
        .size:           4
        .value_kind:     by_value
      - .offset:         84
        .size:           4
        .value_kind:     by_value
      - .offset:         88
        .size:           4
        .value_kind:     by_value
      - .offset:         92
        .size:           12
        .value_kind:     by_value
      - .offset:         104
        .size:           4
        .value_kind:     by_value
      - .offset:         108
        .size:           4
        .value_kind:     by_value
      - .offset:         112
        .size:           4
        .value_kind:     by_value
      - .offset:         116
        .size:           4
        .value_kind:     by_value
      - .offset:         120
        .size:           4
        .value_kind:     by_value
      - .offset:         124
        .size:           4
        .value_kind:     by_value
      - .offset:         128
        .size:           4
        .value_kind:     by_value
      - .offset:         132
        .size:           4
        .value_kind:     by_value
      - .offset:         136
        .size:           4
        .value_kind:     by_value
      - .offset:         140
        .size:           4
        .value_kind:     by_value
      - .offset:         144
        .size:           4
        .value_kind:     by_value
      - .offset:         152
        .size:           8
        .value_kind:     by_value
      - .offset:         160
        .size:           4
        .value_kind:     by_value
      - .offset:         164
        .size:           4
        .value_kind:     by_value
      - .offset:         168
        .size:           8
        .value_kind:     by_value
      - .offset:         176
        .size:           4
        .value_kind:     by_value
      - .offset:         180
        .size:           4
        .value_kind:     by_value
      - .offset:         184
        .size:           4
        .value_kind:     by_value
      - .offset:         188
        .size:           4
        .value_kind:     by_value
      - .offset:         192
        .size:           4
        .value_kind:     by_value
      - .offset:         200
        .size:           8
        .value_kind:     by_value
      - .offset:         208
        .size:           4
        .value_kind:     hidden_block_count_x
      - .offset:         212
        .size:           4
        .value_kind:     hidden_block_count_y
      - .offset:         216
        .size:           4
        .value_kind:     hidden_block_count_z
      - .offset:         220
        .size:           2
        .value_kind:     hidden_group_size_x
      - .offset:         222
        .size:           2
        .value_kind:     hidden_group_size_y
      - .offset:         224
        .size:           2
        .value_kind:     hidden_group_size_z
      - .offset:         226
        .size:           2
        .value_kind:     hidden_remainder_x
      - .offset:         228
        .size:           2
        .value_kind:     hidden_remainder_y
      - .offset:         230
        .size:           2
        .value_kind:     hidden_remainder_z
      - .offset:         248
        .size:           8
        .value_kind:     hidden_global_offset_x
      - .offset:         256
        .size:           8
        .value_kind:     hidden_global_offset_y
      - .offset:         264
        .size:           8
        .value_kind:     hidden_global_offset_z
      - .offset:         272
        .size:           2
        .value_kind:     hidden_grid_dims
      - .offset:         288
        .size:           8
        .value_kind:     hidden_hostcall_buffer
    .group_segment_fixed_size: 0
    .kernarg_segment_align: 8
    .kernarg_segment_size: 464
    .language:       OpenCL C
    .language_version:
      - 2
      - 0
    .max_flat_workgroup_size: 128
    .name:           _ZL15flash_attn_tileILi64ELi64ELi4ELi8ELb1EEvPKcS1_S1_S1_S1_PKiPfP15HIP_vector_typeIfLj2EEffffjfiS5_IjLj3EEiiiiiiiiiiiliiliiiiil
    .private_segment_fixed_size: 16
    .sgpr_count:     36
    .sgpr_spill_count: 0
    .symbol:         _ZL15flash_attn_tileILi64ELi64ELi4ELi8ELb1EEvPKcS1_S1_S1_S1_PKiPfP15HIP_vector_typeIfLj2EEffffjfiS5_IjLj3EEiiiiiiiiiiiliiliiiiil.kd
    .uniform_work_group_size: 1
    .uses_dynamic_stack: false
    .vgpr_count:     40
    .vgpr_spill_count: 0
    .wavefront_size: 32
    .workgroup_processor_mode: 1
  - .args:
      - .address_space:  global
        .offset:         0
        .size:           8
        .value_kind:     global_buffer
      - .address_space:  global
        .offset:         8
        .size:           8
        .value_kind:     global_buffer
      - .address_space:  global
        .offset:         16
        .size:           8
        .value_kind:     global_buffer
      - .address_space:  global
        .offset:         24
        .size:           8
        .value_kind:     global_buffer
      - .address_space:  global
        .offset:         32
        .size:           8
        .value_kind:     global_buffer
      - .address_space:  global
        .offset:         40
        .size:           8
        .value_kind:     global_buffer
      - .address_space:  global
        .offset:         48
        .size:           8
        .value_kind:     global_buffer
      - .address_space:  global
        .offset:         56
        .size:           8
        .value_kind:     global_buffer
      - .offset:         64
        .size:           4
        .value_kind:     by_value
      - .offset:         68
        .size:           4
        .value_kind:     by_value
      - .offset:         72
        .size:           4
        .value_kind:     by_value
      - .offset:         76
        .size:           4
        .value_kind:     by_value
      - .offset:         80
        .size:           4
        .value_kind:     by_value
      - .offset:         84
        .size:           4
        .value_kind:     by_value
      - .offset:         88
        .size:           4
        .value_kind:     by_value
      - .offset:         92
        .size:           12
        .value_kind:     by_value
      - .offset:         104
        .size:           4
        .value_kind:     by_value
      - .offset:         108
        .size:           4
        .value_kind:     by_value
      - .offset:         112
        .size:           4
        .value_kind:     by_value
      - .offset:         116
        .size:           4
        .value_kind:     by_value
      - .offset:         120
        .size:           4
        .value_kind:     by_value
      - .offset:         124
        .size:           4
        .value_kind:     by_value
      - .offset:         128
        .size:           4
        .value_kind:     by_value
      - .offset:         132
        .size:           4
        .value_kind:     by_value
      - .offset:         136
        .size:           4
        .value_kind:     by_value
      - .offset:         140
        .size:           4
        .value_kind:     by_value
      - .offset:         144
        .size:           4
        .value_kind:     by_value
      - .offset:         152
        .size:           8
        .value_kind:     by_value
      - .offset:         160
        .size:           4
        .value_kind:     by_value
      - .offset:         164
        .size:           4
        .value_kind:     by_value
      - .offset:         168
        .size:           8
        .value_kind:     by_value
      - .offset:         176
        .size:           4
        .value_kind:     by_value
      - .offset:         180
        .size:           4
        .value_kind:     by_value
      - .offset:         184
        .size:           4
        .value_kind:     by_value
      - .offset:         188
        .size:           4
        .value_kind:     by_value
      - .offset:         192
        .size:           4
        .value_kind:     by_value
      - .offset:         200
        .size:           8
        .value_kind:     by_value
      - .offset:         208
        .size:           4
        .value_kind:     hidden_block_count_x
      - .offset:         212
        .size:           4
        .value_kind:     hidden_block_count_y
      - .offset:         216
        .size:           4
        .value_kind:     hidden_block_count_z
      - .offset:         220
        .size:           2
        .value_kind:     hidden_group_size_x
      - .offset:         222
        .size:           2
        .value_kind:     hidden_group_size_y
      - .offset:         224
        .size:           2
        .value_kind:     hidden_group_size_z
      - .offset:         226
        .size:           2
        .value_kind:     hidden_remainder_x
      - .offset:         228
        .size:           2
        .value_kind:     hidden_remainder_y
      - .offset:         230
        .size:           2
        .value_kind:     hidden_remainder_z
      - .offset:         248
        .size:           8
        .value_kind:     hidden_global_offset_x
      - .offset:         256
        .size:           8
        .value_kind:     hidden_global_offset_y
      - .offset:         264
        .size:           8
        .value_kind:     hidden_global_offset_z
      - .offset:         272
        .size:           2
        .value_kind:     hidden_grid_dims
      - .offset:         288
        .size:           8
        .value_kind:     hidden_hostcall_buffer
    .group_segment_fixed_size: 0
    .kernarg_segment_align: 8
    .kernarg_segment_size: 464
    .language:       OpenCL C
    .language_version:
      - 2
      - 0
    .max_flat_workgroup_size: 128
    .name:           _ZL15flash_attn_tileILi64ELi64ELi2ELi8ELb1EEvPKcS1_S1_S1_S1_PKiPfP15HIP_vector_typeIfLj2EEffffjfiS5_IjLj3EEiiiiiiiiiiiliiliiiiil
    .private_segment_fixed_size: 16
    .sgpr_count:     36
    .sgpr_spill_count: 0
    .symbol:         _ZL15flash_attn_tileILi64ELi64ELi2ELi8ELb1EEvPKcS1_S1_S1_S1_PKiPfP15HIP_vector_typeIfLj2EEffffjfiS5_IjLj3EEiiiiiiiiiiiliiliiiiil.kd
    .uniform_work_group_size: 1
    .uses_dynamic_stack: false
    .vgpr_count:     40
    .vgpr_spill_count: 0
    .wavefront_size: 32
    .workgroup_processor_mode: 1
  - .args:
      - .address_space:  global
        .offset:         0
        .size:           8
        .value_kind:     global_buffer
      - .address_space:  global
        .offset:         8
        .size:           8
        .value_kind:     global_buffer
      - .address_space:  global
        .offset:         16
        .size:           8
        .value_kind:     global_buffer
      - .address_space:  global
        .offset:         24
        .size:           8
        .value_kind:     global_buffer
      - .address_space:  global
        .offset:         32
        .size:           8
        .value_kind:     global_buffer
      - .address_space:  global
        .offset:         40
        .size:           8
        .value_kind:     global_buffer
      - .address_space:  global
        .offset:         48
        .size:           8
        .value_kind:     global_buffer
      - .address_space:  global
        .offset:         56
        .size:           8
        .value_kind:     global_buffer
      - .offset:         64
        .size:           4
        .value_kind:     by_value
      - .offset:         68
        .size:           4
        .value_kind:     by_value
      - .offset:         72
        .size:           4
        .value_kind:     by_value
      - .offset:         76
        .size:           4
        .value_kind:     by_value
      - .offset:         80
        .size:           4
        .value_kind:     by_value
      - .offset:         84
        .size:           4
        .value_kind:     by_value
      - .offset:         88
        .size:           4
        .value_kind:     by_value
      - .offset:         92
        .size:           12
        .value_kind:     by_value
      - .offset:         104
        .size:           4
        .value_kind:     by_value
      - .offset:         108
        .size:           4
        .value_kind:     by_value
      - .offset:         112
        .size:           4
        .value_kind:     by_value
      - .offset:         116
        .size:           4
        .value_kind:     by_value
      - .offset:         120
        .size:           4
        .value_kind:     by_value
      - .offset:         124
        .size:           4
        .value_kind:     by_value
      - .offset:         128
        .size:           4
        .value_kind:     by_value
      - .offset:         132
        .size:           4
        .value_kind:     by_value
      - .offset:         136
        .size:           4
        .value_kind:     by_value
      - .offset:         140
        .size:           4
        .value_kind:     by_value
      - .offset:         144
        .size:           4
        .value_kind:     by_value
      - .offset:         152
        .size:           8
        .value_kind:     by_value
      - .offset:         160
        .size:           4
        .value_kind:     by_value
      - .offset:         164
        .size:           4
        .value_kind:     by_value
      - .offset:         168
        .size:           8
        .value_kind:     by_value
      - .offset:         176
        .size:           4
        .value_kind:     by_value
      - .offset:         180
        .size:           4
        .value_kind:     by_value
      - .offset:         184
        .size:           4
        .value_kind:     by_value
      - .offset:         188
        .size:           4
        .value_kind:     by_value
      - .offset:         192
        .size:           4
        .value_kind:     by_value
      - .offset:         200
        .size:           8
        .value_kind:     by_value
      - .offset:         208
        .size:           4
        .value_kind:     hidden_block_count_x
      - .offset:         212
        .size:           4
        .value_kind:     hidden_block_count_y
      - .offset:         216
        .size:           4
        .value_kind:     hidden_block_count_z
      - .offset:         220
        .size:           2
        .value_kind:     hidden_group_size_x
      - .offset:         222
        .size:           2
        .value_kind:     hidden_group_size_y
      - .offset:         224
        .size:           2
        .value_kind:     hidden_group_size_z
      - .offset:         226
        .size:           2
        .value_kind:     hidden_remainder_x
      - .offset:         228
        .size:           2
        .value_kind:     hidden_remainder_y
      - .offset:         230
        .size:           2
        .value_kind:     hidden_remainder_z
      - .offset:         248
        .size:           8
        .value_kind:     hidden_global_offset_x
      - .offset:         256
        .size:           8
        .value_kind:     hidden_global_offset_y
      - .offset:         264
        .size:           8
        .value_kind:     hidden_global_offset_z
      - .offset:         272
        .size:           2
        .value_kind:     hidden_grid_dims
      - .offset:         288
        .size:           8
        .value_kind:     hidden_hostcall_buffer
    .group_segment_fixed_size: 0
    .kernarg_segment_align: 8
    .kernarg_segment_size: 464
    .language:       OpenCL C
    .language_version:
      - 2
      - 0
    .max_flat_workgroup_size: 128
    .name:           _ZL15flash_attn_tileILi64ELi64ELi1ELi8ELb1EEvPKcS1_S1_S1_S1_PKiPfP15HIP_vector_typeIfLj2EEffffjfiS5_IjLj3EEiiiiiiiiiiiliiliiiiil
    .private_segment_fixed_size: 16
    .sgpr_count:     36
    .sgpr_spill_count: 0
    .symbol:         _ZL15flash_attn_tileILi64ELi64ELi1ELi8ELb1EEvPKcS1_S1_S1_S1_PKiPfP15HIP_vector_typeIfLj2EEffffjfiS5_IjLj3EEiiiiiiiiiiiliiliiiiil.kd
    .uniform_work_group_size: 1
    .uses_dynamic_stack: false
    .vgpr_count:     40
    .vgpr_spill_count: 0
    .wavefront_size: 32
    .workgroup_processor_mode: 1
  - .args:
      - .address_space:  global
        .offset:         0
        .size:           8
        .value_kind:     global_buffer
      - .address_space:  global
        .offset:         8
        .size:           8
        .value_kind:     global_buffer
      - .address_space:  global
        .offset:         16
        .size:           8
        .value_kind:     global_buffer
      - .address_space:  global
        .offset:         24
        .size:           8
        .value_kind:     global_buffer
      - .address_space:  global
        .offset:         32
        .size:           8
        .value_kind:     global_buffer
      - .address_space:  global
        .offset:         40
        .size:           8
        .value_kind:     global_buffer
      - .address_space:  global
        .offset:         48
        .size:           8
        .value_kind:     global_buffer
      - .address_space:  global
        .offset:         56
        .size:           8
        .value_kind:     global_buffer
      - .offset:         64
        .size:           4
        .value_kind:     by_value
      - .offset:         68
        .size:           4
        .value_kind:     by_value
      - .offset:         72
        .size:           4
        .value_kind:     by_value
      - .offset:         76
        .size:           4
        .value_kind:     by_value
      - .offset:         80
        .size:           4
        .value_kind:     by_value
      - .offset:         84
        .size:           4
        .value_kind:     by_value
      - .offset:         88
        .size:           4
        .value_kind:     by_value
      - .offset:         92
        .size:           12
        .value_kind:     by_value
      - .offset:         104
        .size:           4
        .value_kind:     by_value
      - .offset:         108
        .size:           4
        .value_kind:     by_value
      - .offset:         112
        .size:           4
        .value_kind:     by_value
      - .offset:         116
        .size:           4
        .value_kind:     by_value
      - .offset:         120
        .size:           4
        .value_kind:     by_value
      - .offset:         124
        .size:           4
        .value_kind:     by_value
      - .offset:         128
        .size:           4
        .value_kind:     by_value
      - .offset:         132
        .size:           4
        .value_kind:     by_value
      - .offset:         136
        .size:           4
        .value_kind:     by_value
      - .offset:         140
        .size:           4
        .value_kind:     by_value
      - .offset:         144
        .size:           4
        .value_kind:     by_value
      - .offset:         152
        .size:           8
        .value_kind:     by_value
      - .offset:         160
        .size:           4
        .value_kind:     by_value
      - .offset:         164
        .size:           4
        .value_kind:     by_value
      - .offset:         168
        .size:           8
        .value_kind:     by_value
      - .offset:         176
        .size:           4
        .value_kind:     by_value
      - .offset:         180
        .size:           4
        .value_kind:     by_value
      - .offset:         184
        .size:           4
        .value_kind:     by_value
      - .offset:         188
        .size:           4
        .value_kind:     by_value
      - .offset:         192
        .size:           4
        .value_kind:     by_value
      - .offset:         200
        .size:           8
        .value_kind:     by_value
      - .offset:         208
        .size:           4
        .value_kind:     hidden_block_count_x
      - .offset:         212
        .size:           4
        .value_kind:     hidden_block_count_y
      - .offset:         216
        .size:           4
        .value_kind:     hidden_block_count_z
      - .offset:         220
        .size:           2
        .value_kind:     hidden_group_size_x
      - .offset:         222
        .size:           2
        .value_kind:     hidden_group_size_y
      - .offset:         224
        .size:           2
        .value_kind:     hidden_group_size_z
      - .offset:         226
        .size:           2
        .value_kind:     hidden_remainder_x
      - .offset:         228
        .size:           2
        .value_kind:     hidden_remainder_y
      - .offset:         230
        .size:           2
        .value_kind:     hidden_remainder_z
      - .offset:         248
        .size:           8
        .value_kind:     hidden_global_offset_x
      - .offset:         256
        .size:           8
        .value_kind:     hidden_global_offset_y
      - .offset:         264
        .size:           8
        .value_kind:     hidden_global_offset_z
      - .offset:         272
        .size:           2
        .value_kind:     hidden_grid_dims
      - .offset:         288
        .size:           8
        .value_kind:     hidden_hostcall_buffer
    .group_segment_fixed_size: 0
    .kernarg_segment_align: 8
    .kernarg_segment_size: 464
    .language:       OpenCL C
    .language_version:
      - 2
      - 0
    .max_flat_workgroup_size: 128
    .name:           _ZL15flash_attn_tileILi64ELi64ELi16ELi4ELb1EEvPKcS1_S1_S1_S1_PKiPfP15HIP_vector_typeIfLj2EEffffjfiS5_IjLj3EEiiiiiiiiiiiliiliiiiil
    .private_segment_fixed_size: 16
    .sgpr_count:     36
    .sgpr_spill_count: 0
    .symbol:         _ZL15flash_attn_tileILi64ELi64ELi16ELi4ELb1EEvPKcS1_S1_S1_S1_PKiPfP15HIP_vector_typeIfLj2EEffffjfiS5_IjLj3EEiiiiiiiiiiiliiliiiiil.kd
    .uniform_work_group_size: 1
    .uses_dynamic_stack: false
    .vgpr_count:     40
    .vgpr_spill_count: 0
    .wavefront_size: 32
    .workgroup_processor_mode: 1
  - .args:
      - .address_space:  global
        .offset:         0
        .size:           8
        .value_kind:     global_buffer
      - .address_space:  global
        .offset:         8
        .size:           8
        .value_kind:     global_buffer
      - .address_space:  global
        .offset:         16
        .size:           8
        .value_kind:     global_buffer
      - .address_space:  global
        .offset:         24
        .size:           8
        .value_kind:     global_buffer
      - .address_space:  global
        .offset:         32
        .size:           8
        .value_kind:     global_buffer
      - .address_space:  global
        .offset:         40
        .size:           8
        .value_kind:     global_buffer
      - .address_space:  global
        .offset:         48
        .size:           8
        .value_kind:     global_buffer
      - .address_space:  global
        .offset:         56
        .size:           8
        .value_kind:     global_buffer
      - .offset:         64
        .size:           4
        .value_kind:     by_value
      - .offset:         68
        .size:           4
        .value_kind:     by_value
      - .offset:         72
        .size:           4
        .value_kind:     by_value
      - .offset:         76
        .size:           4
        .value_kind:     by_value
      - .offset:         80
        .size:           4
        .value_kind:     by_value
      - .offset:         84
        .size:           4
        .value_kind:     by_value
      - .offset:         88
        .size:           4
        .value_kind:     by_value
      - .offset:         92
        .size:           12
        .value_kind:     by_value
      - .offset:         104
        .size:           4
        .value_kind:     by_value
      - .offset:         108
        .size:           4
        .value_kind:     by_value
      - .offset:         112
        .size:           4
        .value_kind:     by_value
      - .offset:         116
        .size:           4
        .value_kind:     by_value
      - .offset:         120
        .size:           4
        .value_kind:     by_value
      - .offset:         124
        .size:           4
        .value_kind:     by_value
      - .offset:         128
        .size:           4
        .value_kind:     by_value
      - .offset:         132
        .size:           4
        .value_kind:     by_value
      - .offset:         136
        .size:           4
        .value_kind:     by_value
      - .offset:         140
        .size:           4
        .value_kind:     by_value
      - .offset:         144
        .size:           4
        .value_kind:     by_value
      - .offset:         152
        .size:           8
        .value_kind:     by_value
      - .offset:         160
        .size:           4
        .value_kind:     by_value
      - .offset:         164
        .size:           4
        .value_kind:     by_value
      - .offset:         168
        .size:           8
        .value_kind:     by_value
      - .offset:         176
        .size:           4
        .value_kind:     by_value
      - .offset:         180
        .size:           4
        .value_kind:     by_value
      - .offset:         184
        .size:           4
        .value_kind:     by_value
      - .offset:         188
        .size:           4
        .value_kind:     by_value
      - .offset:         192
        .size:           4
        .value_kind:     by_value
      - .offset:         200
        .size:           8
        .value_kind:     by_value
      - .offset:         208
        .size:           4
        .value_kind:     hidden_block_count_x
      - .offset:         212
        .size:           4
        .value_kind:     hidden_block_count_y
      - .offset:         216
        .size:           4
        .value_kind:     hidden_block_count_z
      - .offset:         220
        .size:           2
        .value_kind:     hidden_group_size_x
      - .offset:         222
        .size:           2
        .value_kind:     hidden_group_size_y
      - .offset:         224
        .size:           2
        .value_kind:     hidden_group_size_z
      - .offset:         226
        .size:           2
        .value_kind:     hidden_remainder_x
      - .offset:         228
        .size:           2
        .value_kind:     hidden_remainder_y
      - .offset:         230
        .size:           2
        .value_kind:     hidden_remainder_z
      - .offset:         248
        .size:           8
        .value_kind:     hidden_global_offset_x
      - .offset:         256
        .size:           8
        .value_kind:     hidden_global_offset_y
      - .offset:         264
        .size:           8
        .value_kind:     hidden_global_offset_z
      - .offset:         272
        .size:           2
        .value_kind:     hidden_grid_dims
      - .offset:         288
        .size:           8
        .value_kind:     hidden_hostcall_buffer
    .group_segment_fixed_size: 0
    .kernarg_segment_align: 8
    .kernarg_segment_size: 464
    .language:       OpenCL C
    .language_version:
      - 2
      - 0
    .max_flat_workgroup_size: 128
    .name:           _ZL15flash_attn_tileILi64ELi64ELi8ELi4ELb1EEvPKcS1_S1_S1_S1_PKiPfP15HIP_vector_typeIfLj2EEffffjfiS5_IjLj3EEiiiiiiiiiiiliiliiiiil
    .private_segment_fixed_size: 16
    .sgpr_count:     36
    .sgpr_spill_count: 0
    .symbol:         _ZL15flash_attn_tileILi64ELi64ELi8ELi4ELb1EEvPKcS1_S1_S1_S1_PKiPfP15HIP_vector_typeIfLj2EEffffjfiS5_IjLj3EEiiiiiiiiiiiliiliiiiil.kd
    .uniform_work_group_size: 1
    .uses_dynamic_stack: false
    .vgpr_count:     40
    .vgpr_spill_count: 0
    .wavefront_size: 32
    .workgroup_processor_mode: 1
  - .args:
      - .address_space:  global
        .offset:         0
        .size:           8
        .value_kind:     global_buffer
      - .address_space:  global
        .offset:         8
        .size:           8
        .value_kind:     global_buffer
      - .address_space:  global
        .offset:         16
        .size:           8
        .value_kind:     global_buffer
      - .address_space:  global
        .offset:         24
        .size:           8
        .value_kind:     global_buffer
      - .address_space:  global
        .offset:         32
        .size:           8
        .value_kind:     global_buffer
      - .address_space:  global
        .offset:         40
        .size:           8
        .value_kind:     global_buffer
      - .address_space:  global
        .offset:         48
        .size:           8
        .value_kind:     global_buffer
      - .address_space:  global
        .offset:         56
        .size:           8
        .value_kind:     global_buffer
      - .offset:         64
        .size:           4
        .value_kind:     by_value
      - .offset:         68
        .size:           4
        .value_kind:     by_value
      - .offset:         72
        .size:           4
        .value_kind:     by_value
      - .offset:         76
        .size:           4
        .value_kind:     by_value
      - .offset:         80
        .size:           4
        .value_kind:     by_value
      - .offset:         84
        .size:           4
        .value_kind:     by_value
      - .offset:         88
        .size:           4
        .value_kind:     by_value
      - .offset:         92
        .size:           12
        .value_kind:     by_value
      - .offset:         104
        .size:           4
        .value_kind:     by_value
      - .offset:         108
        .size:           4
        .value_kind:     by_value
      - .offset:         112
        .size:           4
        .value_kind:     by_value
      - .offset:         116
        .size:           4
        .value_kind:     by_value
      - .offset:         120
        .size:           4
        .value_kind:     by_value
      - .offset:         124
        .size:           4
        .value_kind:     by_value
      - .offset:         128
        .size:           4
        .value_kind:     by_value
      - .offset:         132
        .size:           4
        .value_kind:     by_value
      - .offset:         136
        .size:           4
        .value_kind:     by_value
      - .offset:         140
        .size:           4
        .value_kind:     by_value
      - .offset:         144
        .size:           4
        .value_kind:     by_value
      - .offset:         152
        .size:           8
        .value_kind:     by_value
      - .offset:         160
        .size:           4
        .value_kind:     by_value
      - .offset:         164
        .size:           4
        .value_kind:     by_value
      - .offset:         168
        .size:           8
        .value_kind:     by_value
      - .offset:         176
        .size:           4
        .value_kind:     by_value
      - .offset:         180
        .size:           4
        .value_kind:     by_value
      - .offset:         184
        .size:           4
        .value_kind:     by_value
      - .offset:         188
        .size:           4
        .value_kind:     by_value
      - .offset:         192
        .size:           4
        .value_kind:     by_value
      - .offset:         200
        .size:           8
        .value_kind:     by_value
      - .offset:         208
        .size:           4
        .value_kind:     hidden_block_count_x
      - .offset:         212
        .size:           4
        .value_kind:     hidden_block_count_y
      - .offset:         216
        .size:           4
        .value_kind:     hidden_block_count_z
      - .offset:         220
        .size:           2
        .value_kind:     hidden_group_size_x
      - .offset:         222
        .size:           2
        .value_kind:     hidden_group_size_y
      - .offset:         224
        .size:           2
        .value_kind:     hidden_group_size_z
      - .offset:         226
        .size:           2
        .value_kind:     hidden_remainder_x
      - .offset:         228
        .size:           2
        .value_kind:     hidden_remainder_y
      - .offset:         230
        .size:           2
        .value_kind:     hidden_remainder_z
      - .offset:         248
        .size:           8
        .value_kind:     hidden_global_offset_x
      - .offset:         256
        .size:           8
        .value_kind:     hidden_global_offset_y
      - .offset:         264
        .size:           8
        .value_kind:     hidden_global_offset_z
      - .offset:         272
        .size:           2
        .value_kind:     hidden_grid_dims
      - .offset:         288
        .size:           8
        .value_kind:     hidden_hostcall_buffer
    .group_segment_fixed_size: 0
    .kernarg_segment_align: 8
    .kernarg_segment_size: 464
    .language:       OpenCL C
    .language_version:
      - 2
      - 0
    .max_flat_workgroup_size: 128
    .name:           _ZL15flash_attn_tileILi64ELi64ELi4ELi4ELb1EEvPKcS1_S1_S1_S1_PKiPfP15HIP_vector_typeIfLj2EEffffjfiS5_IjLj3EEiiiiiiiiiiiliiliiiiil
    .private_segment_fixed_size: 16
    .sgpr_count:     36
    .sgpr_spill_count: 0
    .symbol:         _ZL15flash_attn_tileILi64ELi64ELi4ELi4ELb1EEvPKcS1_S1_S1_S1_PKiPfP15HIP_vector_typeIfLj2EEffffjfiS5_IjLj3EEiiiiiiiiiiiliiliiiiil.kd
    .uniform_work_group_size: 1
    .uses_dynamic_stack: false
    .vgpr_count:     40
    .vgpr_spill_count: 0
    .wavefront_size: 32
    .workgroup_processor_mode: 1
  - .args:
      - .address_space:  global
        .offset:         0
        .size:           8
        .value_kind:     global_buffer
      - .address_space:  global
        .offset:         8
        .size:           8
        .value_kind:     global_buffer
      - .address_space:  global
        .offset:         16
        .size:           8
        .value_kind:     global_buffer
      - .address_space:  global
        .offset:         24
        .size:           8
        .value_kind:     global_buffer
      - .address_space:  global
        .offset:         32
        .size:           8
        .value_kind:     global_buffer
      - .address_space:  global
        .offset:         40
        .size:           8
        .value_kind:     global_buffer
      - .address_space:  global
        .offset:         48
        .size:           8
        .value_kind:     global_buffer
      - .address_space:  global
        .offset:         56
        .size:           8
        .value_kind:     global_buffer
      - .offset:         64
        .size:           4
        .value_kind:     by_value
      - .offset:         68
        .size:           4
        .value_kind:     by_value
      - .offset:         72
        .size:           4
        .value_kind:     by_value
      - .offset:         76
        .size:           4
        .value_kind:     by_value
      - .offset:         80
        .size:           4
        .value_kind:     by_value
      - .offset:         84
        .size:           4
        .value_kind:     by_value
      - .offset:         88
        .size:           4
        .value_kind:     by_value
      - .offset:         92
        .size:           12
        .value_kind:     by_value
      - .offset:         104
        .size:           4
        .value_kind:     by_value
      - .offset:         108
        .size:           4
        .value_kind:     by_value
      - .offset:         112
        .size:           4
        .value_kind:     by_value
      - .offset:         116
        .size:           4
        .value_kind:     by_value
      - .offset:         120
        .size:           4
        .value_kind:     by_value
      - .offset:         124
        .size:           4
        .value_kind:     by_value
      - .offset:         128
        .size:           4
        .value_kind:     by_value
      - .offset:         132
        .size:           4
        .value_kind:     by_value
      - .offset:         136
        .size:           4
        .value_kind:     by_value
      - .offset:         140
        .size:           4
        .value_kind:     by_value
      - .offset:         144
        .size:           4
        .value_kind:     by_value
      - .offset:         152
        .size:           8
        .value_kind:     by_value
      - .offset:         160
        .size:           4
        .value_kind:     by_value
      - .offset:         164
        .size:           4
        .value_kind:     by_value
      - .offset:         168
        .size:           8
        .value_kind:     by_value
      - .offset:         176
        .size:           4
        .value_kind:     by_value
      - .offset:         180
        .size:           4
        .value_kind:     by_value
      - .offset:         184
        .size:           4
        .value_kind:     by_value
      - .offset:         188
        .size:           4
        .value_kind:     by_value
      - .offset:         192
        .size:           4
        .value_kind:     by_value
      - .offset:         200
        .size:           8
        .value_kind:     by_value
      - .offset:         208
        .size:           4
        .value_kind:     hidden_block_count_x
      - .offset:         212
        .size:           4
        .value_kind:     hidden_block_count_y
      - .offset:         216
        .size:           4
        .value_kind:     hidden_block_count_z
      - .offset:         220
        .size:           2
        .value_kind:     hidden_group_size_x
      - .offset:         222
        .size:           2
        .value_kind:     hidden_group_size_y
      - .offset:         224
        .size:           2
        .value_kind:     hidden_group_size_z
      - .offset:         226
        .size:           2
        .value_kind:     hidden_remainder_x
      - .offset:         228
        .size:           2
        .value_kind:     hidden_remainder_y
      - .offset:         230
        .size:           2
        .value_kind:     hidden_remainder_z
      - .offset:         248
        .size:           8
        .value_kind:     hidden_global_offset_x
      - .offset:         256
        .size:           8
        .value_kind:     hidden_global_offset_y
      - .offset:         264
        .size:           8
        .value_kind:     hidden_global_offset_z
      - .offset:         272
        .size:           2
        .value_kind:     hidden_grid_dims
      - .offset:         288
        .size:           8
        .value_kind:     hidden_hostcall_buffer
    .group_segment_fixed_size: 0
    .kernarg_segment_align: 8
    .kernarg_segment_size: 464
    .language:       OpenCL C
    .language_version:
      - 2
      - 0
    .max_flat_workgroup_size: 128
    .name:           _ZL15flash_attn_tileILi64ELi64ELi2ELi4ELb1EEvPKcS1_S1_S1_S1_PKiPfP15HIP_vector_typeIfLj2EEffffjfiS5_IjLj3EEiiiiiiiiiiiliiliiiiil
    .private_segment_fixed_size: 16
    .sgpr_count:     36
    .sgpr_spill_count: 0
    .symbol:         _ZL15flash_attn_tileILi64ELi64ELi2ELi4ELb1EEvPKcS1_S1_S1_S1_PKiPfP15HIP_vector_typeIfLj2EEffffjfiS5_IjLj3EEiiiiiiiiiiiliiliiiiil.kd
    .uniform_work_group_size: 1
    .uses_dynamic_stack: false
    .vgpr_count:     40
    .vgpr_spill_count: 0
    .wavefront_size: 32
    .workgroup_processor_mode: 1
  - .args:
      - .address_space:  global
        .offset:         0
        .size:           8
        .value_kind:     global_buffer
      - .address_space:  global
        .offset:         8
        .size:           8
        .value_kind:     global_buffer
      - .address_space:  global
        .offset:         16
        .size:           8
        .value_kind:     global_buffer
      - .address_space:  global
        .offset:         24
        .size:           8
        .value_kind:     global_buffer
      - .address_space:  global
        .offset:         32
        .size:           8
        .value_kind:     global_buffer
      - .address_space:  global
        .offset:         40
        .size:           8
        .value_kind:     global_buffer
      - .address_space:  global
        .offset:         48
        .size:           8
        .value_kind:     global_buffer
      - .address_space:  global
        .offset:         56
        .size:           8
        .value_kind:     global_buffer
      - .offset:         64
        .size:           4
        .value_kind:     by_value
      - .offset:         68
        .size:           4
        .value_kind:     by_value
      - .offset:         72
        .size:           4
        .value_kind:     by_value
      - .offset:         76
        .size:           4
        .value_kind:     by_value
      - .offset:         80
        .size:           4
        .value_kind:     by_value
      - .offset:         84
        .size:           4
        .value_kind:     by_value
      - .offset:         88
        .size:           4
        .value_kind:     by_value
      - .offset:         92
        .size:           12
        .value_kind:     by_value
      - .offset:         104
        .size:           4
        .value_kind:     by_value
      - .offset:         108
        .size:           4
        .value_kind:     by_value
      - .offset:         112
        .size:           4
        .value_kind:     by_value
      - .offset:         116
        .size:           4
        .value_kind:     by_value
      - .offset:         120
        .size:           4
        .value_kind:     by_value
      - .offset:         124
        .size:           4
        .value_kind:     by_value
      - .offset:         128
        .size:           4
        .value_kind:     by_value
      - .offset:         132
        .size:           4
        .value_kind:     by_value
      - .offset:         136
        .size:           4
        .value_kind:     by_value
      - .offset:         140
        .size:           4
        .value_kind:     by_value
      - .offset:         144
        .size:           4
        .value_kind:     by_value
      - .offset:         152
        .size:           8
        .value_kind:     by_value
      - .offset:         160
        .size:           4
        .value_kind:     by_value
      - .offset:         164
        .size:           4
        .value_kind:     by_value
      - .offset:         168
        .size:           8
        .value_kind:     by_value
      - .offset:         176
        .size:           4
        .value_kind:     by_value
      - .offset:         180
        .size:           4
        .value_kind:     by_value
      - .offset:         184
        .size:           4
        .value_kind:     by_value
      - .offset:         188
        .size:           4
        .value_kind:     by_value
      - .offset:         192
        .size:           4
        .value_kind:     by_value
      - .offset:         200
        .size:           8
        .value_kind:     by_value
      - .offset:         208
        .size:           4
        .value_kind:     hidden_block_count_x
      - .offset:         212
        .size:           4
        .value_kind:     hidden_block_count_y
      - .offset:         216
        .size:           4
        .value_kind:     hidden_block_count_z
      - .offset:         220
        .size:           2
        .value_kind:     hidden_group_size_x
      - .offset:         222
        .size:           2
        .value_kind:     hidden_group_size_y
      - .offset:         224
        .size:           2
        .value_kind:     hidden_group_size_z
      - .offset:         226
        .size:           2
        .value_kind:     hidden_remainder_x
      - .offset:         228
        .size:           2
        .value_kind:     hidden_remainder_y
      - .offset:         230
        .size:           2
        .value_kind:     hidden_remainder_z
      - .offset:         248
        .size:           8
        .value_kind:     hidden_global_offset_x
      - .offset:         256
        .size:           8
        .value_kind:     hidden_global_offset_y
      - .offset:         264
        .size:           8
        .value_kind:     hidden_global_offset_z
      - .offset:         272
        .size:           2
        .value_kind:     hidden_grid_dims
      - .offset:         288
        .size:           8
        .value_kind:     hidden_hostcall_buffer
    .group_segment_fixed_size: 0
    .kernarg_segment_align: 8
    .kernarg_segment_size: 464
    .language:       OpenCL C
    .language_version:
      - 2
      - 0
    .max_flat_workgroup_size: 64
    .name:           _ZL15flash_attn_tileILi64ELi64ELi1ELi4ELb1EEvPKcS1_S1_S1_S1_PKiPfP15HIP_vector_typeIfLj2EEffffjfiS5_IjLj3EEiiiiiiiiiiiliiliiiiil
    .private_segment_fixed_size: 16
    .sgpr_count:     36
    .sgpr_spill_count: 0
    .symbol:         _ZL15flash_attn_tileILi64ELi64ELi1ELi4ELb1EEvPKcS1_S1_S1_S1_PKiPfP15HIP_vector_typeIfLj2EEffffjfiS5_IjLj3EEiiiiiiiiiiiliiliiiiil.kd
    .uniform_work_group_size: 1
    .uses_dynamic_stack: false
    .vgpr_count:     40
    .vgpr_spill_count: 0
    .wavefront_size: 32
    .workgroup_processor_mode: 1
  - .args:
      - .address_space:  global
        .offset:         0
        .size:           8
        .value_kind:     global_buffer
      - .address_space:  global
        .offset:         8
        .size:           8
        .value_kind:     global_buffer
      - .address_space:  global
        .offset:         16
        .size:           8
        .value_kind:     global_buffer
      - .address_space:  global
        .offset:         24
        .size:           8
        .value_kind:     global_buffer
      - .address_space:  global
        .offset:         32
        .size:           8
        .value_kind:     global_buffer
      - .address_space:  global
        .offset:         40
        .size:           8
        .value_kind:     global_buffer
      - .address_space:  global
        .offset:         48
        .size:           8
        .value_kind:     global_buffer
      - .address_space:  global
        .offset:         56
        .size:           8
        .value_kind:     global_buffer
      - .offset:         64
        .size:           4
        .value_kind:     by_value
      - .offset:         68
        .size:           4
        .value_kind:     by_value
      - .offset:         72
        .size:           4
        .value_kind:     by_value
      - .offset:         76
        .size:           4
        .value_kind:     by_value
      - .offset:         80
        .size:           4
        .value_kind:     by_value
      - .offset:         84
        .size:           4
        .value_kind:     by_value
      - .offset:         88
        .size:           4
        .value_kind:     by_value
      - .offset:         92
        .size:           12
        .value_kind:     by_value
      - .offset:         104
        .size:           4
        .value_kind:     by_value
      - .offset:         108
        .size:           4
        .value_kind:     by_value
      - .offset:         112
        .size:           4
        .value_kind:     by_value
      - .offset:         116
        .size:           4
        .value_kind:     by_value
      - .offset:         120
        .size:           4
        .value_kind:     by_value
      - .offset:         124
        .size:           4
        .value_kind:     by_value
      - .offset:         128
        .size:           4
        .value_kind:     by_value
      - .offset:         132
        .size:           4
        .value_kind:     by_value
      - .offset:         136
        .size:           4
        .value_kind:     by_value
      - .offset:         140
        .size:           4
        .value_kind:     by_value
      - .offset:         144
        .size:           4
        .value_kind:     by_value
      - .offset:         152
        .size:           8
        .value_kind:     by_value
      - .offset:         160
        .size:           4
        .value_kind:     by_value
      - .offset:         164
        .size:           4
        .value_kind:     by_value
      - .offset:         168
        .size:           8
        .value_kind:     by_value
      - .offset:         176
        .size:           4
        .value_kind:     by_value
      - .offset:         180
        .size:           4
        .value_kind:     by_value
      - .offset:         184
        .size:           4
        .value_kind:     by_value
      - .offset:         188
        .size:           4
        .value_kind:     by_value
      - .offset:         192
        .size:           4
        .value_kind:     by_value
      - .offset:         200
        .size:           8
        .value_kind:     by_value
      - .offset:         208
        .size:           4
        .value_kind:     hidden_block_count_x
      - .offset:         212
        .size:           4
        .value_kind:     hidden_block_count_y
      - .offset:         216
        .size:           4
        .value_kind:     hidden_block_count_z
      - .offset:         220
        .size:           2
        .value_kind:     hidden_group_size_x
      - .offset:         222
        .size:           2
        .value_kind:     hidden_group_size_y
      - .offset:         224
        .size:           2
        .value_kind:     hidden_group_size_z
      - .offset:         226
        .size:           2
        .value_kind:     hidden_remainder_x
      - .offset:         228
        .size:           2
        .value_kind:     hidden_remainder_y
      - .offset:         230
        .size:           2
        .value_kind:     hidden_remainder_z
      - .offset:         248
        .size:           8
        .value_kind:     hidden_global_offset_x
      - .offset:         256
        .size:           8
        .value_kind:     hidden_global_offset_y
      - .offset:         264
        .size:           8
        .value_kind:     hidden_global_offset_z
      - .offset:         272
        .size:           2
        .value_kind:     hidden_grid_dims
      - .offset:         288
        .size:           8
        .value_kind:     hidden_hostcall_buffer
    .group_segment_fixed_size: 0
    .kernarg_segment_align: 8
    .kernarg_segment_size: 464
    .language:       OpenCL C
    .language_version:
      - 2
      - 0
    .max_flat_workgroup_size: 128
    .name:           _ZL15flash_attn_tileILi64ELi64ELi32ELi2ELb1EEvPKcS1_S1_S1_S1_PKiPfP15HIP_vector_typeIfLj2EEffffjfiS5_IjLj3EEiiiiiiiiiiiliiliiiiil
    .private_segment_fixed_size: 16
    .sgpr_count:     36
    .sgpr_spill_count: 0
    .symbol:         _ZL15flash_attn_tileILi64ELi64ELi32ELi2ELb1EEvPKcS1_S1_S1_S1_PKiPfP15HIP_vector_typeIfLj2EEffffjfiS5_IjLj3EEiiiiiiiiiiiliiliiiiil.kd
    .uniform_work_group_size: 1
    .uses_dynamic_stack: false
    .vgpr_count:     40
    .vgpr_spill_count: 0
    .wavefront_size: 32
    .workgroup_processor_mode: 1
  - .args:
      - .address_space:  global
        .offset:         0
        .size:           8
        .value_kind:     global_buffer
      - .address_space:  global
        .offset:         8
        .size:           8
        .value_kind:     global_buffer
      - .address_space:  global
        .offset:         16
        .size:           8
        .value_kind:     global_buffer
      - .address_space:  global
        .offset:         24
        .size:           8
        .value_kind:     global_buffer
      - .address_space:  global
        .offset:         32
        .size:           8
        .value_kind:     global_buffer
      - .address_space:  global
        .offset:         40
        .size:           8
        .value_kind:     global_buffer
      - .address_space:  global
        .offset:         48
        .size:           8
        .value_kind:     global_buffer
      - .address_space:  global
        .offset:         56
        .size:           8
        .value_kind:     global_buffer
      - .offset:         64
        .size:           4
        .value_kind:     by_value
      - .offset:         68
        .size:           4
        .value_kind:     by_value
      - .offset:         72
        .size:           4
        .value_kind:     by_value
      - .offset:         76
        .size:           4
        .value_kind:     by_value
      - .offset:         80
        .size:           4
        .value_kind:     by_value
      - .offset:         84
        .size:           4
        .value_kind:     by_value
      - .offset:         88
        .size:           4
        .value_kind:     by_value
      - .offset:         92
        .size:           12
        .value_kind:     by_value
      - .offset:         104
        .size:           4
        .value_kind:     by_value
      - .offset:         108
        .size:           4
        .value_kind:     by_value
      - .offset:         112
        .size:           4
        .value_kind:     by_value
      - .offset:         116
        .size:           4
        .value_kind:     by_value
      - .offset:         120
        .size:           4
        .value_kind:     by_value
      - .offset:         124
        .size:           4
        .value_kind:     by_value
      - .offset:         128
        .size:           4
        .value_kind:     by_value
      - .offset:         132
        .size:           4
        .value_kind:     by_value
      - .offset:         136
        .size:           4
        .value_kind:     by_value
      - .offset:         140
        .size:           4
        .value_kind:     by_value
      - .offset:         144
        .size:           4
        .value_kind:     by_value
      - .offset:         152
        .size:           8
        .value_kind:     by_value
      - .offset:         160
        .size:           4
        .value_kind:     by_value
      - .offset:         164
        .size:           4
        .value_kind:     by_value
      - .offset:         168
        .size:           8
        .value_kind:     by_value
      - .offset:         176
        .size:           4
        .value_kind:     by_value
      - .offset:         180
        .size:           4
        .value_kind:     by_value
      - .offset:         184
        .size:           4
        .value_kind:     by_value
      - .offset:         188
        .size:           4
        .value_kind:     by_value
      - .offset:         192
        .size:           4
        .value_kind:     by_value
      - .offset:         200
        .size:           8
        .value_kind:     by_value
      - .offset:         208
        .size:           4
        .value_kind:     hidden_block_count_x
      - .offset:         212
        .size:           4
        .value_kind:     hidden_block_count_y
      - .offset:         216
        .size:           4
        .value_kind:     hidden_block_count_z
      - .offset:         220
        .size:           2
        .value_kind:     hidden_group_size_x
      - .offset:         222
        .size:           2
        .value_kind:     hidden_group_size_y
      - .offset:         224
        .size:           2
        .value_kind:     hidden_group_size_z
      - .offset:         226
        .size:           2
        .value_kind:     hidden_remainder_x
      - .offset:         228
        .size:           2
        .value_kind:     hidden_remainder_y
      - .offset:         230
        .size:           2
        .value_kind:     hidden_remainder_z
      - .offset:         248
        .size:           8
        .value_kind:     hidden_global_offset_x
      - .offset:         256
        .size:           8
        .value_kind:     hidden_global_offset_y
      - .offset:         264
        .size:           8
        .value_kind:     hidden_global_offset_z
      - .offset:         272
        .size:           2
        .value_kind:     hidden_grid_dims
      - .offset:         288
        .size:           8
        .value_kind:     hidden_hostcall_buffer
    .group_segment_fixed_size: 0
    .kernarg_segment_align: 8
    .kernarg_segment_size: 464
    .language:       OpenCL C
    .language_version:
      - 2
      - 0
    .max_flat_workgroup_size: 128
    .name:           _ZL15flash_attn_tileILi64ELi64ELi16ELi2ELb1EEvPKcS1_S1_S1_S1_PKiPfP15HIP_vector_typeIfLj2EEffffjfiS5_IjLj3EEiiiiiiiiiiiliiliiiiil
    .private_segment_fixed_size: 16
    .sgpr_count:     36
    .sgpr_spill_count: 0
    .symbol:         _ZL15flash_attn_tileILi64ELi64ELi16ELi2ELb1EEvPKcS1_S1_S1_S1_PKiPfP15HIP_vector_typeIfLj2EEffffjfiS5_IjLj3EEiiiiiiiiiiiliiliiiiil.kd
    .uniform_work_group_size: 1
    .uses_dynamic_stack: false
    .vgpr_count:     40
    .vgpr_spill_count: 0
    .wavefront_size: 32
    .workgroup_processor_mode: 1
  - .args:
      - .address_space:  global
        .offset:         0
        .size:           8
        .value_kind:     global_buffer
      - .address_space:  global
        .offset:         8
        .size:           8
        .value_kind:     global_buffer
      - .address_space:  global
        .offset:         16
        .size:           8
        .value_kind:     global_buffer
      - .address_space:  global
        .offset:         24
        .size:           8
        .value_kind:     global_buffer
      - .address_space:  global
        .offset:         32
        .size:           8
        .value_kind:     global_buffer
      - .address_space:  global
        .offset:         40
        .size:           8
        .value_kind:     global_buffer
      - .address_space:  global
        .offset:         48
        .size:           8
        .value_kind:     global_buffer
      - .address_space:  global
        .offset:         56
        .size:           8
        .value_kind:     global_buffer
      - .offset:         64
        .size:           4
        .value_kind:     by_value
      - .offset:         68
        .size:           4
        .value_kind:     by_value
      - .offset:         72
        .size:           4
        .value_kind:     by_value
      - .offset:         76
        .size:           4
        .value_kind:     by_value
      - .offset:         80
        .size:           4
        .value_kind:     by_value
      - .offset:         84
        .size:           4
        .value_kind:     by_value
      - .offset:         88
        .size:           4
        .value_kind:     by_value
      - .offset:         92
        .size:           12
        .value_kind:     by_value
      - .offset:         104
        .size:           4
        .value_kind:     by_value
      - .offset:         108
        .size:           4
        .value_kind:     by_value
      - .offset:         112
        .size:           4
        .value_kind:     by_value
      - .offset:         116
        .size:           4
        .value_kind:     by_value
      - .offset:         120
        .size:           4
        .value_kind:     by_value
      - .offset:         124
        .size:           4
        .value_kind:     by_value
      - .offset:         128
        .size:           4
        .value_kind:     by_value
      - .offset:         132
        .size:           4
        .value_kind:     by_value
      - .offset:         136
        .size:           4
        .value_kind:     by_value
      - .offset:         140
        .size:           4
        .value_kind:     by_value
      - .offset:         144
        .size:           4
        .value_kind:     by_value
      - .offset:         152
        .size:           8
        .value_kind:     by_value
      - .offset:         160
        .size:           4
        .value_kind:     by_value
      - .offset:         164
        .size:           4
        .value_kind:     by_value
      - .offset:         168
        .size:           8
        .value_kind:     by_value
      - .offset:         176
        .size:           4
        .value_kind:     by_value
      - .offset:         180
        .size:           4
        .value_kind:     by_value
      - .offset:         184
        .size:           4
        .value_kind:     by_value
      - .offset:         188
        .size:           4
        .value_kind:     by_value
      - .offset:         192
        .size:           4
        .value_kind:     by_value
      - .offset:         200
        .size:           8
        .value_kind:     by_value
      - .offset:         208
        .size:           4
        .value_kind:     hidden_block_count_x
      - .offset:         212
        .size:           4
        .value_kind:     hidden_block_count_y
      - .offset:         216
        .size:           4
        .value_kind:     hidden_block_count_z
      - .offset:         220
        .size:           2
        .value_kind:     hidden_group_size_x
      - .offset:         222
        .size:           2
        .value_kind:     hidden_group_size_y
      - .offset:         224
        .size:           2
        .value_kind:     hidden_group_size_z
      - .offset:         226
        .size:           2
        .value_kind:     hidden_remainder_x
      - .offset:         228
        .size:           2
        .value_kind:     hidden_remainder_y
      - .offset:         230
        .size:           2
        .value_kind:     hidden_remainder_z
      - .offset:         248
        .size:           8
        .value_kind:     hidden_global_offset_x
      - .offset:         256
        .size:           8
        .value_kind:     hidden_global_offset_y
      - .offset:         264
        .size:           8
        .value_kind:     hidden_global_offset_z
      - .offset:         272
        .size:           2
        .value_kind:     hidden_grid_dims
      - .offset:         288
        .size:           8
        .value_kind:     hidden_hostcall_buffer
    .group_segment_fixed_size: 0
    .kernarg_segment_align: 8
    .kernarg_segment_size: 464
    .language:       OpenCL C
    .language_version:
      - 2
      - 0
    .max_flat_workgroup_size: 128
    .name:           _ZL15flash_attn_tileILi64ELi64ELi8ELi2ELb1EEvPKcS1_S1_S1_S1_PKiPfP15HIP_vector_typeIfLj2EEffffjfiS5_IjLj3EEiiiiiiiiiiiliiliiiiil
    .private_segment_fixed_size: 16
    .sgpr_count:     36
    .sgpr_spill_count: 0
    .symbol:         _ZL15flash_attn_tileILi64ELi64ELi8ELi2ELb1EEvPKcS1_S1_S1_S1_PKiPfP15HIP_vector_typeIfLj2EEffffjfiS5_IjLj3EEiiiiiiiiiiiliiliiiiil.kd
    .uniform_work_group_size: 1
    .uses_dynamic_stack: false
    .vgpr_count:     40
    .vgpr_spill_count: 0
    .wavefront_size: 32
    .workgroup_processor_mode: 1
  - .args:
      - .address_space:  global
        .offset:         0
        .size:           8
        .value_kind:     global_buffer
      - .address_space:  global
        .offset:         8
        .size:           8
        .value_kind:     global_buffer
      - .address_space:  global
        .offset:         16
        .size:           8
        .value_kind:     global_buffer
      - .address_space:  global
        .offset:         24
        .size:           8
        .value_kind:     global_buffer
      - .address_space:  global
        .offset:         32
        .size:           8
        .value_kind:     global_buffer
      - .address_space:  global
        .offset:         40
        .size:           8
        .value_kind:     global_buffer
      - .address_space:  global
        .offset:         48
        .size:           8
        .value_kind:     global_buffer
      - .address_space:  global
        .offset:         56
        .size:           8
        .value_kind:     global_buffer
      - .offset:         64
        .size:           4
        .value_kind:     by_value
      - .offset:         68
        .size:           4
        .value_kind:     by_value
      - .offset:         72
        .size:           4
        .value_kind:     by_value
      - .offset:         76
        .size:           4
        .value_kind:     by_value
      - .offset:         80
        .size:           4
        .value_kind:     by_value
      - .offset:         84
        .size:           4
        .value_kind:     by_value
      - .offset:         88
        .size:           4
        .value_kind:     by_value
      - .offset:         92
        .size:           12
        .value_kind:     by_value
      - .offset:         104
        .size:           4
        .value_kind:     by_value
      - .offset:         108
        .size:           4
        .value_kind:     by_value
      - .offset:         112
        .size:           4
        .value_kind:     by_value
      - .offset:         116
        .size:           4
        .value_kind:     by_value
      - .offset:         120
        .size:           4
        .value_kind:     by_value
      - .offset:         124
        .size:           4
        .value_kind:     by_value
      - .offset:         128
        .size:           4
        .value_kind:     by_value
      - .offset:         132
        .size:           4
        .value_kind:     by_value
      - .offset:         136
        .size:           4
        .value_kind:     by_value
      - .offset:         140
        .size:           4
        .value_kind:     by_value
      - .offset:         144
        .size:           4
        .value_kind:     by_value
      - .offset:         152
        .size:           8
        .value_kind:     by_value
      - .offset:         160
        .size:           4
        .value_kind:     by_value
      - .offset:         164
        .size:           4
        .value_kind:     by_value
      - .offset:         168
        .size:           8
        .value_kind:     by_value
      - .offset:         176
        .size:           4
        .value_kind:     by_value
      - .offset:         180
        .size:           4
        .value_kind:     by_value
      - .offset:         184
        .size:           4
        .value_kind:     by_value
      - .offset:         188
        .size:           4
        .value_kind:     by_value
      - .offset:         192
        .size:           4
        .value_kind:     by_value
      - .offset:         200
        .size:           8
        .value_kind:     by_value
      - .offset:         208
        .size:           4
        .value_kind:     hidden_block_count_x
      - .offset:         212
        .size:           4
        .value_kind:     hidden_block_count_y
      - .offset:         216
        .size:           4
        .value_kind:     hidden_block_count_z
      - .offset:         220
        .size:           2
        .value_kind:     hidden_group_size_x
      - .offset:         222
        .size:           2
        .value_kind:     hidden_group_size_y
      - .offset:         224
        .size:           2
        .value_kind:     hidden_group_size_z
      - .offset:         226
        .size:           2
        .value_kind:     hidden_remainder_x
      - .offset:         228
        .size:           2
        .value_kind:     hidden_remainder_y
      - .offset:         230
        .size:           2
        .value_kind:     hidden_remainder_z
      - .offset:         248
        .size:           8
        .value_kind:     hidden_global_offset_x
      - .offset:         256
        .size:           8
        .value_kind:     hidden_global_offset_y
      - .offset:         264
        .size:           8
        .value_kind:     hidden_global_offset_z
      - .offset:         272
        .size:           2
        .value_kind:     hidden_grid_dims
      - .offset:         288
        .size:           8
        .value_kind:     hidden_hostcall_buffer
    .group_segment_fixed_size: 0
    .kernarg_segment_align: 8
    .kernarg_segment_size: 464
    .language:       OpenCL C
    .language_version:
      - 2
      - 0
    .max_flat_workgroup_size: 128
    .name:           _ZL15flash_attn_tileILi64ELi64ELi4ELi2ELb1EEvPKcS1_S1_S1_S1_PKiPfP15HIP_vector_typeIfLj2EEffffjfiS5_IjLj3EEiiiiiiiiiiiliiliiiiil
    .private_segment_fixed_size: 16
    .sgpr_count:     36
    .sgpr_spill_count: 0
    .symbol:         _ZL15flash_attn_tileILi64ELi64ELi4ELi2ELb1EEvPKcS1_S1_S1_S1_PKiPfP15HIP_vector_typeIfLj2EEffffjfiS5_IjLj3EEiiiiiiiiiiiliiliiiiil.kd
    .uniform_work_group_size: 1
    .uses_dynamic_stack: false
    .vgpr_count:     40
    .vgpr_spill_count: 0
    .wavefront_size: 32
    .workgroup_processor_mode: 1
  - .args:
      - .address_space:  global
        .offset:         0
        .size:           8
        .value_kind:     global_buffer
      - .address_space:  global
        .offset:         8
        .size:           8
        .value_kind:     global_buffer
      - .address_space:  global
        .offset:         16
        .size:           8
        .value_kind:     global_buffer
      - .address_space:  global
        .offset:         24
        .size:           8
        .value_kind:     global_buffer
      - .address_space:  global
        .offset:         32
        .size:           8
        .value_kind:     global_buffer
      - .address_space:  global
        .offset:         40
        .size:           8
        .value_kind:     global_buffer
      - .address_space:  global
        .offset:         48
        .size:           8
        .value_kind:     global_buffer
      - .address_space:  global
        .offset:         56
        .size:           8
        .value_kind:     global_buffer
      - .offset:         64
        .size:           4
        .value_kind:     by_value
      - .offset:         68
        .size:           4
        .value_kind:     by_value
      - .offset:         72
        .size:           4
        .value_kind:     by_value
      - .offset:         76
        .size:           4
        .value_kind:     by_value
      - .offset:         80
        .size:           4
        .value_kind:     by_value
      - .offset:         84
        .size:           4
        .value_kind:     by_value
      - .offset:         88
        .size:           4
        .value_kind:     by_value
      - .offset:         92
        .size:           12
        .value_kind:     by_value
      - .offset:         104
        .size:           4
        .value_kind:     by_value
      - .offset:         108
        .size:           4
        .value_kind:     by_value
      - .offset:         112
        .size:           4
        .value_kind:     by_value
      - .offset:         116
        .size:           4
        .value_kind:     by_value
      - .offset:         120
        .size:           4
        .value_kind:     by_value
      - .offset:         124
        .size:           4
        .value_kind:     by_value
      - .offset:         128
        .size:           4
        .value_kind:     by_value
      - .offset:         132
        .size:           4
        .value_kind:     by_value
      - .offset:         136
        .size:           4
        .value_kind:     by_value
      - .offset:         140
        .size:           4
        .value_kind:     by_value
      - .offset:         144
        .size:           4
        .value_kind:     by_value
      - .offset:         152
        .size:           8
        .value_kind:     by_value
      - .offset:         160
        .size:           4
        .value_kind:     by_value
      - .offset:         164
        .size:           4
        .value_kind:     by_value
      - .offset:         168
        .size:           8
        .value_kind:     by_value
      - .offset:         176
        .size:           4
        .value_kind:     by_value
      - .offset:         180
        .size:           4
        .value_kind:     by_value
      - .offset:         184
        .size:           4
        .value_kind:     by_value
      - .offset:         188
        .size:           4
        .value_kind:     by_value
      - .offset:         192
        .size:           4
        .value_kind:     by_value
      - .offset:         200
        .size:           8
        .value_kind:     by_value
      - .offset:         208
        .size:           4
        .value_kind:     hidden_block_count_x
      - .offset:         212
        .size:           4
        .value_kind:     hidden_block_count_y
      - .offset:         216
        .size:           4
        .value_kind:     hidden_block_count_z
      - .offset:         220
        .size:           2
        .value_kind:     hidden_group_size_x
      - .offset:         222
        .size:           2
        .value_kind:     hidden_group_size_y
      - .offset:         224
        .size:           2
        .value_kind:     hidden_group_size_z
      - .offset:         226
        .size:           2
        .value_kind:     hidden_remainder_x
      - .offset:         228
        .size:           2
        .value_kind:     hidden_remainder_y
      - .offset:         230
        .size:           2
        .value_kind:     hidden_remainder_z
      - .offset:         248
        .size:           8
        .value_kind:     hidden_global_offset_x
      - .offset:         256
        .size:           8
        .value_kind:     hidden_global_offset_y
      - .offset:         264
        .size:           8
        .value_kind:     hidden_global_offset_z
      - .offset:         272
        .size:           2
        .value_kind:     hidden_grid_dims
      - .offset:         288
        .size:           8
        .value_kind:     hidden_hostcall_buffer
    .group_segment_fixed_size: 0
    .kernarg_segment_align: 8
    .kernarg_segment_size: 464
    .language:       OpenCL C
    .language_version:
      - 2
      - 0
    .max_flat_workgroup_size: 64
    .name:           _ZL15flash_attn_tileILi64ELi64ELi2ELi2ELb1EEvPKcS1_S1_S1_S1_PKiPfP15HIP_vector_typeIfLj2EEffffjfiS5_IjLj3EEiiiiiiiiiiiliiliiiiil
    .private_segment_fixed_size: 16
    .sgpr_count:     36
    .sgpr_spill_count: 0
    .symbol:         _ZL15flash_attn_tileILi64ELi64ELi2ELi2ELb1EEvPKcS1_S1_S1_S1_PKiPfP15HIP_vector_typeIfLj2EEffffjfiS5_IjLj3EEiiiiiiiiiiiliiliiiiil.kd
    .uniform_work_group_size: 1
    .uses_dynamic_stack: false
    .vgpr_count:     40
    .vgpr_spill_count: 0
    .wavefront_size: 32
    .workgroup_processor_mode: 1
  - .args:
      - .address_space:  global
        .offset:         0
        .size:           8
        .value_kind:     global_buffer
      - .address_space:  global
        .offset:         8
        .size:           8
        .value_kind:     global_buffer
      - .address_space:  global
        .offset:         16
        .size:           8
        .value_kind:     global_buffer
      - .address_space:  global
        .offset:         24
        .size:           8
        .value_kind:     global_buffer
      - .address_space:  global
        .offset:         32
        .size:           8
        .value_kind:     global_buffer
      - .address_space:  global
        .offset:         40
        .size:           8
        .value_kind:     global_buffer
      - .address_space:  global
        .offset:         48
        .size:           8
        .value_kind:     global_buffer
      - .address_space:  global
        .offset:         56
        .size:           8
        .value_kind:     global_buffer
      - .offset:         64
        .size:           4
        .value_kind:     by_value
      - .offset:         68
        .size:           4
        .value_kind:     by_value
      - .offset:         72
        .size:           4
        .value_kind:     by_value
      - .offset:         76
        .size:           4
        .value_kind:     by_value
      - .offset:         80
        .size:           4
        .value_kind:     by_value
      - .offset:         84
        .size:           4
        .value_kind:     by_value
      - .offset:         88
        .size:           4
        .value_kind:     by_value
      - .offset:         92
        .size:           12
        .value_kind:     by_value
      - .offset:         104
        .size:           4
        .value_kind:     by_value
      - .offset:         108
        .size:           4
        .value_kind:     by_value
      - .offset:         112
        .size:           4
        .value_kind:     by_value
      - .offset:         116
        .size:           4
        .value_kind:     by_value
      - .offset:         120
        .size:           4
        .value_kind:     by_value
      - .offset:         124
        .size:           4
        .value_kind:     by_value
      - .offset:         128
        .size:           4
        .value_kind:     by_value
      - .offset:         132
        .size:           4
        .value_kind:     by_value
      - .offset:         136
        .size:           4
        .value_kind:     by_value
      - .offset:         140
        .size:           4
        .value_kind:     by_value
      - .offset:         144
        .size:           4
        .value_kind:     by_value
      - .offset:         152
        .size:           8
        .value_kind:     by_value
      - .offset:         160
        .size:           4
        .value_kind:     by_value
      - .offset:         164
        .size:           4
        .value_kind:     by_value
      - .offset:         168
        .size:           8
        .value_kind:     by_value
      - .offset:         176
        .size:           4
        .value_kind:     by_value
      - .offset:         180
        .size:           4
        .value_kind:     by_value
      - .offset:         184
        .size:           4
        .value_kind:     by_value
      - .offset:         188
        .size:           4
        .value_kind:     by_value
      - .offset:         192
        .size:           4
        .value_kind:     by_value
      - .offset:         200
        .size:           8
        .value_kind:     by_value
      - .offset:         208
        .size:           4
        .value_kind:     hidden_block_count_x
      - .offset:         212
        .size:           4
        .value_kind:     hidden_block_count_y
      - .offset:         216
        .size:           4
        .value_kind:     hidden_block_count_z
      - .offset:         220
        .size:           2
        .value_kind:     hidden_group_size_x
      - .offset:         222
        .size:           2
        .value_kind:     hidden_group_size_y
      - .offset:         224
        .size:           2
        .value_kind:     hidden_group_size_z
      - .offset:         226
        .size:           2
        .value_kind:     hidden_remainder_x
      - .offset:         228
        .size:           2
        .value_kind:     hidden_remainder_y
      - .offset:         230
        .size:           2
        .value_kind:     hidden_remainder_z
      - .offset:         248
        .size:           8
        .value_kind:     hidden_global_offset_x
      - .offset:         256
        .size:           8
        .value_kind:     hidden_global_offset_y
      - .offset:         264
        .size:           8
        .value_kind:     hidden_global_offset_z
      - .offset:         272
        .size:           2
        .value_kind:     hidden_grid_dims
      - .offset:         288
        .size:           8
        .value_kind:     hidden_hostcall_buffer
    .group_segment_fixed_size: 0
    .kernarg_segment_align: 8
    .kernarg_segment_size: 464
    .language:       OpenCL C
    .language_version:
      - 2
      - 0
    .max_flat_workgroup_size: 64
    .name:           _ZL15flash_attn_tileILi64ELi64ELi1ELi2ELb1EEvPKcS1_S1_S1_S1_PKiPfP15HIP_vector_typeIfLj2EEffffjfiS5_IjLj3EEiiiiiiiiiiiliiliiiiil
    .private_segment_fixed_size: 16
    .sgpr_count:     36
    .sgpr_spill_count: 0
    .symbol:         _ZL15flash_attn_tileILi64ELi64ELi1ELi2ELb1EEvPKcS1_S1_S1_S1_PKiPfP15HIP_vector_typeIfLj2EEffffjfiS5_IjLj3EEiiiiiiiiiiiliiliiiiil.kd
    .uniform_work_group_size: 1
    .uses_dynamic_stack: false
    .vgpr_count:     40
    .vgpr_spill_count: 0
    .wavefront_size: 32
    .workgroup_processor_mode: 1
  - .args:
      - .address_space:  global
        .offset:         0
        .size:           8
        .value_kind:     global_buffer
      - .address_space:  global
        .offset:         8
        .size:           8
        .value_kind:     global_buffer
      - .address_space:  global
        .offset:         16
        .size:           8
        .value_kind:     global_buffer
      - .address_space:  global
        .offset:         24
        .size:           8
        .value_kind:     global_buffer
      - .address_space:  global
        .offset:         32
        .size:           8
        .value_kind:     global_buffer
      - .address_space:  global
        .offset:         40
        .size:           8
        .value_kind:     global_buffer
      - .address_space:  global
        .offset:         48
        .size:           8
        .value_kind:     global_buffer
      - .address_space:  global
        .offset:         56
        .size:           8
        .value_kind:     global_buffer
      - .offset:         64
        .size:           4
        .value_kind:     by_value
      - .offset:         68
        .size:           4
        .value_kind:     by_value
      - .offset:         72
        .size:           4
        .value_kind:     by_value
      - .offset:         76
        .size:           4
        .value_kind:     by_value
      - .offset:         80
        .size:           4
        .value_kind:     by_value
      - .offset:         84
        .size:           4
        .value_kind:     by_value
      - .offset:         88
        .size:           4
        .value_kind:     by_value
      - .offset:         92
        .size:           12
        .value_kind:     by_value
      - .offset:         104
        .size:           4
        .value_kind:     by_value
      - .offset:         108
        .size:           4
        .value_kind:     by_value
      - .offset:         112
        .size:           4
        .value_kind:     by_value
      - .offset:         116
        .size:           4
        .value_kind:     by_value
      - .offset:         120
        .size:           4
        .value_kind:     by_value
      - .offset:         124
        .size:           4
        .value_kind:     by_value
      - .offset:         128
        .size:           4
        .value_kind:     by_value
      - .offset:         132
        .size:           4
        .value_kind:     by_value
      - .offset:         136
        .size:           4
        .value_kind:     by_value
      - .offset:         140
        .size:           4
        .value_kind:     by_value
      - .offset:         144
        .size:           4
        .value_kind:     by_value
      - .offset:         152
        .size:           8
        .value_kind:     by_value
      - .offset:         160
        .size:           4
        .value_kind:     by_value
      - .offset:         164
        .size:           4
        .value_kind:     by_value
      - .offset:         168
        .size:           8
        .value_kind:     by_value
      - .offset:         176
        .size:           4
        .value_kind:     by_value
      - .offset:         180
        .size:           4
        .value_kind:     by_value
      - .offset:         184
        .size:           4
        .value_kind:     by_value
      - .offset:         188
        .size:           4
        .value_kind:     by_value
      - .offset:         192
        .size:           4
        .value_kind:     by_value
      - .offset:         200
        .size:           8
        .value_kind:     by_value
      - .offset:         208
        .size:           4
        .value_kind:     hidden_block_count_x
      - .offset:         212
        .size:           4
        .value_kind:     hidden_block_count_y
      - .offset:         216
        .size:           4
        .value_kind:     hidden_block_count_z
      - .offset:         220
        .size:           2
        .value_kind:     hidden_group_size_x
      - .offset:         222
        .size:           2
        .value_kind:     hidden_group_size_y
      - .offset:         224
        .size:           2
        .value_kind:     hidden_group_size_z
      - .offset:         226
        .size:           2
        .value_kind:     hidden_remainder_x
      - .offset:         228
        .size:           2
        .value_kind:     hidden_remainder_y
      - .offset:         230
        .size:           2
        .value_kind:     hidden_remainder_z
      - .offset:         248
        .size:           8
        .value_kind:     hidden_global_offset_x
      - .offset:         256
        .size:           8
        .value_kind:     hidden_global_offset_y
      - .offset:         264
        .size:           8
        .value_kind:     hidden_global_offset_z
      - .offset:         272
        .size:           2
        .value_kind:     hidden_grid_dims
      - .offset:         288
        .size:           8
        .value_kind:     hidden_hostcall_buffer
    .group_segment_fixed_size: 0
    .kernarg_segment_align: 8
    .kernarg_segment_size: 464
    .language:       OpenCL C
    .language_version:
      - 2
      - 0
    .max_flat_workgroup_size: 128
    .name:           _ZL15flash_attn_tileILi64ELi64ELi64ELi1ELb1EEvPKcS1_S1_S1_S1_PKiPfP15HIP_vector_typeIfLj2EEffffjfiS5_IjLj3EEiiiiiiiiiiiliiliiiiil
    .private_segment_fixed_size: 16
    .sgpr_count:     36
    .sgpr_spill_count: 0
    .symbol:         _ZL15flash_attn_tileILi64ELi64ELi64ELi1ELb1EEvPKcS1_S1_S1_S1_PKiPfP15HIP_vector_typeIfLj2EEffffjfiS5_IjLj3EEiiiiiiiiiiiliiliiiiil.kd
    .uniform_work_group_size: 1
    .uses_dynamic_stack: false
    .vgpr_count:     40
    .vgpr_spill_count: 0
    .wavefront_size: 32
    .workgroup_processor_mode: 1
  - .args:
      - .address_space:  global
        .offset:         0
        .size:           8
        .value_kind:     global_buffer
      - .address_space:  global
        .offset:         8
        .size:           8
        .value_kind:     global_buffer
      - .address_space:  global
        .offset:         16
        .size:           8
        .value_kind:     global_buffer
      - .address_space:  global
        .offset:         24
        .size:           8
        .value_kind:     global_buffer
      - .address_space:  global
        .offset:         32
        .size:           8
        .value_kind:     global_buffer
      - .address_space:  global
        .offset:         40
        .size:           8
        .value_kind:     global_buffer
      - .address_space:  global
        .offset:         48
        .size:           8
        .value_kind:     global_buffer
      - .address_space:  global
        .offset:         56
        .size:           8
        .value_kind:     global_buffer
      - .offset:         64
        .size:           4
        .value_kind:     by_value
      - .offset:         68
        .size:           4
        .value_kind:     by_value
      - .offset:         72
        .size:           4
        .value_kind:     by_value
      - .offset:         76
        .size:           4
        .value_kind:     by_value
      - .offset:         80
        .size:           4
        .value_kind:     by_value
      - .offset:         84
        .size:           4
        .value_kind:     by_value
      - .offset:         88
        .size:           4
        .value_kind:     by_value
      - .offset:         92
        .size:           12
        .value_kind:     by_value
      - .offset:         104
        .size:           4
        .value_kind:     by_value
      - .offset:         108
        .size:           4
        .value_kind:     by_value
      - .offset:         112
        .size:           4
        .value_kind:     by_value
      - .offset:         116
        .size:           4
        .value_kind:     by_value
      - .offset:         120
        .size:           4
        .value_kind:     by_value
      - .offset:         124
        .size:           4
        .value_kind:     by_value
      - .offset:         128
        .size:           4
        .value_kind:     by_value
      - .offset:         132
        .size:           4
        .value_kind:     by_value
      - .offset:         136
        .size:           4
        .value_kind:     by_value
      - .offset:         140
        .size:           4
        .value_kind:     by_value
      - .offset:         144
        .size:           4
        .value_kind:     by_value
      - .offset:         152
        .size:           8
        .value_kind:     by_value
      - .offset:         160
        .size:           4
        .value_kind:     by_value
      - .offset:         164
        .size:           4
        .value_kind:     by_value
      - .offset:         168
        .size:           8
        .value_kind:     by_value
      - .offset:         176
        .size:           4
        .value_kind:     by_value
      - .offset:         180
        .size:           4
        .value_kind:     by_value
      - .offset:         184
        .size:           4
        .value_kind:     by_value
      - .offset:         188
        .size:           4
        .value_kind:     by_value
      - .offset:         192
        .size:           4
        .value_kind:     by_value
      - .offset:         200
        .size:           8
        .value_kind:     by_value
      - .offset:         208
        .size:           4
        .value_kind:     hidden_block_count_x
      - .offset:         212
        .size:           4
        .value_kind:     hidden_block_count_y
      - .offset:         216
        .size:           4
        .value_kind:     hidden_block_count_z
      - .offset:         220
        .size:           2
        .value_kind:     hidden_group_size_x
      - .offset:         222
        .size:           2
        .value_kind:     hidden_group_size_y
      - .offset:         224
        .size:           2
        .value_kind:     hidden_group_size_z
      - .offset:         226
        .size:           2
        .value_kind:     hidden_remainder_x
      - .offset:         228
        .size:           2
        .value_kind:     hidden_remainder_y
      - .offset:         230
        .size:           2
        .value_kind:     hidden_remainder_z
      - .offset:         248
        .size:           8
        .value_kind:     hidden_global_offset_x
      - .offset:         256
        .size:           8
        .value_kind:     hidden_global_offset_y
      - .offset:         264
        .size:           8
        .value_kind:     hidden_global_offset_z
      - .offset:         272
        .size:           2
        .value_kind:     hidden_grid_dims
      - .offset:         288
        .size:           8
        .value_kind:     hidden_hostcall_buffer
    .group_segment_fixed_size: 0
    .kernarg_segment_align: 8
    .kernarg_segment_size: 464
    .language:       OpenCL C
    .language_version:
      - 2
      - 0
    .max_flat_workgroup_size: 128
    .name:           _ZL15flash_attn_tileILi64ELi64ELi32ELi1ELb1EEvPKcS1_S1_S1_S1_PKiPfP15HIP_vector_typeIfLj2EEffffjfiS5_IjLj3EEiiiiiiiiiiiliiliiiiil
    .private_segment_fixed_size: 16
    .sgpr_count:     36
    .sgpr_spill_count: 0
    .symbol:         _ZL15flash_attn_tileILi64ELi64ELi32ELi1ELb1EEvPKcS1_S1_S1_S1_PKiPfP15HIP_vector_typeIfLj2EEffffjfiS5_IjLj3EEiiiiiiiiiiiliiliiiiil.kd
    .uniform_work_group_size: 1
    .uses_dynamic_stack: false
    .vgpr_count:     40
    .vgpr_spill_count: 0
    .wavefront_size: 32
    .workgroup_processor_mode: 1
  - .args:
      - .address_space:  global
        .offset:         0
        .size:           8
        .value_kind:     global_buffer
      - .address_space:  global
        .offset:         8
        .size:           8
        .value_kind:     global_buffer
      - .address_space:  global
        .offset:         16
        .size:           8
        .value_kind:     global_buffer
      - .address_space:  global
        .offset:         24
        .size:           8
        .value_kind:     global_buffer
      - .address_space:  global
        .offset:         32
        .size:           8
        .value_kind:     global_buffer
      - .address_space:  global
        .offset:         40
        .size:           8
        .value_kind:     global_buffer
      - .address_space:  global
        .offset:         48
        .size:           8
        .value_kind:     global_buffer
      - .address_space:  global
        .offset:         56
        .size:           8
        .value_kind:     global_buffer
      - .offset:         64
        .size:           4
        .value_kind:     by_value
      - .offset:         68
        .size:           4
        .value_kind:     by_value
      - .offset:         72
        .size:           4
        .value_kind:     by_value
      - .offset:         76
        .size:           4
        .value_kind:     by_value
      - .offset:         80
        .size:           4
        .value_kind:     by_value
      - .offset:         84
        .size:           4
        .value_kind:     by_value
      - .offset:         88
        .size:           4
        .value_kind:     by_value
      - .offset:         92
        .size:           12
        .value_kind:     by_value
      - .offset:         104
        .size:           4
        .value_kind:     by_value
      - .offset:         108
        .size:           4
        .value_kind:     by_value
      - .offset:         112
        .size:           4
        .value_kind:     by_value
      - .offset:         116
        .size:           4
        .value_kind:     by_value
      - .offset:         120
        .size:           4
        .value_kind:     by_value
      - .offset:         124
        .size:           4
        .value_kind:     by_value
      - .offset:         128
        .size:           4
        .value_kind:     by_value
      - .offset:         132
        .size:           4
        .value_kind:     by_value
      - .offset:         136
        .size:           4
        .value_kind:     by_value
      - .offset:         140
        .size:           4
        .value_kind:     by_value
      - .offset:         144
        .size:           4
        .value_kind:     by_value
      - .offset:         152
        .size:           8
        .value_kind:     by_value
      - .offset:         160
        .size:           4
        .value_kind:     by_value
      - .offset:         164
        .size:           4
        .value_kind:     by_value
      - .offset:         168
        .size:           8
        .value_kind:     by_value
      - .offset:         176
        .size:           4
        .value_kind:     by_value
      - .offset:         180
        .size:           4
        .value_kind:     by_value
      - .offset:         184
        .size:           4
        .value_kind:     by_value
      - .offset:         188
        .size:           4
        .value_kind:     by_value
      - .offset:         192
        .size:           4
        .value_kind:     by_value
      - .offset:         200
        .size:           8
        .value_kind:     by_value
      - .offset:         208
        .size:           4
        .value_kind:     hidden_block_count_x
      - .offset:         212
        .size:           4
        .value_kind:     hidden_block_count_y
      - .offset:         216
        .size:           4
        .value_kind:     hidden_block_count_z
      - .offset:         220
        .size:           2
        .value_kind:     hidden_group_size_x
      - .offset:         222
        .size:           2
        .value_kind:     hidden_group_size_y
      - .offset:         224
        .size:           2
        .value_kind:     hidden_group_size_z
      - .offset:         226
        .size:           2
        .value_kind:     hidden_remainder_x
      - .offset:         228
        .size:           2
        .value_kind:     hidden_remainder_y
      - .offset:         230
        .size:           2
        .value_kind:     hidden_remainder_z
      - .offset:         248
        .size:           8
        .value_kind:     hidden_global_offset_x
      - .offset:         256
        .size:           8
        .value_kind:     hidden_global_offset_y
      - .offset:         264
        .size:           8
        .value_kind:     hidden_global_offset_z
      - .offset:         272
        .size:           2
        .value_kind:     hidden_grid_dims
      - .offset:         288
        .size:           8
        .value_kind:     hidden_hostcall_buffer
    .group_segment_fixed_size: 0
    .kernarg_segment_align: 8
    .kernarg_segment_size: 464
    .language:       OpenCL C
    .language_version:
      - 2
      - 0
    .max_flat_workgroup_size: 128
    .name:           _ZL15flash_attn_tileILi64ELi64ELi16ELi1ELb1EEvPKcS1_S1_S1_S1_PKiPfP15HIP_vector_typeIfLj2EEffffjfiS5_IjLj3EEiiiiiiiiiiiliiliiiiil
    .private_segment_fixed_size: 16
    .sgpr_count:     36
    .sgpr_spill_count: 0
    .symbol:         _ZL15flash_attn_tileILi64ELi64ELi16ELi1ELb1EEvPKcS1_S1_S1_S1_PKiPfP15HIP_vector_typeIfLj2EEffffjfiS5_IjLj3EEiiiiiiiiiiiliiliiiiil.kd
    .uniform_work_group_size: 1
    .uses_dynamic_stack: false
    .vgpr_count:     40
    .vgpr_spill_count: 0
    .wavefront_size: 32
    .workgroup_processor_mode: 1
  - .args:
      - .address_space:  global
        .offset:         0
        .size:           8
        .value_kind:     global_buffer
      - .address_space:  global
        .offset:         8
        .size:           8
        .value_kind:     global_buffer
      - .address_space:  global
        .offset:         16
        .size:           8
        .value_kind:     global_buffer
      - .address_space:  global
        .offset:         24
        .size:           8
        .value_kind:     global_buffer
      - .address_space:  global
        .offset:         32
        .size:           8
        .value_kind:     global_buffer
      - .address_space:  global
        .offset:         40
        .size:           8
        .value_kind:     global_buffer
      - .address_space:  global
        .offset:         48
        .size:           8
        .value_kind:     global_buffer
      - .address_space:  global
        .offset:         56
        .size:           8
        .value_kind:     global_buffer
      - .offset:         64
        .size:           4
        .value_kind:     by_value
      - .offset:         68
        .size:           4
        .value_kind:     by_value
      - .offset:         72
        .size:           4
        .value_kind:     by_value
      - .offset:         76
        .size:           4
        .value_kind:     by_value
      - .offset:         80
        .size:           4
        .value_kind:     by_value
      - .offset:         84
        .size:           4
        .value_kind:     by_value
      - .offset:         88
        .size:           4
        .value_kind:     by_value
      - .offset:         92
        .size:           12
        .value_kind:     by_value
      - .offset:         104
        .size:           4
        .value_kind:     by_value
      - .offset:         108
        .size:           4
        .value_kind:     by_value
      - .offset:         112
        .size:           4
        .value_kind:     by_value
      - .offset:         116
        .size:           4
        .value_kind:     by_value
      - .offset:         120
        .size:           4
        .value_kind:     by_value
      - .offset:         124
        .size:           4
        .value_kind:     by_value
      - .offset:         128
        .size:           4
        .value_kind:     by_value
      - .offset:         132
        .size:           4
        .value_kind:     by_value
      - .offset:         136
        .size:           4
        .value_kind:     by_value
      - .offset:         140
        .size:           4
        .value_kind:     by_value
      - .offset:         144
        .size:           4
        .value_kind:     by_value
      - .offset:         152
        .size:           8
        .value_kind:     by_value
      - .offset:         160
        .size:           4
        .value_kind:     by_value
      - .offset:         164
        .size:           4
        .value_kind:     by_value
      - .offset:         168
        .size:           8
        .value_kind:     by_value
      - .offset:         176
        .size:           4
        .value_kind:     by_value
      - .offset:         180
        .size:           4
        .value_kind:     by_value
      - .offset:         184
        .size:           4
        .value_kind:     by_value
      - .offset:         188
        .size:           4
        .value_kind:     by_value
      - .offset:         192
        .size:           4
        .value_kind:     by_value
      - .offset:         200
        .size:           8
        .value_kind:     by_value
      - .offset:         208
        .size:           4
        .value_kind:     hidden_block_count_x
      - .offset:         212
        .size:           4
        .value_kind:     hidden_block_count_y
      - .offset:         216
        .size:           4
        .value_kind:     hidden_block_count_z
      - .offset:         220
        .size:           2
        .value_kind:     hidden_group_size_x
      - .offset:         222
        .size:           2
        .value_kind:     hidden_group_size_y
      - .offset:         224
        .size:           2
        .value_kind:     hidden_group_size_z
      - .offset:         226
        .size:           2
        .value_kind:     hidden_remainder_x
      - .offset:         228
        .size:           2
        .value_kind:     hidden_remainder_y
      - .offset:         230
        .size:           2
        .value_kind:     hidden_remainder_z
      - .offset:         248
        .size:           8
        .value_kind:     hidden_global_offset_x
      - .offset:         256
        .size:           8
        .value_kind:     hidden_global_offset_y
      - .offset:         264
        .size:           8
        .value_kind:     hidden_global_offset_z
      - .offset:         272
        .size:           2
        .value_kind:     hidden_grid_dims
      - .offset:         288
        .size:           8
        .value_kind:     hidden_hostcall_buffer
    .group_segment_fixed_size: 0
    .kernarg_segment_align: 8
    .kernarg_segment_size: 464
    .language:       OpenCL C
    .language_version:
      - 2
      - 0
    .max_flat_workgroup_size: 128
    .name:           _ZL15flash_attn_tileILi64ELi64ELi8ELi1ELb1EEvPKcS1_S1_S1_S1_PKiPfP15HIP_vector_typeIfLj2EEffffjfiS5_IjLj3EEiiiiiiiiiiiliiliiiiil
    .private_segment_fixed_size: 16
    .sgpr_count:     36
    .sgpr_spill_count: 0
    .symbol:         _ZL15flash_attn_tileILi64ELi64ELi8ELi1ELb1EEvPKcS1_S1_S1_S1_PKiPfP15HIP_vector_typeIfLj2EEffffjfiS5_IjLj3EEiiiiiiiiiiiliiliiiiil.kd
    .uniform_work_group_size: 1
    .uses_dynamic_stack: false
    .vgpr_count:     40
    .vgpr_spill_count: 0
    .wavefront_size: 32
    .workgroup_processor_mode: 1
  - .args:
      - .address_space:  global
        .offset:         0
        .size:           8
        .value_kind:     global_buffer
      - .address_space:  global
        .offset:         8
        .size:           8
        .value_kind:     global_buffer
      - .address_space:  global
        .offset:         16
        .size:           8
        .value_kind:     global_buffer
      - .address_space:  global
        .offset:         24
        .size:           8
        .value_kind:     global_buffer
      - .address_space:  global
        .offset:         32
        .size:           8
        .value_kind:     global_buffer
      - .address_space:  global
        .offset:         40
        .size:           8
        .value_kind:     global_buffer
      - .address_space:  global
        .offset:         48
        .size:           8
        .value_kind:     global_buffer
      - .address_space:  global
        .offset:         56
        .size:           8
        .value_kind:     global_buffer
      - .offset:         64
        .size:           4
        .value_kind:     by_value
      - .offset:         68
        .size:           4
        .value_kind:     by_value
      - .offset:         72
        .size:           4
        .value_kind:     by_value
      - .offset:         76
        .size:           4
        .value_kind:     by_value
      - .offset:         80
        .size:           4
        .value_kind:     by_value
      - .offset:         84
        .size:           4
        .value_kind:     by_value
      - .offset:         88
        .size:           4
        .value_kind:     by_value
      - .offset:         92
        .size:           12
        .value_kind:     by_value
      - .offset:         104
        .size:           4
        .value_kind:     by_value
      - .offset:         108
        .size:           4
        .value_kind:     by_value
      - .offset:         112
        .size:           4
        .value_kind:     by_value
      - .offset:         116
        .size:           4
        .value_kind:     by_value
      - .offset:         120
        .size:           4
        .value_kind:     by_value
      - .offset:         124
        .size:           4
        .value_kind:     by_value
      - .offset:         128
        .size:           4
        .value_kind:     by_value
      - .offset:         132
        .size:           4
        .value_kind:     by_value
      - .offset:         136
        .size:           4
        .value_kind:     by_value
      - .offset:         140
        .size:           4
        .value_kind:     by_value
      - .offset:         144
        .size:           4
        .value_kind:     by_value
      - .offset:         152
        .size:           8
        .value_kind:     by_value
      - .offset:         160
        .size:           4
        .value_kind:     by_value
      - .offset:         164
        .size:           4
        .value_kind:     by_value
      - .offset:         168
        .size:           8
        .value_kind:     by_value
      - .offset:         176
        .size:           4
        .value_kind:     by_value
      - .offset:         180
        .size:           4
        .value_kind:     by_value
      - .offset:         184
        .size:           4
        .value_kind:     by_value
      - .offset:         188
        .size:           4
        .value_kind:     by_value
      - .offset:         192
        .size:           4
        .value_kind:     by_value
      - .offset:         200
        .size:           8
        .value_kind:     by_value
      - .offset:         208
        .size:           4
        .value_kind:     hidden_block_count_x
      - .offset:         212
        .size:           4
        .value_kind:     hidden_block_count_y
      - .offset:         216
        .size:           4
        .value_kind:     hidden_block_count_z
      - .offset:         220
        .size:           2
        .value_kind:     hidden_group_size_x
      - .offset:         222
        .size:           2
        .value_kind:     hidden_group_size_y
      - .offset:         224
        .size:           2
        .value_kind:     hidden_group_size_z
      - .offset:         226
        .size:           2
        .value_kind:     hidden_remainder_x
      - .offset:         228
        .size:           2
        .value_kind:     hidden_remainder_y
      - .offset:         230
        .size:           2
        .value_kind:     hidden_remainder_z
      - .offset:         248
        .size:           8
        .value_kind:     hidden_global_offset_x
      - .offset:         256
        .size:           8
        .value_kind:     hidden_global_offset_y
      - .offset:         264
        .size:           8
        .value_kind:     hidden_global_offset_z
      - .offset:         272
        .size:           2
        .value_kind:     hidden_grid_dims
      - .offset:         288
        .size:           8
        .value_kind:     hidden_hostcall_buffer
    .group_segment_fixed_size: 0
    .kernarg_segment_align: 8
    .kernarg_segment_size: 464
    .language:       OpenCL C
    .language_version:
      - 2
      - 0
    .max_flat_workgroup_size: 64
    .name:           _ZL15flash_attn_tileILi64ELi64ELi4ELi1ELb1EEvPKcS1_S1_S1_S1_PKiPfP15HIP_vector_typeIfLj2EEffffjfiS5_IjLj3EEiiiiiiiiiiiliiliiiiil
    .private_segment_fixed_size: 16
    .sgpr_count:     36
    .sgpr_spill_count: 0
    .symbol:         _ZL15flash_attn_tileILi64ELi64ELi4ELi1ELb1EEvPKcS1_S1_S1_S1_PKiPfP15HIP_vector_typeIfLj2EEffffjfiS5_IjLj3EEiiiiiiiiiiiliiliiiiil.kd
    .uniform_work_group_size: 1
    .uses_dynamic_stack: false
    .vgpr_count:     40
    .vgpr_spill_count: 0
    .wavefront_size: 32
    .workgroup_processor_mode: 1
  - .args:
      - .address_space:  global
        .offset:         0
        .size:           8
        .value_kind:     global_buffer
      - .address_space:  global
        .offset:         8
        .size:           8
        .value_kind:     global_buffer
      - .address_space:  global
        .offset:         16
        .size:           8
        .value_kind:     global_buffer
      - .address_space:  global
        .offset:         24
        .size:           8
        .value_kind:     global_buffer
      - .address_space:  global
        .offset:         32
        .size:           8
        .value_kind:     global_buffer
      - .address_space:  global
        .offset:         40
        .size:           8
        .value_kind:     global_buffer
      - .address_space:  global
        .offset:         48
        .size:           8
        .value_kind:     global_buffer
      - .address_space:  global
        .offset:         56
        .size:           8
        .value_kind:     global_buffer
      - .offset:         64
        .size:           4
        .value_kind:     by_value
      - .offset:         68
        .size:           4
        .value_kind:     by_value
      - .offset:         72
        .size:           4
        .value_kind:     by_value
      - .offset:         76
        .size:           4
        .value_kind:     by_value
      - .offset:         80
        .size:           4
        .value_kind:     by_value
      - .offset:         84
        .size:           4
        .value_kind:     by_value
      - .offset:         88
        .size:           4
        .value_kind:     by_value
      - .offset:         92
        .size:           12
        .value_kind:     by_value
      - .offset:         104
        .size:           4
        .value_kind:     by_value
      - .offset:         108
        .size:           4
        .value_kind:     by_value
      - .offset:         112
        .size:           4
        .value_kind:     by_value
      - .offset:         116
        .size:           4
        .value_kind:     by_value
      - .offset:         120
        .size:           4
        .value_kind:     by_value
      - .offset:         124
        .size:           4
        .value_kind:     by_value
      - .offset:         128
        .size:           4
        .value_kind:     by_value
      - .offset:         132
        .size:           4
        .value_kind:     by_value
      - .offset:         136
        .size:           4
        .value_kind:     by_value
      - .offset:         140
        .size:           4
        .value_kind:     by_value
      - .offset:         144
        .size:           4
        .value_kind:     by_value
      - .offset:         152
        .size:           8
        .value_kind:     by_value
      - .offset:         160
        .size:           4
        .value_kind:     by_value
      - .offset:         164
        .size:           4
        .value_kind:     by_value
      - .offset:         168
        .size:           8
        .value_kind:     by_value
      - .offset:         176
        .size:           4
        .value_kind:     by_value
      - .offset:         180
        .size:           4
        .value_kind:     by_value
      - .offset:         184
        .size:           4
        .value_kind:     by_value
      - .offset:         188
        .size:           4
        .value_kind:     by_value
      - .offset:         192
        .size:           4
        .value_kind:     by_value
      - .offset:         200
        .size:           8
        .value_kind:     by_value
      - .offset:         208
        .size:           4
        .value_kind:     hidden_block_count_x
      - .offset:         212
        .size:           4
        .value_kind:     hidden_block_count_y
      - .offset:         216
        .size:           4
        .value_kind:     hidden_block_count_z
      - .offset:         220
        .size:           2
        .value_kind:     hidden_group_size_x
      - .offset:         222
        .size:           2
        .value_kind:     hidden_group_size_y
      - .offset:         224
        .size:           2
        .value_kind:     hidden_group_size_z
      - .offset:         226
        .size:           2
        .value_kind:     hidden_remainder_x
      - .offset:         228
        .size:           2
        .value_kind:     hidden_remainder_y
      - .offset:         230
        .size:           2
        .value_kind:     hidden_remainder_z
      - .offset:         248
        .size:           8
        .value_kind:     hidden_global_offset_x
      - .offset:         256
        .size:           8
        .value_kind:     hidden_global_offset_y
      - .offset:         264
        .size:           8
        .value_kind:     hidden_global_offset_z
      - .offset:         272
        .size:           2
        .value_kind:     hidden_grid_dims
      - .offset:         288
        .size:           8
        .value_kind:     hidden_hostcall_buffer
    .group_segment_fixed_size: 0
    .kernarg_segment_align: 8
    .kernarg_segment_size: 464
    .language:       OpenCL C
    .language_version:
      - 2
      - 0
    .max_flat_workgroup_size: 64
    .name:           _ZL15flash_attn_tileILi64ELi64ELi2ELi1ELb1EEvPKcS1_S1_S1_S1_PKiPfP15HIP_vector_typeIfLj2EEffffjfiS5_IjLj3EEiiiiiiiiiiiliiliiiiil
    .private_segment_fixed_size: 16
    .sgpr_count:     36
    .sgpr_spill_count: 0
    .symbol:         _ZL15flash_attn_tileILi64ELi64ELi2ELi1ELb1EEvPKcS1_S1_S1_S1_PKiPfP15HIP_vector_typeIfLj2EEffffjfiS5_IjLj3EEiiiiiiiiiiiliiliiiiil.kd
    .uniform_work_group_size: 1
    .uses_dynamic_stack: false
    .vgpr_count:     40
    .vgpr_spill_count: 0
    .wavefront_size: 32
    .workgroup_processor_mode: 1
amdhsa.target:   amdgcn-amd-amdhsa--gfx1201
amdhsa.version:
  - 1
  - 2
...

	.end_amdgpu_metadata
